;; amdgpu-corpus repo=pytorch/pytorch kind=compiled arch=gfx90a opt=O3
	.text
	.amdgcn_target "amdgcn-amd-amdhsa--gfx90a"
	.amdhsa_code_object_version 6
	.section	.text._ZN2at6native12_GLOBAL__N_128vectorized_layer_norm_kernelIddLb0EEEviT0_PKT_S6_S6_PS3_S7_PS4_,"axG",@progbits,_ZN2at6native12_GLOBAL__N_128vectorized_layer_norm_kernelIddLb0EEEviT0_PKT_S6_S6_PS3_S7_PS4_,comdat
	.globl	_ZN2at6native12_GLOBAL__N_128vectorized_layer_norm_kernelIddLb0EEEviT0_PKT_S6_S6_PS3_S7_PS4_ ; -- Begin function _ZN2at6native12_GLOBAL__N_128vectorized_layer_norm_kernelIddLb0EEEviT0_PKT_S6_S6_PS3_S7_PS4_
	.p2align	8
	.type	_ZN2at6native12_GLOBAL__N_128vectorized_layer_norm_kernelIddLb0EEEviT0_PKT_S6_S6_PS3_S7_PS4_,@function
_ZN2at6native12_GLOBAL__N_128vectorized_layer_norm_kernelIddLb0EEEviT0_PKT_S6_S6_PS3_S7_PS4_: ; @_ZN2at6native12_GLOBAL__N_128vectorized_layer_norm_kernelIddLb0EEEviT0_PKT_S6_S6_PS3_S7_PS4_
; %bb.0:
	s_trap 2
	.section	.rodata,"a",@progbits
	.p2align	6, 0x0
	.amdhsa_kernel _ZN2at6native12_GLOBAL__N_128vectorized_layer_norm_kernelIddLb0EEEviT0_PKT_S6_S6_PS3_S7_PS4_
		.amdhsa_group_segment_fixed_size 0
		.amdhsa_private_segment_fixed_size 0
		.amdhsa_kernarg_size 64
		.amdhsa_user_sgpr_count 6
		.amdhsa_user_sgpr_private_segment_buffer 1
		.amdhsa_user_sgpr_dispatch_ptr 0
		.amdhsa_user_sgpr_queue_ptr 0
		.amdhsa_user_sgpr_kernarg_segment_ptr 1
		.amdhsa_user_sgpr_dispatch_id 0
		.amdhsa_user_sgpr_flat_scratch_init 0
		.amdhsa_user_sgpr_kernarg_preload_length 0
		.amdhsa_user_sgpr_kernarg_preload_offset 0
		.amdhsa_user_sgpr_private_segment_size 0
		.amdhsa_uses_dynamic_stack 0
		.amdhsa_system_sgpr_private_segment_wavefront_offset 0
		.amdhsa_system_sgpr_workgroup_id_x 1
		.amdhsa_system_sgpr_workgroup_id_y 0
		.amdhsa_system_sgpr_workgroup_id_z 0
		.amdhsa_system_sgpr_workgroup_info 0
		.amdhsa_system_vgpr_workitem_id 0
		.amdhsa_next_free_vgpr 1
		.amdhsa_next_free_sgpr 0
		.amdhsa_accum_offset 4
		.amdhsa_reserve_vcc 0
		.amdhsa_reserve_flat_scratch 0
		.amdhsa_float_round_mode_32 0
		.amdhsa_float_round_mode_16_64 0
		.amdhsa_float_denorm_mode_32 3
		.amdhsa_float_denorm_mode_16_64 3
		.amdhsa_dx10_clamp 1
		.amdhsa_ieee_mode 1
		.amdhsa_fp16_overflow 0
		.amdhsa_tg_split 0
		.amdhsa_exception_fp_ieee_invalid_op 0
		.amdhsa_exception_fp_denorm_src 0
		.amdhsa_exception_fp_ieee_div_zero 0
		.amdhsa_exception_fp_ieee_overflow 0
		.amdhsa_exception_fp_ieee_underflow 0
		.amdhsa_exception_fp_ieee_inexact 0
		.amdhsa_exception_int_div_zero 0
	.end_amdhsa_kernel
	.section	.text._ZN2at6native12_GLOBAL__N_128vectorized_layer_norm_kernelIddLb0EEEviT0_PKT_S6_S6_PS3_S7_PS4_,"axG",@progbits,_ZN2at6native12_GLOBAL__N_128vectorized_layer_norm_kernelIddLb0EEEviT0_PKT_S6_S6_PS3_S7_PS4_,comdat
.Lfunc_end0:
	.size	_ZN2at6native12_GLOBAL__N_128vectorized_layer_norm_kernelIddLb0EEEviT0_PKT_S6_S6_PS3_S7_PS4_, .Lfunc_end0-_ZN2at6native12_GLOBAL__N_128vectorized_layer_norm_kernelIddLb0EEEviT0_PKT_S6_S6_PS3_S7_PS4_
                                        ; -- End function
	.section	.AMDGPU.csdata,"",@progbits
; Kernel info:
; codeLenInByte = 4
; NumSgprs: 4
; NumVgprs: 0
; NumAgprs: 0
; TotalNumVgprs: 0
; ScratchSize: 0
; MemoryBound: 0
; FloatMode: 240
; IeeeMode: 1
; LDSByteSize: 0 bytes/workgroup (compile time only)
; SGPRBlocks: 0
; VGPRBlocks: 0
; NumSGPRsForWavesPerEU: 4
; NumVGPRsForWavesPerEU: 1
; AccumOffset: 4
; Occupancy: 8
; WaveLimiterHint : 0
; COMPUTE_PGM_RSRC2:SCRATCH_EN: 0
; COMPUTE_PGM_RSRC2:USER_SGPR: 6
; COMPUTE_PGM_RSRC2:TRAP_HANDLER: 0
; COMPUTE_PGM_RSRC2:TGID_X_EN: 1
; COMPUTE_PGM_RSRC2:TGID_Y_EN: 0
; COMPUTE_PGM_RSRC2:TGID_Z_EN: 0
; COMPUTE_PGM_RSRC2:TIDIG_COMP_CNT: 0
; COMPUTE_PGM_RSRC3_GFX90A:ACCUM_OFFSET: 0
; COMPUTE_PGM_RSRC3_GFX90A:TG_SPLIT: 0
	.section	.text._ZN2at6native12_GLOBAL__N_124RowwiseMomentsCUDAKernelIddLb0EEEvlT0_PKT_PS3_S7_,"axG",@progbits,_ZN2at6native12_GLOBAL__N_124RowwiseMomentsCUDAKernelIddLb0EEEvlT0_PKT_PS3_S7_,comdat
	.globl	_ZN2at6native12_GLOBAL__N_124RowwiseMomentsCUDAKernelIddLb0EEEvlT0_PKT_PS3_S7_ ; -- Begin function _ZN2at6native12_GLOBAL__N_124RowwiseMomentsCUDAKernelIddLb0EEEvlT0_PKT_PS3_S7_
	.p2align	8
	.type	_ZN2at6native12_GLOBAL__N_124RowwiseMomentsCUDAKernelIddLb0EEEvlT0_PKT_PS3_S7_,@function
_ZN2at6native12_GLOBAL__N_124RowwiseMomentsCUDAKernelIddLb0EEEvlT0_PKT_PS3_S7_: ; @_ZN2at6native12_GLOBAL__N_124RowwiseMomentsCUDAKernelIddLb0EEEvlT0_PKT_PS3_S7_
; %bb.0:
	s_load_dwordx8 s[8:15], s[4:5], 0x0
	s_load_dwordx2 s[0:1], s[4:5], 0x20
	v_mov_b32_e32 v1, 0
	v_pk_mov_b32 v[10:11], 0, 0
	s_mov_b32 s7, 0
	s_waitcnt lgkmcnt(0)
	v_cmp_gt_i64_e32 vcc, s[8:9], v[0:1]
	v_pk_mov_b32 v[14:15], 0, 0
	v_pk_mov_b32 v[2:3], v[10:11], v[10:11] op_sel:[0,1]
	v_pk_mov_b32 v[4:5], v[10:11], v[10:11] op_sel:[0,1]
	s_and_saveexec_b64 s[2:3], vcc
	s_cbranch_execz .LBB1_4
; %bb.1:
	s_load_dword s16, s[4:5], 0x34
	s_mul_i32 s17, s9, s6
	s_mul_hi_u32 s18, s8, s6
	s_add_i32 s17, s18, s17
	v_lshlrev_b32_e32 v2, 3, v0
	s_waitcnt lgkmcnt(0)
	s_and_b32 s18, s16, 0xffff
	s_mul_i32 s16, s8, s6
	s_lshl_b64 s[16:17], s[16:17], 3
	s_add_u32 s12, s12, s16
	s_addc_u32 s13, s13, s17
	v_mov_b32_e32 v3, s13
	v_add_co_u32_e32 v6, vcc, s12, v2
	v_addc_co_u32_e32 v7, vcc, 0, v3, vcc
	v_pk_mov_b32 v[2:3], 0, 0
	s_lshl_b32 s19, s18, 3
	s_mov_b64 s[12:13], 0
	v_mov_b32_e32 v12, s7
	v_mov_b32_e32 v13, s7
	v_pk_mov_b32 v[8:9], v[0:1], v[0:1] op_sel:[0,1]
	s_mov_b64 s[16:17], 0
	v_pk_mov_b32 v[4:5], v[2:3], v[2:3] op_sel:[0,1]
.LBB1_2:                                ; =>This Inner Loop Header: Depth=1
	global_load_dwordx2 v[16:17], v[6:7], off
	s_add_u32 s16, s16, 1
	s_addc_u32 s17, s17, 0
	v_cvt_f64_u32_e32 v[18:19], s17
	v_cvt_f64_u32_e32 v[10:11], s16
	v_ldexp_f64 v[18:19], v[18:19], 32
	v_add_f64 v[10:11], v[18:19], v[10:11]
	v_add_co_u32_e32 v8, vcc, s18, v8
	v_addc_co_u32_e32 v9, vcc, v9, v12, vcc
	v_add_co_u32_e32 v6, vcc, s19, v6
	v_addc_co_u32_e32 v7, vcc, v7, v13, vcc
	v_cmp_le_i64_e32 vcc, s[8:9], v[8:9]
	s_or_b64 s[12:13], vcc, s[12:13]
	v_pk_mov_b32 v[14:15], s[16:17], s[16:17] op_sel:[0,1]
	s_waitcnt vmcnt(0)
	v_add_f64 v[18:19], v[16:17], -v[4:5]
	v_div_scale_f64 v[20:21], s[20:21], v[10:11], v[10:11], v[18:19]
	v_rcp_f64_e32 v[22:23], v[20:21]
	v_div_scale_f64 v[24:25], vcc, v[18:19], v[10:11], v[18:19]
	v_fma_f64 v[26:27], -v[20:21], v[22:23], 1.0
	v_fmac_f64_e32 v[22:23], v[22:23], v[26:27]
	v_fma_f64 v[26:27], -v[20:21], v[22:23], 1.0
	v_fmac_f64_e32 v[22:23], v[22:23], v[26:27]
	v_mul_f64 v[26:27], v[24:25], v[22:23]
	v_fma_f64 v[20:21], -v[20:21], v[26:27], v[24:25]
	v_div_fmas_f64 v[20:21], v[20:21], v[22:23], v[26:27]
	v_div_fixup_f64 v[20:21], v[20:21], v[10:11], v[18:19]
	v_add_f64 v[4:5], v[4:5], v[20:21]
	v_add_f64 v[16:17], v[16:17], -v[4:5]
	v_fmac_f64_e32 v[2:3], v[18:19], v[16:17]
	s_andn2_b64 exec, exec, s[12:13]
	s_cbranch_execnz .LBB1_2
; %bb.3:
	s_or_b64 exec, exec, s[12:13]
.LBB1_4:
	s_or_b64 exec, exec, s[2:3]
	v_mbcnt_lo_u32_b32 v1, -1, 0
	v_mbcnt_hi_u32_b32 v22, -1, v1
	v_and_b32_e32 v23, 63, v22
	v_cmp_gt_u32_e32 vcc, 32, v23
	v_cndmask_b32_e64 v1, 0, 1, vcc
	v_lshlrev_b32_e32 v1, 5, v1
	v_add_lshl_u32 v1, v1, v22, 2
	ds_bpermute_b32 v8, v1, v4
	ds_bpermute_b32 v9, v1, v5
	;; [unrolled: 1-line block ×8, first 2 shown]
	v_cmp_neq_f64_e32 vcc, 0, v[10:11]
	s_and_saveexec_b64 s[2:3], vcc
	s_cbranch_execz .LBB1_8
; %bb.5:
	s_waitcnt lgkmcnt(0)
	v_cmp_neq_f64_e32 vcc, 0, v[12:13]
	s_and_saveexec_b64 s[8:9], vcc
	s_cbranch_execz .LBB1_7
; %bb.6:
	v_add_f64 v[16:17], v[10:11], v[12:13]
	v_div_scale_f64 v[14:15], s[12:13], v[16:17], v[16:17], v[12:13]
	v_rcp_f64_e32 v[18:19], v[14:15]
	v_add_f64 v[8:9], v[8:9], -v[4:5]
	v_add_f64 v[2:3], v[2:3], v[6:7]
	v_mul_f64 v[6:7], v[8:9], v[8:9]
	v_fma_f64 v[20:21], -v[14:15], v[18:19], 1.0
	v_fmac_f64_e32 v[18:19], v[18:19], v[20:21]
	v_fma_f64 v[20:21], -v[14:15], v[18:19], 1.0
	v_fmac_f64_e32 v[18:19], v[18:19], v[20:21]
	v_div_scale_f64 v[20:21], vcc, v[12:13], v[16:17], v[12:13]
	v_mul_f64 v[24:25], v[20:21], v[18:19]
	v_fma_f64 v[14:15], -v[14:15], v[24:25], v[20:21]
	v_mul_f64 v[6:7], v[10:11], v[6:7]
	s_nop 0
	v_div_fmas_f64 v[14:15], v[14:15], v[18:19], v[24:25]
	v_div_fixup_f64 v[12:13], v[14:15], v[16:17], v[12:13]
	v_fmac_f64_e32 v[4:5], v[8:9], v[12:13]
	v_fmac_f64_e32 v[2:3], v[6:7], v[12:13]
	v_pk_mov_b32 v[14:15], -1, -1
	v_pk_mov_b32 v[10:11], v[16:17], v[16:17] op_sel:[0,1]
.LBB1_7:
	s_or_b64 exec, exec, s[8:9]
	v_pk_mov_b32 v[12:13], v[10:11], v[10:11] op_sel:[0,1]
	v_pk_mov_b32 v[16:17], v[14:15], v[14:15] op_sel:[0,1]
	v_pk_mov_b32 v[6:7], v[2:3], v[2:3] op_sel:[0,1]
	v_pk_mov_b32 v[8:9], v[4:5], v[4:5] op_sel:[0,1]
.LBB1_8:
	s_or_b64 exec, exec, s[2:3]
	v_cmp_gt_u32_e32 vcc, 48, v23
	v_cndmask_b32_e64 v2, 0, 1, vcc
	v_lshlrev_b32_e32 v2, 4, v2
	v_add_lshl_u32 v20, v2, v22, 2
	s_waitcnt lgkmcnt(7)
	ds_bpermute_b32 v10, v20, v8
	s_waitcnt lgkmcnt(7)
	ds_bpermute_b32 v11, v20, v9
	s_waitcnt lgkmcnt(7)
	ds_bpermute_b32 v2, v20, v6
	s_waitcnt lgkmcnt(7)
	ds_bpermute_b32 v3, v20, v7
	s_waitcnt lgkmcnt(7)
	ds_bpermute_b32 v18, v20, v16
	s_waitcnt lgkmcnt(7)
	ds_bpermute_b32 v19, v20, v17
	s_waitcnt lgkmcnt(7)
	ds_bpermute_b32 v14, v20, v12
	s_waitcnt lgkmcnt(7)
	ds_bpermute_b32 v15, v20, v13
	v_cmp_neq_f64_e32 vcc, 0, v[12:13]
	s_and_saveexec_b64 s[2:3], vcc
	s_cbranch_execz .LBB1_12
; %bb.9:
	s_waitcnt lgkmcnt(0)
	v_cmp_neq_f64_e32 vcc, 0, v[14:15]
	s_and_saveexec_b64 s[8:9], vcc
	s_cbranch_execz .LBB1_11
; %bb.10:
	v_add_f64 v[4:5], v[12:13], v[14:15]
	v_div_scale_f64 v[16:17], s[12:13], v[4:5], v[4:5], v[14:15]
	v_rcp_f64_e32 v[18:19], v[16:17]
	v_add_f64 v[10:11], v[10:11], -v[8:9]
	v_add_f64 v[6:7], v[6:7], v[2:3]
	v_mul_f64 v[2:3], v[10:11], v[10:11]
	v_fma_f64 v[24:25], -v[16:17], v[18:19], 1.0
	v_fmac_f64_e32 v[18:19], v[18:19], v[24:25]
	v_fma_f64 v[24:25], -v[16:17], v[18:19], 1.0
	v_fmac_f64_e32 v[18:19], v[18:19], v[24:25]
	v_div_scale_f64 v[24:25], vcc, v[14:15], v[4:5], v[14:15]
	v_mul_f64 v[26:27], v[24:25], v[18:19]
	v_fma_f64 v[16:17], -v[16:17], v[26:27], v[24:25]
	v_mul_f64 v[2:3], v[12:13], v[2:3]
	s_nop 0
	v_div_fmas_f64 v[16:17], v[16:17], v[18:19], v[26:27]
	v_div_fixup_f64 v[14:15], v[16:17], v[4:5], v[14:15]
	v_fmac_f64_e32 v[8:9], v[10:11], v[14:15]
	v_fmac_f64_e32 v[6:7], v[2:3], v[14:15]
	v_pk_mov_b32 v[16:17], -1, -1
	v_pk_mov_b32 v[12:13], v[4:5], v[4:5] op_sel:[0,1]
.LBB1_11:
	s_or_b64 exec, exec, s[8:9]
	v_pk_mov_b32 v[14:15], v[12:13], v[12:13] op_sel:[0,1]
	v_pk_mov_b32 v[18:19], v[16:17], v[16:17] op_sel:[0,1]
	v_pk_mov_b32 v[2:3], v[6:7], v[6:7] op_sel:[0,1]
	v_pk_mov_b32 v[10:11], v[8:9], v[8:9] op_sel:[0,1]
.LBB1_12:
	s_or_b64 exec, exec, s[2:3]
	v_cmp_gt_u32_e32 vcc, 56, v23
	v_cndmask_b32_e64 v4, 0, 1, vcc
	v_lshlrev_b32_e32 v4, 3, v4
	v_add_lshl_u32 v21, v4, v22, 2
	s_waitcnt lgkmcnt(7)
	ds_bpermute_b32 v6, v21, v10
	s_waitcnt lgkmcnt(7)
	ds_bpermute_b32 v7, v21, v11
	s_waitcnt lgkmcnt(7)
	ds_bpermute_b32 v4, v21, v2
	s_waitcnt lgkmcnt(7)
	ds_bpermute_b32 v5, v21, v3
	s_waitcnt lgkmcnt(7)
	ds_bpermute_b32 v16, v21, v18
	s_waitcnt lgkmcnt(7)
	ds_bpermute_b32 v17, v21, v19
	s_waitcnt lgkmcnt(7)
	ds_bpermute_b32 v12, v21, v14
	s_waitcnt lgkmcnt(7)
	ds_bpermute_b32 v13, v21, v15
	;; [unrolled: 58-line block ×4, first 2 shown]
	v_cmp_neq_f64_e32 vcc, 0, v[10:11]
	s_and_saveexec_b64 s[2:3], vcc
	s_cbranch_execz .LBB1_24
; %bb.21:
	s_waitcnt lgkmcnt(0)
	v_cmp_neq_f64_e32 vcc, 0, v[12:13]
	s_and_saveexec_b64 s[8:9], vcc
	s_cbranch_execz .LBB1_23
; %bb.22:
	v_add_f64 v[16:17], v[10:11], v[12:13]
	v_div_scale_f64 v[14:15], s[12:13], v[16:17], v[16:17], v[12:13]
	v_rcp_f64_e32 v[24:25], v[14:15]
	v_add_f64 v[6:7], v[6:7], -v[8:9]
	v_add_f64 v[2:3], v[2:3], v[4:5]
	v_mul_f64 v[4:5], v[6:7], v[6:7]
	v_fma_f64 v[26:27], -v[14:15], v[24:25], 1.0
	v_fmac_f64_e32 v[24:25], v[24:25], v[26:27]
	v_fma_f64 v[26:27], -v[14:15], v[24:25], 1.0
	v_fmac_f64_e32 v[24:25], v[24:25], v[26:27]
	v_div_scale_f64 v[26:27], vcc, v[12:13], v[16:17], v[12:13]
	v_mul_f64 v[28:29], v[26:27], v[24:25]
	v_fma_f64 v[14:15], -v[14:15], v[28:29], v[26:27]
	v_mul_f64 v[4:5], v[10:11], v[4:5]
	s_nop 0
	v_div_fmas_f64 v[14:15], v[14:15], v[24:25], v[28:29]
	v_div_fixup_f64 v[12:13], v[14:15], v[16:17], v[12:13]
	v_fmac_f64_e32 v[8:9], v[6:7], v[12:13]
	v_fmac_f64_e32 v[2:3], v[4:5], v[12:13]
	v_pk_mov_b32 v[14:15], -1, -1
	v_pk_mov_b32 v[10:11], v[16:17], v[16:17] op_sel:[0,1]
.LBB1_23:
	s_or_b64 exec, exec, s[8:9]
	v_pk_mov_b32 v[12:13], v[10:11], v[10:11] op_sel:[0,1]
	v_pk_mov_b32 v[16:17], v[14:15], v[14:15] op_sel:[0,1]
	v_pk_mov_b32 v[4:5], v[2:3], v[2:3] op_sel:[0,1]
	v_pk_mov_b32 v[6:7], v[8:9], v[8:9] op_sel:[0,1]
.LBB1_24:
	s_or_b64 exec, exec, s[2:3]
	v_cmp_ne_u32_e32 vcc, 63, v23
	v_addc_co_u32_e32 v2, vcc, 0, v22, vcc
	v_lshlrev_b32_e32 v22, 2, v2
	s_waitcnt lgkmcnt(7)
	ds_bpermute_b32 v10, v22, v6
	s_waitcnt lgkmcnt(7)
	ds_bpermute_b32 v11, v22, v7
	;; [unrolled: 2-line block ×8, first 2 shown]
	v_cmp_neq_f64_e32 vcc, 0, v[12:13]
	s_and_saveexec_b64 s[2:3], vcc
	s_cbranch_execz .LBB1_28
; %bb.25:
	s_waitcnt lgkmcnt(0)
	v_cmp_neq_f64_e32 vcc, 0, v[8:9]
	s_and_saveexec_b64 s[8:9], vcc
	s_cbranch_execz .LBB1_27
; %bb.26:
	v_add_f64 v[14:15], v[12:13], v[8:9]
	v_div_scale_f64 v[16:17], s[12:13], v[14:15], v[14:15], v[8:9]
	v_rcp_f64_e32 v[24:25], v[16:17]
	v_add_f64 v[10:11], v[10:11], -v[6:7]
	v_add_f64 v[4:5], v[4:5], v[2:3]
	v_mul_f64 v[2:3], v[10:11], v[10:11]
	v_fma_f64 v[26:27], -v[16:17], v[24:25], 1.0
	v_fmac_f64_e32 v[24:25], v[24:25], v[26:27]
	v_fma_f64 v[26:27], -v[16:17], v[24:25], 1.0
	v_fmac_f64_e32 v[24:25], v[24:25], v[26:27]
	v_div_scale_f64 v[26:27], vcc, v[8:9], v[14:15], v[8:9]
	v_mul_f64 v[28:29], v[26:27], v[24:25]
	v_fma_f64 v[16:17], -v[16:17], v[28:29], v[26:27]
	v_mul_f64 v[2:3], v[12:13], v[2:3]
	s_nop 0
	v_div_fmas_f64 v[16:17], v[16:17], v[24:25], v[28:29]
	v_div_fixup_f64 v[8:9], v[16:17], v[14:15], v[8:9]
	v_fmac_f64_e32 v[6:7], v[10:11], v[8:9]
	v_fmac_f64_e32 v[4:5], v[2:3], v[8:9]
	v_pk_mov_b32 v[16:17], -1, -1
	v_pk_mov_b32 v[12:13], v[14:15], v[14:15] op_sel:[0,1]
.LBB1_27:
	s_or_b64 exec, exec, s[8:9]
	v_pk_mov_b32 v[8:9], v[12:13], v[12:13] op_sel:[0,1]
	v_pk_mov_b32 v[14:15], v[16:17], v[16:17] op_sel:[0,1]
	;; [unrolled: 1-line block ×4, first 2 shown]
.LBB1_28:
	s_or_b64 exec, exec, s[2:3]
	v_and_b32_e32 v4, 63, v0
	v_cmp_eq_u32_e32 vcc, 0, v4
	s_waitcnt lgkmcnt(0)
	s_barrier
	s_and_saveexec_b64 s[2:3], vcc
	s_cbranch_execz .LBB1_30
; %bb.29:
	v_lshrrev_b32_e32 v5, 1, v0
	ds_write2_b64 v5, v[10:11], v[2:3] offset1:1
	ds_write2_b64 v5, v[14:15], v[8:9] offset0:2 offset1:3
.LBB1_30:
	s_or_b64 exec, exec, s[2:3]
	s_waitcnt lgkmcnt(0)
	s_barrier
	s_load_dword s2, s[4:5], 0x34
	v_lshlrev_b32_e32 v8, 5, v4
	v_pk_mov_b32 v[4:5], 0, 0
	v_pk_mov_b32 v[2:3], v[4:5], v[4:5] op_sel:[0,1]
	s_waitcnt lgkmcnt(0)
	s_bfe_u32 s2, s2, 0xa0006
	v_cmp_gt_u32_e32 vcc, s2, v0
	s_and_saveexec_b64 s[2:3], vcc
	s_cbranch_execnz .LBB1_36
; %bb.31:
	s_or_b64 exec, exec, s[2:3]
	s_and_saveexec_b64 s[2:3], vcc
	s_cbranch_execnz .LBB1_37
.LBB1_32:
	s_or_b64 exec, exec, s[2:3]
	v_pk_mov_b32 v[6:7], 0, 0
	s_and_saveexec_b64 s[2:3], vcc
	s_cbranch_execnz .LBB1_38
.LBB1_33:
	s_or_b64 exec, exec, s[2:3]
	v_cmp_gt_u32_e32 vcc, 64, v0
	s_and_saveexec_b64 s[2:3], vcc
	s_cbranch_execnz .LBB1_39
.LBB1_34:
	s_or_b64 exec, exec, s[2:3]
	v_cmp_eq_u32_e32 vcc, 0, v0
	s_and_saveexec_b64 s[2:3], vcc
	s_cbranch_execnz .LBB1_64
.LBB1_35:
	s_endpgm
.LBB1_36:
	ds_read_b64 v[2:3], v8
	s_or_b64 exec, exec, s[2:3]
	s_and_saveexec_b64 s[2:3], vcc
	s_cbranch_execz .LBB1_32
.LBB1_37:
	ds_read_b64 v[4:5], v8 offset:8
	s_or_b64 exec, exec, s[2:3]
	v_pk_mov_b32 v[6:7], 0, 0
	s_and_saveexec_b64 s[2:3], vcc
	s_cbranch_execz .LBB1_33
.LBB1_38:
	ds_read_b64 v[6:7], v8 offset:24
	s_or_b64 exec, exec, s[2:3]
	v_cmp_gt_u32_e32 vcc, 64, v0
	s_and_saveexec_b64 s[2:3], vcc
	s_cbranch_execz .LBB1_34
.LBB1_39:
	s_waitcnt lgkmcnt(0)
	ds_bpermute_b32 v10, v1, v2
	ds_bpermute_b32 v11, v1, v3
	;; [unrolled: 1-line block ×6, first 2 shown]
	v_cmp_neq_f64_e32 vcc, 0, v[6:7]
	s_and_saveexec_b64 s[4:5], vcc
	s_cbranch_execz .LBB1_43
; %bb.40:
	s_waitcnt lgkmcnt(0)
	v_cmp_neq_f64_e32 vcc, 0, v[12:13]
	s_and_saveexec_b64 s[8:9], vcc
	s_cbranch_execz .LBB1_42
; %bb.41:
	v_add_f64 v[14:15], v[6:7], v[12:13]
	v_div_scale_f64 v[16:17], s[12:13], v[14:15], v[14:15], v[12:13]
	v_rcp_f64_e32 v[24:25], v[16:17]
	v_add_f64 v[10:11], v[10:11], -v[2:3]
	v_add_f64 v[4:5], v[4:5], v[8:9]
	v_mul_f64 v[8:9], v[10:11], v[10:11]
	v_fma_f64 v[26:27], -v[16:17], v[24:25], 1.0
	v_fmac_f64_e32 v[24:25], v[24:25], v[26:27]
	v_fma_f64 v[26:27], -v[16:17], v[24:25], 1.0
	v_fmac_f64_e32 v[24:25], v[24:25], v[26:27]
	v_div_scale_f64 v[26:27], vcc, v[12:13], v[14:15], v[12:13]
	v_mul_f64 v[28:29], v[26:27], v[24:25]
	v_fma_f64 v[16:17], -v[16:17], v[28:29], v[26:27]
	v_mul_f64 v[6:7], v[6:7], v[8:9]
	s_nop 0
	v_div_fmas_f64 v[16:17], v[16:17], v[24:25], v[28:29]
	v_div_fixup_f64 v[12:13], v[16:17], v[14:15], v[12:13]
	v_fmac_f64_e32 v[2:3], v[10:11], v[12:13]
	v_fmac_f64_e32 v[4:5], v[6:7], v[12:13]
	v_pk_mov_b32 v[6:7], v[14:15], v[14:15] op_sel:[0,1]
.LBB1_42:
	s_or_b64 exec, exec, s[8:9]
	v_pk_mov_b32 v[12:13], v[6:7], v[6:7] op_sel:[0,1]
	v_pk_mov_b32 v[8:9], v[4:5], v[4:5] op_sel:[0,1]
	v_pk_mov_b32 v[10:11], v[2:3], v[2:3] op_sel:[0,1]
.LBB1_43:
	s_or_b64 exec, exec, s[4:5]
	s_waitcnt lgkmcnt(5)
	ds_bpermute_b32 v6, v20, v10
	s_waitcnt lgkmcnt(5)
	ds_bpermute_b32 v7, v20, v11
	s_waitcnt lgkmcnt(5)
	ds_bpermute_b32 v2, v20, v8
	s_waitcnt lgkmcnt(5)
	ds_bpermute_b32 v3, v20, v9
	s_waitcnt lgkmcnt(5)
	ds_bpermute_b32 v14, v20, v12
	s_waitcnt lgkmcnt(5)
	ds_bpermute_b32 v15, v20, v13
	v_cmp_neq_f64_e32 vcc, 0, v[12:13]
	s_and_saveexec_b64 s[4:5], vcc
	s_cbranch_execz .LBB1_47
; %bb.44:
	s_waitcnt lgkmcnt(0)
	v_cmp_neq_f64_e32 vcc, 0, v[14:15]
	s_and_saveexec_b64 s[8:9], vcc
	s_cbranch_execz .LBB1_46
; %bb.45:
	v_add_f64 v[4:5], v[12:13], v[14:15]
	v_div_scale_f64 v[16:17], s[12:13], v[4:5], v[4:5], v[14:15]
	v_rcp_f64_e32 v[24:25], v[16:17]
	v_add_f64 v[6:7], v[6:7], -v[10:11]
	v_add_f64 v[8:9], v[8:9], v[2:3]
	v_mul_f64 v[2:3], v[6:7], v[6:7]
	v_fma_f64 v[26:27], -v[16:17], v[24:25], 1.0
	v_fmac_f64_e32 v[24:25], v[24:25], v[26:27]
	v_fma_f64 v[26:27], -v[16:17], v[24:25], 1.0
	v_fmac_f64_e32 v[24:25], v[24:25], v[26:27]
	v_div_scale_f64 v[26:27], vcc, v[14:15], v[4:5], v[14:15]
	v_mul_f64 v[28:29], v[26:27], v[24:25]
	v_fma_f64 v[16:17], -v[16:17], v[28:29], v[26:27]
	v_mul_f64 v[2:3], v[12:13], v[2:3]
	s_nop 0
	v_div_fmas_f64 v[16:17], v[16:17], v[24:25], v[28:29]
	v_div_fixup_f64 v[14:15], v[16:17], v[4:5], v[14:15]
	v_fmac_f64_e32 v[10:11], v[6:7], v[14:15]
	v_fmac_f64_e32 v[8:9], v[2:3], v[14:15]
	v_pk_mov_b32 v[12:13], v[4:5], v[4:5] op_sel:[0,1]
.LBB1_46:
	s_or_b64 exec, exec, s[8:9]
	v_pk_mov_b32 v[14:15], v[12:13], v[12:13] op_sel:[0,1]
	v_pk_mov_b32 v[2:3], v[8:9], v[8:9] op_sel:[0,1]
	v_pk_mov_b32 v[6:7], v[10:11], v[10:11] op_sel:[0,1]
.LBB1_47:
	s_or_b64 exec, exec, s[4:5]
	s_waitcnt lgkmcnt(5)
	ds_bpermute_b32 v8, v21, v6
	s_waitcnt lgkmcnt(5)
	ds_bpermute_b32 v9, v21, v7
	s_waitcnt lgkmcnt(5)
	ds_bpermute_b32 v4, v21, v2
	s_waitcnt lgkmcnt(5)
	ds_bpermute_b32 v5, v21, v3
	s_waitcnt lgkmcnt(5)
	ds_bpermute_b32 v10, v21, v14
	s_waitcnt lgkmcnt(5)
	ds_bpermute_b32 v11, v21, v15
	;; [unrolled: 48-line block ×5, first 2 shown]
	v_cmp_neq_f64_e32 vcc, 0, v[12:13]
	s_and_saveexec_b64 s[4:5], vcc
	s_cbranch_execz .LBB1_63
; %bb.60:
	s_waitcnt lgkmcnt(0)
	v_cmp_neq_f64_e32 vcc, 0, v[6:7]
	s_and_saveexec_b64 s[8:9], vcc
	s_cbranch_execz .LBB1_62
; %bb.61:
	v_add_f64 v[14:15], v[12:13], v[6:7]
	v_div_scale_f64 v[16:17], s[12:13], v[14:15], v[14:15], v[6:7]
	v_rcp_f64_e32 v[18:19], v[16:17]
	v_add_f64 v[2:3], v[2:3], -v[10:11]
	v_add_f64 v[8:9], v[8:9], v[4:5]
	v_fma_f64 v[20:21], -v[16:17], v[18:19], 1.0
	v_fmac_f64_e32 v[18:19], v[18:19], v[20:21]
	v_fma_f64 v[20:21], -v[16:17], v[18:19], 1.0
	v_fmac_f64_e32 v[18:19], v[18:19], v[20:21]
	v_div_scale_f64 v[20:21], vcc, v[6:7], v[14:15], v[6:7]
	v_mul_f64 v[22:23], v[20:21], v[18:19]
	v_fma_f64 v[16:17], -v[16:17], v[22:23], v[20:21]
	s_nop 1
	v_div_fmas_f64 v[16:17], v[16:17], v[18:19], v[22:23]
	v_div_fixup_f64 v[6:7], v[16:17], v[14:15], v[6:7]
	v_fmac_f64_e32 v[10:11], v[2:3], v[6:7]
	v_mul_f64 v[2:3], v[2:3], v[2:3]
	v_mul_f64 v[2:3], v[12:13], v[2:3]
	v_fmac_f64_e32 v[8:9], v[2:3], v[6:7]
	v_pk_mov_b32 v[12:13], v[14:15], v[14:15] op_sel:[0,1]
.LBB1_62:
	s_or_b64 exec, exec, s[8:9]
	v_pk_mov_b32 v[6:7], v[12:13], v[12:13] op_sel:[0,1]
	v_pk_mov_b32 v[4:5], v[8:9], v[8:9] op_sel:[0,1]
	;; [unrolled: 1-line block ×3, first 2 shown]
.LBB1_63:
	s_or_b64 exec, exec, s[4:5]
	s_or_b64 exec, exec, s[2:3]
	v_cmp_eq_u32_e32 vcc, 0, v0
	s_and_saveexec_b64 s[2:3], vcc
	s_cbranch_execz .LBB1_35
.LBB1_64:
	s_waitcnt lgkmcnt(0)
	v_max_f64 v[0:1], v[6:7], v[6:7]
	v_max_f64 v[0:1], v[0:1], 0
	v_div_scale_f64 v[6:7], s[2:3], v[0:1], v[0:1], v[4:5]
	v_rcp_f64_e32 v[8:9], v[6:7]
	v_div_scale_f64 v[10:11], vcc, v[4:5], v[0:1], v[4:5]
	s_lshl_b64 s[2:3], s[6:7], 3
	v_fma_f64 v[12:13], -v[6:7], v[8:9], 1.0
	v_fmac_f64_e32 v[8:9], v[8:9], v[12:13]
	v_fma_f64 v[12:13], -v[6:7], v[8:9], 1.0
	v_fmac_f64_e32 v[8:9], v[8:9], v[12:13]
	v_mul_f64 v[12:13], v[10:11], v[8:9]
	v_fma_f64 v[6:7], -v[6:7], v[12:13], v[10:11]
	v_div_fmas_f64 v[6:7], v[6:7], v[8:9], v[12:13]
	v_div_fixup_f64 v[0:1], v[6:7], v[0:1], v[4:5]
	v_add_f64 v[0:1], v[0:1], s[10:11]
	v_rsq_f64_e32 v[4:5], v[0:1]
	s_add_u32 s4, s14, s2
	s_addc_u32 s5, s15, s3
	v_mov_b32_e32 v6, 0
	global_store_dwordx2 v6, v[2:3], s[4:5]
	v_mul_f64 v[0:1], v[4:5], -v[0:1]
	s_mov_b32 s4, 0
	v_fma_f64 v[0:1], v[0:1], v[4:5], 1.0
	s_mov_b32 s5, 0x3fd80000
	v_mul_f64 v[2:3], v[4:5], v[0:1]
	v_fma_f64 v[0:1], v[0:1], s[4:5], 0.5
	v_fma_f64 v[0:1], v[2:3], v[0:1], v[4:5]
	v_mov_b32_e32 v2, 0x180
	v_cmp_class_f64_e32 vcc, v[4:5], v2
	s_add_u32 s0, s0, s2
	v_cndmask_b32_e32 v1, v5, v1, vcc
	v_cndmask_b32_e32 v0, v4, v0, vcc
	s_addc_u32 s1, s1, s3
	global_store_dwordx2 v6, v[0:1], s[0:1]
	s_endpgm
	.section	.rodata,"a",@progbits
	.p2align	6, 0x0
	.amdhsa_kernel _ZN2at6native12_GLOBAL__N_124RowwiseMomentsCUDAKernelIddLb0EEEvlT0_PKT_PS3_S7_
		.amdhsa_group_segment_fixed_size 2048
		.amdhsa_private_segment_fixed_size 0
		.amdhsa_kernarg_size 296
		.amdhsa_user_sgpr_count 6
		.amdhsa_user_sgpr_private_segment_buffer 1
		.amdhsa_user_sgpr_dispatch_ptr 0
		.amdhsa_user_sgpr_queue_ptr 0
		.amdhsa_user_sgpr_kernarg_segment_ptr 1
		.amdhsa_user_sgpr_dispatch_id 0
		.amdhsa_user_sgpr_flat_scratch_init 0
		.amdhsa_user_sgpr_kernarg_preload_length 0
		.amdhsa_user_sgpr_kernarg_preload_offset 0
		.amdhsa_user_sgpr_private_segment_size 0
		.amdhsa_uses_dynamic_stack 0
		.amdhsa_system_sgpr_private_segment_wavefront_offset 0
		.amdhsa_system_sgpr_workgroup_id_x 1
		.amdhsa_system_sgpr_workgroup_id_y 0
		.amdhsa_system_sgpr_workgroup_id_z 0
		.amdhsa_system_sgpr_workgroup_info 0
		.amdhsa_system_vgpr_workitem_id 0
		.amdhsa_next_free_vgpr 30
		.amdhsa_next_free_sgpr 22
		.amdhsa_accum_offset 32
		.amdhsa_reserve_vcc 1
		.amdhsa_reserve_flat_scratch 0
		.amdhsa_float_round_mode_32 0
		.amdhsa_float_round_mode_16_64 0
		.amdhsa_float_denorm_mode_32 3
		.amdhsa_float_denorm_mode_16_64 3
		.amdhsa_dx10_clamp 1
		.amdhsa_ieee_mode 1
		.amdhsa_fp16_overflow 0
		.amdhsa_tg_split 0
		.amdhsa_exception_fp_ieee_invalid_op 0
		.amdhsa_exception_fp_denorm_src 0
		.amdhsa_exception_fp_ieee_div_zero 0
		.amdhsa_exception_fp_ieee_overflow 0
		.amdhsa_exception_fp_ieee_underflow 0
		.amdhsa_exception_fp_ieee_inexact 0
		.amdhsa_exception_int_div_zero 0
	.end_amdhsa_kernel
	.section	.text._ZN2at6native12_GLOBAL__N_124RowwiseMomentsCUDAKernelIddLb0EEEvlT0_PKT_PS3_S7_,"axG",@progbits,_ZN2at6native12_GLOBAL__N_124RowwiseMomentsCUDAKernelIddLb0EEEvlT0_PKT_PS3_S7_,comdat
.Lfunc_end1:
	.size	_ZN2at6native12_GLOBAL__N_124RowwiseMomentsCUDAKernelIddLb0EEEvlT0_PKT_PS3_S7_, .Lfunc_end1-_ZN2at6native12_GLOBAL__N_124RowwiseMomentsCUDAKernelIddLb0EEEvlT0_PKT_PS3_S7_
                                        ; -- End function
	.section	.AMDGPU.csdata,"",@progbits
; Kernel info:
; codeLenInByte = 4420
; NumSgprs: 26
; NumVgprs: 30
; NumAgprs: 0
; TotalNumVgprs: 30
; ScratchSize: 0
; MemoryBound: 0
; FloatMode: 240
; IeeeMode: 1
; LDSByteSize: 2048 bytes/workgroup (compile time only)
; SGPRBlocks: 3
; VGPRBlocks: 3
; NumSGPRsForWavesPerEU: 26
; NumVGPRsForWavesPerEU: 30
; AccumOffset: 32
; Occupancy: 8
; WaveLimiterHint : 0
; COMPUTE_PGM_RSRC2:SCRATCH_EN: 0
; COMPUTE_PGM_RSRC2:USER_SGPR: 6
; COMPUTE_PGM_RSRC2:TRAP_HANDLER: 0
; COMPUTE_PGM_RSRC2:TGID_X_EN: 1
; COMPUTE_PGM_RSRC2:TGID_Y_EN: 0
; COMPUTE_PGM_RSRC2:TGID_Z_EN: 0
; COMPUTE_PGM_RSRC2:TIDIG_COMP_CNT: 0
; COMPUTE_PGM_RSRC3_GFX90A:ACCUM_OFFSET: 7
; COMPUTE_PGM_RSRC3_GFX90A:TG_SPLIT: 0
	.section	.text._ZN2at6native12_GLOBAL__N_126LayerNormForwardCUDAKernelIddLb0EEEvlPKT_PKT0_S8_S5_S5_PS3_,"axG",@progbits,_ZN2at6native12_GLOBAL__N_126LayerNormForwardCUDAKernelIddLb0EEEvlPKT_PKT0_S8_S5_S5_PS3_,comdat
	.globl	_ZN2at6native12_GLOBAL__N_126LayerNormForwardCUDAKernelIddLb0EEEvlPKT_PKT0_S8_S5_S5_PS3_ ; -- Begin function _ZN2at6native12_GLOBAL__N_126LayerNormForwardCUDAKernelIddLb0EEEvlPKT_PKT0_S8_S5_S5_PS3_
	.p2align	8
	.type	_ZN2at6native12_GLOBAL__N_126LayerNormForwardCUDAKernelIddLb0EEEvlPKT_PKT0_S8_S5_S5_PS3_,@function
_ZN2at6native12_GLOBAL__N_126LayerNormForwardCUDAKernelIddLb0EEEvlPKT_PKT0_S8_S5_S5_PS3_: ; @_ZN2at6native12_GLOBAL__N_126LayerNormForwardCUDAKernelIddLb0EEEvlPKT_PKT0_S8_S5_S5_PS3_
; %bb.0:
	s_load_dwordx8 s[8:15], s[4:5], 0x0
	v_mov_b32_e32 v1, 0
	s_waitcnt lgkmcnt(0)
	v_cmp_gt_i64_e32 vcc, s[8:9], v[0:1]
	s_and_saveexec_b64 s[0:1], vcc
	s_cbranch_execz .LBB2_8
; %bb.1:
	s_load_dwordx8 s[16:23], s[4:5], 0x20
	s_mov_b32 s7, 0
	s_load_dword s26, s[4:5], 0x44
	s_waitcnt lgkmcnt(0)
	s_mov_b64 s[22:23], 0
	v_lshlrev_b32_e32 v2, 3, v0
	s_cmp_lg_u64 s[16:17], 0
	s_cselect_b64 s[0:1], -1, 0
	s_cmp_lg_u64 s[18:19], 0
	s_cselect_b64 s[2:3], -1, 0
	s_lshl_b64 s[24:25], s[6:7], 3
	s_add_u32 s4, s12, s24
	s_addc_u32 s5, s13, s25
	s_add_u32 s12, s14, s24
	s_addc_u32 s13, s15, s25
	s_mul_i32 s24, s9, s6
	s_mul_hi_u32 s25, s8, s6
	s_add_i32 s25, s25, s24
	s_mul_i32 s24, s8, s6
	s_and_b32 s14, s26, 0xffff
	s_lshl_b64 s[24:25], s[24:25], 3
	s_add_u32 s6, s10, s24
	s_addc_u32 s26, s11, s25
	s_lshl_b32 s10, s14, 3
	s_add_u32 s11, s20, s24
	s_addc_u32 s20, s21, s25
	v_cndmask_b32_e64 v4, 0, 1, s[0:1]
	v_cndmask_b32_e64 v5, 0, 1, s[2:3]
	v_mov_b32_e32 v3, v1
	v_mov_b32_e32 v10, s26
	;; [unrolled: 1-line block ×5, first 2 shown]
	v_cmp_ne_u32_e64 s[0:1], 1, v4
	v_cmp_ne_u32_e64 s[2:3], 1, v5
	v_pk_mov_b32 v[4:5], v[0:1], v[0:1] op_sel:[0,1]
	s_mov_b32 s15, s7
	s_branch .LBB2_4
.LBB2_2:                                ;   in Loop: Header=BB2_4 Depth=1
	v_mov_b32_e32 v0, s19
	v_add_co_u32_e32 v8, vcc, s18, v2
	v_addc_co_u32_e32 v9, vcc, v0, v3, vcc
	global_load_dwordx2 v[8:9], v[8:9], off
.LBB2_3:                                ;   in Loop: Header=BB2_4 Depth=1
	v_add_co_u32_e32 v14, vcc, s6, v2
	v_addc_co_u32_e32 v15, vcc, v10, v3, vcc
	global_load_dwordx2 v[16:17], v[14:15], off
	global_load_dwordx2 v[18:19], v1, s[4:5]
	global_load_dwordx2 v[20:21], v1, s[12:13]
	v_add_co_u32_e32 v14, vcc, s11, v2
	v_addc_co_u32_e32 v15, vcc, v11, v3, vcc
	v_add_co_u32_e32 v4, vcc, s14, v4
	v_addc_co_u32_e32 v5, vcc, v5, v12, vcc
	v_cmp_le_i64_e32 vcc, s[8:9], v[4:5]
	s_or_b64 s[22:23], vcc, s[22:23]
	v_add_co_u32_e32 v2, vcc, s10, v2
	v_addc_co_u32_e32 v3, vcc, v3, v13, vcc
	s_waitcnt vmcnt(1)
	v_add_f64 v[16:17], v[16:17], -v[18:19]
	s_waitcnt vmcnt(0)
	v_mul_f64 v[16:17], v[16:17], v[20:21]
	v_fmac_f64_e32 v[8:9], v[6:7], v[16:17]
	global_store_dwordx2 v[14:15], v[8:9], off
	s_andn2_b64 exec, exec, s[22:23]
	s_cbranch_execz .LBB2_8
.LBB2_4:                                ; =>This Inner Loop Header: Depth=1
	s_and_b64 vcc, exec, s[0:1]
	s_cbranch_vccnz .LBB2_6
; %bb.5:                                ;   in Loop: Header=BB2_4 Depth=1
	v_mov_b32_e32 v0, s17
	v_add_co_u32_e32 v6, vcc, s16, v2
	v_addc_co_u32_e32 v7, vcc, v0, v3, vcc
	global_load_dwordx2 v[6:7], v[6:7], off
	s_and_b64 vcc, exec, s[2:3]
	s_cbranch_vccz .LBB2_2
	s_branch .LBB2_7
.LBB2_6:                                ;   in Loop: Header=BB2_4 Depth=1
	v_mov_b32_e32 v6, 0
	v_mov_b32_e32 v7, 0x3ff00000
	s_and_b64 vcc, exec, s[2:3]
	s_cbranch_vccz .LBB2_2
.LBB2_7:                                ;   in Loop: Header=BB2_4 Depth=1
	v_pk_mov_b32 v[8:9], 0, 0
	s_branch .LBB2_3
.LBB2_8:
	s_endpgm
	.section	.rodata,"a",@progbits
	.p2align	6, 0x0
	.amdhsa_kernel _ZN2at6native12_GLOBAL__N_126LayerNormForwardCUDAKernelIddLb0EEEvlPKT_PKT0_S8_S5_S5_PS3_
		.amdhsa_group_segment_fixed_size 0
		.amdhsa_private_segment_fixed_size 0
		.amdhsa_kernarg_size 312
		.amdhsa_user_sgpr_count 6
		.amdhsa_user_sgpr_private_segment_buffer 1
		.amdhsa_user_sgpr_dispatch_ptr 0
		.amdhsa_user_sgpr_queue_ptr 0
		.amdhsa_user_sgpr_kernarg_segment_ptr 1
		.amdhsa_user_sgpr_dispatch_id 0
		.amdhsa_user_sgpr_flat_scratch_init 0
		.amdhsa_user_sgpr_kernarg_preload_length 0
		.amdhsa_user_sgpr_kernarg_preload_offset 0
		.amdhsa_user_sgpr_private_segment_size 0
		.amdhsa_uses_dynamic_stack 0
		.amdhsa_system_sgpr_private_segment_wavefront_offset 0
		.amdhsa_system_sgpr_workgroup_id_x 1
		.amdhsa_system_sgpr_workgroup_id_y 0
		.amdhsa_system_sgpr_workgroup_id_z 0
		.amdhsa_system_sgpr_workgroup_info 0
		.amdhsa_system_vgpr_workitem_id 0
		.amdhsa_next_free_vgpr 22
		.amdhsa_next_free_sgpr 27
		.amdhsa_accum_offset 24
		.amdhsa_reserve_vcc 1
		.amdhsa_reserve_flat_scratch 0
		.amdhsa_float_round_mode_32 0
		.amdhsa_float_round_mode_16_64 0
		.amdhsa_float_denorm_mode_32 3
		.amdhsa_float_denorm_mode_16_64 3
		.amdhsa_dx10_clamp 1
		.amdhsa_ieee_mode 1
		.amdhsa_fp16_overflow 0
		.amdhsa_tg_split 0
		.amdhsa_exception_fp_ieee_invalid_op 0
		.amdhsa_exception_fp_denorm_src 0
		.amdhsa_exception_fp_ieee_div_zero 0
		.amdhsa_exception_fp_ieee_overflow 0
		.amdhsa_exception_fp_ieee_underflow 0
		.amdhsa_exception_fp_ieee_inexact 0
		.amdhsa_exception_int_div_zero 0
	.end_amdhsa_kernel
	.section	.text._ZN2at6native12_GLOBAL__N_126LayerNormForwardCUDAKernelIddLb0EEEvlPKT_PKT0_S8_S5_S5_PS3_,"axG",@progbits,_ZN2at6native12_GLOBAL__N_126LayerNormForwardCUDAKernelIddLb0EEEvlPKT_PKT0_S8_S5_S5_PS3_,comdat
.Lfunc_end2:
	.size	_ZN2at6native12_GLOBAL__N_126LayerNormForwardCUDAKernelIddLb0EEEvlPKT_PKT0_S8_S5_S5_PS3_, .Lfunc_end2-_ZN2at6native12_GLOBAL__N_126LayerNormForwardCUDAKernelIddLb0EEEvlPKT_PKT0_S8_S5_S5_PS3_
                                        ; -- End function
	.section	.AMDGPU.csdata,"",@progbits
; Kernel info:
; codeLenInByte = 416
; NumSgprs: 31
; NumVgprs: 22
; NumAgprs: 0
; TotalNumVgprs: 22
; ScratchSize: 0
; MemoryBound: 0
; FloatMode: 240
; IeeeMode: 1
; LDSByteSize: 0 bytes/workgroup (compile time only)
; SGPRBlocks: 3
; VGPRBlocks: 2
; NumSGPRsForWavesPerEU: 31
; NumVGPRsForWavesPerEU: 22
; AccumOffset: 24
; Occupancy: 8
; WaveLimiterHint : 0
; COMPUTE_PGM_RSRC2:SCRATCH_EN: 0
; COMPUTE_PGM_RSRC2:USER_SGPR: 6
; COMPUTE_PGM_RSRC2:TRAP_HANDLER: 0
; COMPUTE_PGM_RSRC2:TGID_X_EN: 1
; COMPUTE_PGM_RSRC2:TGID_Y_EN: 0
; COMPUTE_PGM_RSRC2:TGID_Z_EN: 0
; COMPUTE_PGM_RSRC2:TIDIG_COMP_CNT: 0
; COMPUTE_PGM_RSRC3_GFX90A:ACCUM_OFFSET: 5
; COMPUTE_PGM_RSRC3_GFX90A:TG_SPLIT: 0
	.section	.text._ZN2at6native12_GLOBAL__N_128vectorized_layer_norm_kernelIffLb0EEEviT0_PKT_S6_S6_PS3_S7_PS4_,"axG",@progbits,_ZN2at6native12_GLOBAL__N_128vectorized_layer_norm_kernelIffLb0EEEviT0_PKT_S6_S6_PS3_S7_PS4_,comdat
	.globl	_ZN2at6native12_GLOBAL__N_128vectorized_layer_norm_kernelIffLb0EEEviT0_PKT_S6_S6_PS3_S7_PS4_ ; -- Begin function _ZN2at6native12_GLOBAL__N_128vectorized_layer_norm_kernelIffLb0EEEviT0_PKT_S6_S6_PS3_S7_PS4_
	.p2align	8
	.type	_ZN2at6native12_GLOBAL__N_128vectorized_layer_norm_kernelIffLb0EEEviT0_PKT_S6_S6_PS3_S7_PS4_,@function
_ZN2at6native12_GLOBAL__N_128vectorized_layer_norm_kernelIffLb0EEEviT0_PKT_S6_S6_PS3_S7_PS4_: ; @_ZN2at6native12_GLOBAL__N_128vectorized_layer_norm_kernelIffLb0EEEviT0_PKT_S6_S6_PS3_S7_PS4_
; %bb.0:
	s_load_dwordx4 s[16:19], s[4:5], 0x0
	s_load_dword s0, s[4:5], 0x44
	v_and_b32_e32 v9, 0x3ff, v0
	v_bfe_u32 v15, v0, 10, 10
	s_mov_b32 s7, 0
	s_waitcnt lgkmcnt(0)
	s_ashr_i32 s1, s16, 31
	s_lshr_b32 s27, s0, 16
	s_and_b32 s0, s0, 0xffff
	s_mul_i32 s20, s27, s0
	v_mul_u32_u24_e32 v0, s0, v15
	v_mad_u32_u24 v14, v15, s0, v9
	s_lshr_b32 s0, s1, 30
	s_add_i32 s0, s16, s0
	s_mul_hi_u32 s2, s16, s6
	s_mul_i32 s3, s1, s6
	s_ashr_i32 s26, s0, 2
	s_add_i32 s23, s2, s3
	s_mul_i32 s22, s16, s6
	v_cmp_gt_i32_e64 s[0:1], s26, v14
	v_mov_b32_e32 v12, 0
	v_add_lshl_u32 v8, v0, v9, 4
	v_mov_b32_e32 v5, 0
	v_mov_b32_e32 v4, 0
	s_and_saveexec_b64 s[12:13], s[0:1]
	s_cbranch_execz .LBB3_4
; %bb.1:
	s_lshl_b64 s[2:3], s[22:23], 2
	s_add_u32 s2, s18, s2
	s_addc_u32 s3, s19, s3
	v_mov_b32_e32 v0, s3
	v_add_co_u32_e32 v1, vcc, s2, v8
	v_addc_co_u32_e32 v0, vcc, 0, v0, vcc
	s_ashr_i32 s21, s20, 31
	v_add_co_u32_e32 v6, vcc, 8, v1
	s_lshl_b64 s[24:25], s[20:21], 4
	v_addc_co_u32_e32 v7, vcc, 0, v0, vcc
	s_mov_b64 s[14:15], 0
	v_mov_b32_e32 v12, 0
	v_mov_b32_e32 v10, s25
	;; [unrolled: 1-line block ×5, first 2 shown]
.LBB3_2:                                ; =>This Inner Loop Header: Depth=1
	global_load_dwordx4 v[0:3], v[6:7], off offset:-8
	v_add_f32_e32 v13, 1.0, v12
	v_add_u32_e32 v11, s20, v11
	v_div_scale_f32 v16, s[2:3], v13, v13, 1.0
	v_add_f32_e32 v18, 1.0, v13
	v_cmp_le_i32_e64 s[2:3], s26, v11
	v_rcp_f32_e32 v19, v16
	v_div_scale_f32 v20, s[8:9], v18, v18, 1.0
	v_add_f32_e32 v22, 1.0, v18
	s_or_b64 s[14:15], s[2:3], s[14:15]
	v_rcp_f32_e32 v23, v20
	v_div_scale_f32 v24, s[2:3], v22, v22, 1.0
	v_add_f32_e32 v12, 1.0, v22
	v_rcp_f32_e32 v26, v24
	v_div_scale_f32 v27, s[10:11], v12, v12, 1.0
	v_add_co_u32_e32 v6, vcc, s24, v6
	v_rcp_f32_e32 v29, v27
	v_addc_co_u32_e32 v7, vcc, v7, v10, vcc
	v_fma_f32 v30, -v16, v19, 1.0
	v_div_scale_f32 v17, vcc, 1.0, v13, 1.0
	v_fmac_f32_e32 v19, v30, v19
	v_fma_f32 v30, -v20, v23, 1.0
	v_div_scale_f32 v21, s[8:9], 1.0, v18, 1.0
	v_mul_f32_e32 v31, v17, v19
	v_fmac_f32_e32 v23, v30, v23
	v_fma_f32 v30, -v24, v26, 1.0
	v_div_scale_f32 v25, s[2:3], 1.0, v22, 1.0
	v_fma_f32 v32, -v16, v31, v17
	v_mul_f32_e32 v33, v21, v23
	v_fmac_f32_e32 v26, v30, v26
	v_fma_f32 v30, -v27, v29, 1.0
	v_div_scale_f32 v28, s[10:11], 1.0, v12, 1.0
	v_fmac_f32_e32 v31, v32, v19
	v_fma_f32 v32, -v20, v33, v21
	v_mul_f32_e32 v34, v25, v26
	v_fmac_f32_e32 v29, v30, v29
	v_fma_f32 v16, -v16, v31, v17
	v_fmac_f32_e32 v33, v32, v23
	v_fma_f32 v17, -v24, v34, v25
	v_mul_f32_e32 v30, v28, v29
	v_div_fmas_f32 v16, v16, v19, v31
	v_fma_f32 v19, -v20, v33, v21
	v_fmac_f32_e32 v34, v17, v26
	v_fma_f32 v17, -v27, v30, v28
	s_mov_b64 vcc, s[8:9]
	v_div_fixup_f32 v13, v16, v13, 1.0
	v_div_fmas_f32 v16, v19, v23, v33
	v_fma_f32 v19, -v24, v34, v25
	v_fmac_f32_e32 v30, v17, v29
	s_mov_b64 vcc, s[2:3]
	v_div_fixup_f32 v17, v16, v18, 1.0
	v_div_fmas_f32 v16, v19, v26, v34
	v_fma_f32 v18, -v27, v30, v28
	s_mov_b64 vcc, s[10:11]
	v_div_fixup_f32 v21, v16, v22, 1.0
	v_div_fmas_f32 v16, v18, v29, v30
	v_div_fixup_f32 v22, v16, v12, 1.0
	s_waitcnt vmcnt(0)
	v_sub_f32_e32 v16, v0, v4
	v_fmac_f32_e32 v4, v13, v16
	v_pk_add_f32 v[18:19], v[0:1], v[4:5] op_sel_hi:[1,0] neg_lo:[0,1] neg_hi:[0,1]
	v_fmac_f32_e32 v4, v17, v19
	v_sub_f32_e32 v17, v1, v4
	v_sub_f32_e32 v0, v2, v4
	v_mov_b32_e32 v20, v4
	v_pk_mul_f32 v[16:17], v[18:19], v[16:17]
	v_fmac_f32_e32 v20, v21, v0
	v_add_f32_e32 v4, v5, v16
	v_sub_f32_e32 v1, v3, v20
	v_add_f32_e32 v5, v4, v17
	v_fma_f32 v4, v22, v1, v20
	v_mov_b32_e32 v21, v4
	v_pk_add_f32 v[2:3], v[2:3], v[20:21] neg_lo:[0,1] neg_hi:[0,1]
	v_pk_mul_f32 v[0:1], v[0:1], v[2:3]
	v_add_f32_e32 v0, v5, v0
	v_add_f32_e32 v5, v0, v1
	s_andn2_b64 exec, exec, s[14:15]
	s_cbranch_execnz .LBB3_2
; %bb.3:
	s_or_b64 exec, exec, s[14:15]
.LBB3_4:
	s_or_b64 exec, exec, s[12:13]
	v_mbcnt_lo_u32_b32 v0, -1, 0
	v_mbcnt_hi_u32_b32 v16, -1, v0
	v_and_b32_e32 v17, 63, v16
	v_cmp_gt_u32_e32 vcc, 32, v17
	v_cndmask_b32_e64 v0, 0, 1, vcc
	v_lshlrev_b32_e32 v0, 5, v0
	v_add_lshl_u32 v1, v0, v16, 2
	ds_bpermute_b32 v10, v1, v12
	ds_bpermute_b32 v6, v1, v4
	;; [unrolled: 1-line block ×3, first 2 shown]
	v_mov_b32_e32 v0, 0
	v_mov_b32_e32 v2, 0
	s_waitcnt lgkmcnt(2)
	v_add_f32_e32 v13, v12, v10
	v_cmp_lt_f32_e32 vcc, 0, v13
	v_mov_b32_e32 v3, 0
	s_and_saveexec_b64 s[2:3], vcc
	s_cbranch_execz .LBB3_6
; %bb.5:
	v_div_scale_f32 v2, s[8:9], v13, v13, 1.0
	v_rcp_f32_e32 v3, v2
	s_waitcnt lgkmcnt(1)
	v_sub_f32_e32 v11, v4, v6
	s_waitcnt lgkmcnt(0)
	v_add_f32_e32 v5, v5, v1
	v_fma_f32 v7, -v2, v3, 1.0
	v_fmac_f32_e32 v3, v7, v3
	v_div_scale_f32 v7, vcc, 1.0, v13, 1.0
	v_mul_f32_e32 v18, v7, v3
	v_fma_f32 v19, -v2, v18, v7
	v_fmac_f32_e32 v18, v19, v3
	v_fma_f32 v2, -v2, v18, v7
	v_div_fmas_f32 v2, v2, v3, v18
	v_div_fixup_f32 v2, v2, v13, 1.0
	v_mul_f32_e32 v7, v12, v2
	v_mul_f32_e32 v3, v11, v11
	;; [unrolled: 1-line block ×3, first 2 shown]
	v_pk_mul_f32 v[2:3], v[2:3], v[10:11] op_sel_hi:[1,0]
	v_pk_fma_f32 v[2:3], v[2:3], v[6:7], v[4:5]
.LBB3_6:
	s_or_b64 exec, exec, s[2:3]
	v_cmp_gt_u32_e32 vcc, 48, v17
	s_waitcnt lgkmcnt(0)
	v_cndmask_b32_e64 v1, 0, 1, vcc
	v_lshlrev_b32_e32 v1, 4, v1
	v_add_lshl_u32 v1, v1, v16, 2
	ds_bpermute_b32 v6, v1, v13
	ds_bpermute_b32 v4, v1, v2
	ds_bpermute_b32 v11, v1, v3
	v_mov_b32_e32 v1, 0
	s_waitcnt lgkmcnt(2)
	v_add_f32_e32 v7, v13, v6
	v_cmp_lt_f32_e32 vcc, 0, v7
	s_and_saveexec_b64 s[2:3], vcc
	s_cbranch_execz .LBB3_8
; %bb.7:
	v_div_scale_f32 v0, s[8:9], v7, v7, 1.0
	v_rcp_f32_e32 v1, v0
	s_waitcnt lgkmcnt(1)
	v_sub_f32_e32 v5, v2, v4
	v_fma_f32 v10, -v0, v1, 1.0
	v_fmac_f32_e32 v1, v10, v1
	v_div_scale_f32 v10, vcc, 1.0, v7, 1.0
	v_mul_f32_e32 v12, v10, v1
	v_fma_f32 v18, -v0, v12, v10
	v_fmac_f32_e32 v12, v18, v1
	v_fma_f32 v0, -v0, v12, v10
	v_div_fmas_f32 v0, v0, v1, v12
	v_div_fixup_f32 v0, v0, v7, 1.0
	v_mul_f32_e32 v10, v13, v0
	s_waitcnt lgkmcnt(0)
	v_pk_mul_f32 v[12:13], v[2:3], v[10:11]
	v_pk_add_f32 v[2:3], v[2:3], v[10:11]
	v_mul_f32_e32 v1, v5, v5
	v_mov_b32_e32 v13, v3
	v_pk_mul_f32 v[0:1], v[0:1], v[6:7] op_sel_hi:[1,0]
	v_mov_b32_e32 v5, v10
	v_pk_fma_f32 v[0:1], v[0:1], v[4:5], v[12:13]
.LBB3_8:
	s_or_b64 exec, exec, s[2:3]
	v_cmp_gt_u32_e32 vcc, 56, v17
	v_cndmask_b32_e64 v2, 0, 1, vcc
	v_lshlrev_b32_e32 v2, 3, v2
	v_add_lshl_u32 v3, v2, v16, 2
	ds_bpermute_b32 v6, v3, v7
	ds_bpermute_b32 v10, v3, v0
	;; [unrolled: 1-line block ×3, first 2 shown]
	v_mov_b32_e32 v2, 0
	s_waitcnt lgkmcnt(4)
	v_mov_b32_e32 v4, 0
	s_waitcnt lgkmcnt(2)
	v_add_f32_e32 v18, v7, v6
	v_cmp_lt_f32_e32 vcc, 0, v18
	v_mov_b32_e32 v5, 0
	s_and_saveexec_b64 s[2:3], vcc
	s_cbranch_execz .LBB3_10
; %bb.9:
	v_div_scale_f32 v3, s[8:9], v18, v18, 1.0
	v_rcp_f32_e32 v4, v3
	s_waitcnt lgkmcnt(1)
	v_sub_f32_e32 v5, v0, v10
	v_mul_f32_e32 v5, v5, v5
	v_fma_f32 v11, -v3, v4, 1.0
	v_fmac_f32_e32 v4, v11, v4
	v_div_scale_f32 v11, vcc, 1.0, v18, 1.0
	v_mul_f32_e32 v12, v11, v4
	v_fma_f32 v19, -v3, v12, v11
	v_fmac_f32_e32 v12, v19, v4
	v_fma_f32 v3, -v3, v12, v11
	v_div_fmas_f32 v3, v3, v4, v12
	v_div_fixup_f32 v4, v3, v18, 1.0
	v_mul_f32_e32 v12, v7, v4
	s_waitcnt lgkmcnt(0)
	v_pk_mul_f32 v[20:21], v[0:1], v[12:13]
	v_pk_add_f32 v[0:1], v[0:1], v[12:13]
	v_mov_b32_e32 v21, v1
	v_pk_mul_f32 v[0:1], v[4:5], v[6:7] op_sel_hi:[1,0]
	v_mov_b32_e32 v11, v12
	v_pk_fma_f32 v[4:5], v[0:1], v[10:11], v[20:21]
.LBB3_10:
	s_or_b64 exec, exec, s[2:3]
	v_cmp_gt_u32_e32 vcc, 60, v17
	v_cndmask_b32_e64 v0, 0, 1, vcc
	v_lshlrev_b32_e32 v0, 2, v0
	v_add_lshl_u32 v1, v0, v16, 2
	ds_bpermute_b32 v6, v1, v18
	ds_bpermute_b32 v0, v1, v4
	;; [unrolled: 1-line block ×3, first 2 shown]
	v_mov_b32_e32 v3, 0
	s_waitcnt lgkmcnt(2)
	v_add_f32_e32 v7, v18, v6
	v_cmp_lt_f32_e32 vcc, 0, v7
	s_and_saveexec_b64 s[2:3], vcc
	s_cbranch_execz .LBB3_12
; %bb.11:
	v_div_scale_f32 v1, s[8:9], v7, v7, 1.0
	v_rcp_f32_e32 v2, v1
	s_waitcnt lgkmcnt(1)
	v_sub_f32_e32 v3, v4, v0
	v_mul_f32_e32 v3, v3, v3
	v_fma_f32 v10, -v1, v2, 1.0
	v_fmac_f32_e32 v2, v10, v2
	v_div_scale_f32 v10, vcc, 1.0, v7, 1.0
	v_mul_f32_e32 v12, v10, v2
	v_fma_f32 v13, -v1, v12, v10
	v_fmac_f32_e32 v12, v13, v2
	v_fma_f32 v1, -v1, v12, v10
	v_div_fmas_f32 v1, v1, v2, v12
	v_div_fixup_f32 v2, v1, v7, 1.0
	v_mul_f32_e32 v10, v18, v2
	s_waitcnt lgkmcnt(0)
	v_pk_mul_f32 v[12:13], v[4:5], v[10:11]
	v_pk_add_f32 v[4:5], v[4:5], v[10:11]
	v_mov_b32_e32 v13, v5
	v_pk_mul_f32 v[2:3], v[2:3], v[6:7] op_sel_hi:[1,0]
	v_mov_b32_e32 v1, v10
	v_pk_fma_f32 v[2:3], v[2:3], v[0:1], v[12:13]
.LBB3_12:
	s_or_b64 exec, exec, s[2:3]
	v_cmp_gt_u32_e32 vcc, 62, v17
	s_waitcnt lgkmcnt(1)
	v_cndmask_b32_e64 v0, 0, 1, vcc
	v_lshlrev_b32_e32 v0, 1, v0
	v_add_lshl_u32 v1, v0, v16, 2
	ds_bpermute_b32 v6, v1, v7
	ds_bpermute_b32 v10, v1, v2
	;; [unrolled: 1-line block ×3, first 2 shown]
	v_mov_b32_e32 v0, 0
	v_mov_b32_e32 v4, 0
	s_waitcnt lgkmcnt(2)
	v_add_f32_e32 v18, v7, v6
	v_cmp_lt_f32_e32 vcc, 0, v18
	v_mov_b32_e32 v5, 0
	s_and_saveexec_b64 s[2:3], vcc
	s_cbranch_execz .LBB3_14
; %bb.13:
	v_div_scale_f32 v1, s[8:9], v18, v18, 1.0
	v_rcp_f32_e32 v4, v1
	s_waitcnt lgkmcnt(1)
	v_sub_f32_e32 v5, v2, v10
	v_mul_f32_e32 v5, v5, v5
	v_fma_f32 v11, -v1, v4, 1.0
	v_fmac_f32_e32 v4, v11, v4
	v_div_scale_f32 v11, vcc, 1.0, v18, 1.0
	v_mul_f32_e32 v12, v11, v4
	v_fma_f32 v19, -v1, v12, v11
	v_fmac_f32_e32 v12, v19, v4
	v_fma_f32 v1, -v1, v12, v11
	v_div_fmas_f32 v1, v1, v4, v12
	v_div_fixup_f32 v4, v1, v18, 1.0
	v_mul_f32_e32 v12, v7, v4
	s_waitcnt lgkmcnt(0)
	v_pk_mul_f32 v[20:21], v[2:3], v[12:13]
	v_pk_add_f32 v[2:3], v[2:3], v[12:13]
	v_mov_b32_e32 v21, v3
	v_pk_mul_f32 v[2:3], v[4:5], v[6:7] op_sel_hi:[1,0]
	v_mov_b32_e32 v11, v12
	v_pk_fma_f32 v[4:5], v[2:3], v[10:11], v[20:21]
.LBB3_14:
	s_or_b64 exec, exec, s[2:3]
	v_cmp_ne_u32_e32 vcc, 63, v17
	v_addc_co_u32_e32 v1, vcc, 0, v16, vcc
	v_lshlrev_b32_e32 v1, 2, v1
	ds_bpermute_b32 v6, v1, v18
	ds_bpermute_b32 v2, v1, v4
	;; [unrolled: 1-line block ×3, first 2 shown]
	v_mov_b32_e32 v1, 0
	s_waitcnt lgkmcnt(2)
	v_add_f32_e32 v7, v18, v6
	v_cmp_lt_f32_e32 vcc, 0, v7
	s_and_saveexec_b64 s[2:3], vcc
	s_cbranch_execz .LBB3_16
; %bb.15:
	v_div_scale_f32 v0, s[8:9], v7, v7, 1.0
	v_rcp_f32_e32 v1, v0
	s_waitcnt lgkmcnt(1)
	v_sub_f32_e32 v3, v4, v2
	v_fma_f32 v10, -v0, v1, 1.0
	v_fmac_f32_e32 v1, v10, v1
	v_div_scale_f32 v10, vcc, 1.0, v7, 1.0
	v_mul_f32_e32 v12, v10, v1
	v_fma_f32 v13, -v0, v12, v10
	v_fmac_f32_e32 v12, v13, v1
	v_fma_f32 v0, -v0, v12, v10
	v_div_fmas_f32 v0, v0, v1, v12
	v_div_fixup_f32 v0, v0, v7, 1.0
	v_mul_f32_e32 v10, v18, v0
	s_waitcnt lgkmcnt(0)
	v_pk_mul_f32 v[12:13], v[4:5], v[10:11]
	v_pk_add_f32 v[4:5], v[4:5], v[10:11]
	v_mul_f32_e32 v1, v3, v3
	v_mov_b32_e32 v13, v5
	v_pk_mul_f32 v[0:1], v[0:1], v[6:7] op_sel_hi:[1,0]
	v_mov_b32_e32 v3, v10
	v_pk_fma_f32 v[0:1], v[0:1], v[2:3], v[12:13]
.LBB3_16:
	s_or_b64 exec, exec, s[2:3]
	s_cmp_lt_u32 s27, 2
	s_cbranch_scc0 .LBB3_18
; %bb.17:
	s_waitcnt lgkmcnt(1)
	v_lshlrev_b32_e32 v2, 2, v16
	v_and_b32_e32 v2, 0x100, v2
	ds_bpermute_b32 v3, v2, v1
	v_cvt_f32_i32_e32 v4, s16
	ds_bpermute_b32 v10, v2, v0
	s_waitcnt lgkmcnt(1)
	v_div_scale_f32 v5, s[2:3], v4, v4, v3
	v_rcp_f32_e32 v6, v5
	v_div_scale_f32 v2, vcc, v3, v4, v3
	v_fma_f32 v11, -v5, v6, 1.0
	v_fmac_f32_e32 v6, v11, v6
	v_mul_f32_e32 v11, v2, v6
	v_fma_f32 v12, -v5, v11, v2
	v_fmac_f32_e32 v11, v12, v6
	v_fma_f32 v2, -v5, v11, v2
	v_div_fmas_f32 v2, v2, v6, v11
	v_div_fixup_f32 v11, v2, v4, v3
	s_cbranch_execz .LBB3_19
	s_branch .LBB3_31
.LBB3_18:
                                        ; implicit-def: $vgpr10_vgpr11
.LBB3_19:
	s_lshl_b32 s2, s27, 2
	s_add_i32 s12, s2, 0
	v_cmp_eq_u32_e64 s[2:3], 0, v9
	v_lshl_add_u32 v4, v15, 2, s12
	v_lshl_add_u32 v5, v15, 3, 0
.LBB3_20:                               ; =>This Inner Loop Header: Depth=1
	s_lshr_b32 s13, s27, 1
	s_and_b32 s8, s27, 0xfffe
	v_cmp_le_u32_e32 vcc, s13, v15
	v_cmp_gt_u32_e64 s[8:9], s8, v15
	s_and_b64 s[8:9], vcc, s[8:9]
	s_and_b64 s[10:11], s[2:3], s[8:9]
	s_and_saveexec_b64 s[8:9], s[10:11]
	s_cbranch_execz .LBB3_22
; %bb.21:                               ;   in Loop: Header=BB3_20 Depth=1
	s_waitcnt lgkmcnt(1)
	v_subrev_u32_e32 v2, s13, v15
	v_lshl_add_u32 v3, v2, 3, 0
	v_lshl_add_u32 v2, v2, 2, s12
	ds_write2_b32 v3, v0, v1 offset1:1
	ds_write_b32 v2, v7
.LBB3_22:                               ;   in Loop: Header=BB3_20 Depth=1
	s_or_b64 exec, exec, s[8:9]
	v_cmp_gt_u32_e32 vcc, s13, v15
	s_and_b64 s[10:11], s[2:3], vcc
	s_waitcnt lgkmcnt(0)
	s_barrier
	s_and_saveexec_b64 s[8:9], s[10:11]
	s_cbranch_execz .LBB3_26
; %bb.23:                               ;   in Loop: Header=BB3_20 Depth=1
	ds_read_b32 v10, v4
	v_mov_b32_e32 v3, 0
	v_mov_b32_e32 v2, 0
	s_waitcnt lgkmcnt(0)
	v_add_f32_e32 v6, v7, v10
	v_cmp_lt_f32_e32 vcc, 0, v6
	s_and_saveexec_b64 s[10:11], vcc
	s_cbranch_execz .LBB3_25
; %bb.24:                               ;   in Loop: Header=BB3_20 Depth=1
	v_div_scale_f32 v11, s[14:15], v6, v6, 1.0
	v_rcp_f32_e32 v12, v11
	ds_read2_b32 v[2:3], v5 offset1:1
	v_fma_f32 v16, -v11, v12, 1.0
	v_fmac_f32_e32 v12, v16, v12
	v_div_scale_f32 v16, vcc, 1.0, v6, 1.0
	v_mul_f32_e32 v17, v16, v12
	v_fma_f32 v18, -v11, v17, v16
	v_fmac_f32_e32 v17, v18, v12
	v_fma_f32 v11, -v11, v17, v16
	v_div_fmas_f32 v11, v11, v12, v17
	s_waitcnt lgkmcnt(0)
	v_sub_f32_e32 v13, v0, v2
	v_div_fixup_f32 v11, v11, v6, 1.0
	v_mul_f32_e32 v16, v10, v11
	v_add_f32_e32 v3, v1, v3
	v_mul_f32_e32 v1, v13, v13
	v_mul_f32_e32 v12, v7, v11
	;; [unrolled: 1-line block ×4, first 2 shown]
	v_pk_fma_f32 v[2:3], v[0:1], v[12:13], v[2:3] op_sel_hi:[1,0,1]
.LBB3_25:                               ;   in Loop: Header=BB3_20 Depth=1
	s_or_b64 exec, exec, s[10:11]
	v_mov_b32_e32 v7, v6
	v_mov_b32_e32 v0, v2
	;; [unrolled: 1-line block ×3, first 2 shown]
.LBB3_26:                               ;   in Loop: Header=BB3_20 Depth=1
	s_or_b64 exec, exec, s[8:9]
	s_cmp_lt_u32 s27, 4
	s_barrier
	s_cbranch_scc1 .LBB3_28
; %bb.27:                               ;   in Loop: Header=BB3_20 Depth=1
	s_mov_b32 s27, s13
	s_branch .LBB3_20
.LBB3_28:
	v_or_b32_e32 v2, v9, v15
	v_cmp_eq_u32_e32 vcc, 0, v2
	s_and_saveexec_b64 s[2:3], vcc
	s_cbranch_execz .LBB3_30
; %bb.29:
	v_cvt_f32_i32_e32 v2, s16
	v_div_scale_f32 v3, s[8:9], v2, v2, v1
	v_rcp_f32_e32 v4, v3
	v_div_scale_f32 v5, vcc, v1, v2, v1
	v_fma_f32 v6, -v3, v4, 1.0
	v_fmac_f32_e32 v4, v6, v4
	v_mul_f32_e32 v6, v5, v4
	v_fma_f32 v7, -v3, v6, v5
	v_fmac_f32_e32 v6, v7, v4
	v_fma_f32 v3, -v3, v6, v5
	v_div_fmas_f32 v3, v3, v4, v6
	v_div_fixup_f32 v1, v3, v2, v1
	v_mov_b32_e32 v2, 0
	ds_write2_b32 v2, v0, v1 offset1:1
.LBB3_30:
	s_or_b64 exec, exec, s[2:3]
	v_mov_b32_e32 v0, 0
	s_waitcnt lgkmcnt(0)
	s_barrier
	ds_read2_b32 v[10:11], v0 offset1:1
.LBB3_31:
	s_waitcnt lgkmcnt(0)
	v_add_f32_e32 v0, s17, v11
	s_mov_b32 s2, 0x800000
	v_mul_f32_e32 v1, 0x4b800000, v0
	v_cmp_gt_f32_e32 vcc, s2, v0
	v_cndmask_b32_e32 v0, v0, v1, vcc
	v_rsq_f32_e32 v0, v0
	s_load_dwordx8 s[8:15], s[4:5], 0x10
	s_load_dwordx2 s[24:25], s[4:5], 0x30
	v_mul_f32_e32 v1, 0x45800000, v0
	v_cndmask_b32_e32 v12, v0, v1, vcc
	s_and_saveexec_b64 s[2:3], s[0:1]
	s_cbranch_execz .LBB3_46
; %bb.32:
	s_waitcnt lgkmcnt(0)
	s_cmp_eq_u64 s[8:9], 0
	s_cselect_b64 s[16:17], -1, 0
	s_cmp_eq_u64 s[10:11], 0
	s_cselect_b64 s[0:1], -1, 0
	s_lshl_b64 s[30:31], s[22:23], 2
	s_add_u32 s27, s24, s30
	s_addc_u32 s28, s25, s31
	s_ashr_i32 s21, s20, 31
	s_or_b64 s[22:23], s[16:17], s[0:1]
	s_lshl_b64 s[24:25], s[20:21], 4
	v_cndmask_b32_e64 v0, 0, 1, s[0:1]
	s_add_u32 s0, s30, s18
	s_addc_u32 s1, s31, s19
	s_add_u32 s18, s0, 8
	s_addc_u32 s0, s1, 0
	s_add_u32 s19, s8, 8
	s_mov_b64 s[4:5], 0
	v_mov_b32_e32 v13, v12
	v_mov_b32_e32 v11, v10
	v_mov_b32_e32 v9, 0
	s_addc_u32 s21, s9, 0
	v_mov_b32_e32 v15, s0
	v_cmp_ne_u32_e64 s[0:1], 1, v0
	v_mov_b32_e32 v16, v14
	s_branch .LBB3_34
.LBB3_33:                               ;   in Loop: Header=BB3_34 Depth=1
	s_waitcnt vmcnt(0)
	v_mov_b32_e32 v1, s28
	v_add_co_u32_e32 v0, vcc, s27, v8
	v_addc_co_u32_e32 v1, vcc, v1, v9, vcc
	v_add_u32_e32 v16, s20, v16
	v_cmp_le_i32_e32 vcc, s26, v16
	global_store_dwordx4 v[0:1], v[4:7], off
	v_mov_b32_e32 v0, s25
	s_or_b64 s[4:5], vcc, s[4:5]
	v_add_co_u32_e32 v8, vcc, s24, v8
	v_addc_co_u32_e32 v9, vcc, v9, v0, vcc
	s_andn2_b64 exec, exec, s[4:5]
	s_cbranch_execz .LBB3_46
.LBB3_34:                               ; =>This Inner Loop Header: Depth=1
	v_add_co_u32_e32 v0, vcc, s18, v8
	v_addc_co_u32_e32 v1, vcc, v15, v9, vcc
	global_load_dwordx4 v[0:3], v[0:1], off offset:-8
	s_and_b64 vcc, exec, s[22:23]
	s_cbranch_vccz .LBB3_38
; %bb.35:                               ;   in Loop: Header=BB3_34 Depth=1
	s_and_b64 vcc, exec, s[16:17]
	s_cbranch_vccz .LBB3_39
; %bb.36:                               ;   in Loop: Header=BB3_34 Depth=1
	s_and_b64 vcc, exec, s[0:1]
	s_cbranch_vccnz .LBB3_40
; %bb.37:                               ;   in Loop: Header=BB3_34 Depth=1
	s_waitcnt vmcnt(0)
	v_pk_add_f32 v[4:5], v[0:1], v[10:11] neg_lo:[0,1] neg_hi:[0,1]
	v_pk_add_f32 v[6:7], v[2:3], v[10:11] neg_lo:[0,1] neg_hi:[0,1]
	v_pk_mul_f32 v[4:5], v[12:13], v[4:5]
	v_pk_mul_f32 v[6:7], v[12:13], v[6:7]
	s_cbranch_execz .LBB3_41
	s_branch .LBB3_42
.LBB3_38:                               ;   in Loop: Header=BB3_34 Depth=1
                                        ; implicit-def: $vgpr6_vgpr7
	s_branch .LBB3_45
.LBB3_39:                               ;   in Loop: Header=BB3_34 Depth=1
                                        ; implicit-def: $vgpr6_vgpr7
	s_branch .LBB3_43
.LBB3_40:                               ;   in Loop: Header=BB3_34 Depth=1
                                        ; implicit-def: $vgpr6_vgpr7
.LBB3_41:                               ;   in Loop: Header=BB3_34 Depth=1
	v_mov_b32_e32 v5, s11
	v_add_co_u32_e32 v4, vcc, s10, v8
	v_addc_co_u32_e32 v5, vcc, v5, v9, vcc
	global_load_dwordx4 v[4:7], v[4:5], off
	s_waitcnt vmcnt(1)
	v_pk_add_f32 v[18:19], v[0:1], v[10:11] neg_lo:[0,1] neg_hi:[0,1]
	v_pk_add_f32 v[20:21], v[2:3], v[10:11] neg_lo:[0,1] neg_hi:[0,1]
	s_waitcnt vmcnt(0)
	v_pk_fma_f32 v[4:5], v[12:13], v[18:19], v[4:5]
	v_pk_fma_f32 v[6:7], v[12:13], v[20:21], v[6:7]
.LBB3_42:                               ;   in Loop: Header=BB3_34 Depth=1
	s_cbranch_execnz .LBB3_44
.LBB3_43:                               ;   in Loop: Header=BB3_34 Depth=1
	v_mov_b32_e32 v5, s21
	v_add_co_u32_e32 v4, vcc, s19, v8
	v_addc_co_u32_e32 v5, vcc, v5, v9, vcc
	global_load_dwordx4 v[4:7], v[4:5], off offset:-8
	s_waitcnt vmcnt(1)
	v_pk_add_f32 v[18:19], v[0:1], v[10:11] neg_lo:[0,1] neg_hi:[0,1]
	v_pk_add_f32 v[20:21], v[2:3], v[10:11] neg_lo:[0,1] neg_hi:[0,1]
	v_pk_mul_f32 v[18:19], v[12:13], v[18:19]
	v_pk_mul_f32 v[20:21], v[12:13], v[20:21]
	s_waitcnt vmcnt(0)
	v_pk_mul_f32 v[4:5], v[18:19], v[4:5]
	v_pk_mul_f32 v[6:7], v[20:21], v[6:7]
.LBB3_44:                               ;   in Loop: Header=BB3_34 Depth=1
	s_cbranch_execnz .LBB3_33
.LBB3_45:                               ;   in Loop: Header=BB3_34 Depth=1
	v_mov_b32_e32 v4, s21
	v_add_co_u32_e32 v22, vcc, s19, v8
	v_addc_co_u32_e32 v23, vcc, v4, v9, vcc
	v_mov_b32_e32 v4, s11
	v_add_co_u32_e32 v24, vcc, s10, v8
	v_addc_co_u32_e32 v25, vcc, v4, v9, vcc
	global_load_dwordx4 v[4:7], v[22:23], off offset:-8
	global_load_dwordx4 v[18:21], v[24:25], off
	s_waitcnt vmcnt(2)
	v_pk_add_f32 v[0:1], v[0:1], v[10:11] neg_lo:[0,1] neg_hi:[0,1]
	v_pk_add_f32 v[2:3], v[2:3], v[10:11] neg_lo:[0,1] neg_hi:[0,1]
	v_pk_mul_f32 v[0:1], v[12:13], v[0:1]
	v_pk_mul_f32 v[2:3], v[12:13], v[2:3]
	s_waitcnt vmcnt(0)
	v_pk_fma_f32 v[4:5], v[0:1], v[4:5], v[18:19]
	v_pk_fma_f32 v[6:7], v[2:3], v[6:7], v[20:21]
	s_branch .LBB3_33
.LBB3_46:
	s_or_b64 exec, exec, s[2:3]
	v_cmp_eq_u32_e32 vcc, 0, v14
	s_and_saveexec_b64 s[0:1], vcc
	s_cbranch_execz .LBB3_48
; %bb.47:
	s_lshl_b64 s[0:1], s[6:7], 2
	s_waitcnt lgkmcnt(0)
	s_add_u32 s2, s12, s0
	s_addc_u32 s3, s13, s1
	v_mov_b32_e32 v0, 0
	s_add_u32 s0, s14, s0
	s_addc_u32 s1, s15, s1
	global_store_dword v0, v10, s[2:3]
	global_store_dword v0, v12, s[0:1]
.LBB3_48:
	s_endpgm
	.section	.rodata,"a",@progbits
	.p2align	6, 0x0
	.amdhsa_kernel _ZN2at6native12_GLOBAL__N_128vectorized_layer_norm_kernelIffLb0EEEviT0_PKT_S6_S6_PS3_S7_PS4_
		.amdhsa_group_segment_fixed_size 0
		.amdhsa_private_segment_fixed_size 0
		.amdhsa_kernarg_size 312
		.amdhsa_user_sgpr_count 6
		.amdhsa_user_sgpr_private_segment_buffer 1
		.amdhsa_user_sgpr_dispatch_ptr 0
		.amdhsa_user_sgpr_queue_ptr 0
		.amdhsa_user_sgpr_kernarg_segment_ptr 1
		.amdhsa_user_sgpr_dispatch_id 0
		.amdhsa_user_sgpr_flat_scratch_init 0
		.amdhsa_user_sgpr_kernarg_preload_length 0
		.amdhsa_user_sgpr_kernarg_preload_offset 0
		.amdhsa_user_sgpr_private_segment_size 0
		.amdhsa_uses_dynamic_stack 0
		.amdhsa_system_sgpr_private_segment_wavefront_offset 0
		.amdhsa_system_sgpr_workgroup_id_x 1
		.amdhsa_system_sgpr_workgroup_id_y 0
		.amdhsa_system_sgpr_workgroup_id_z 0
		.amdhsa_system_sgpr_workgroup_info 0
		.amdhsa_system_vgpr_workitem_id 1
		.amdhsa_next_free_vgpr 35
		.amdhsa_next_free_sgpr 32
		.amdhsa_accum_offset 36
		.amdhsa_reserve_vcc 1
		.amdhsa_reserve_flat_scratch 0
		.amdhsa_float_round_mode_32 0
		.amdhsa_float_round_mode_16_64 0
		.amdhsa_float_denorm_mode_32 3
		.amdhsa_float_denorm_mode_16_64 3
		.amdhsa_dx10_clamp 1
		.amdhsa_ieee_mode 1
		.amdhsa_fp16_overflow 0
		.amdhsa_tg_split 0
		.amdhsa_exception_fp_ieee_invalid_op 0
		.amdhsa_exception_fp_denorm_src 0
		.amdhsa_exception_fp_ieee_div_zero 0
		.amdhsa_exception_fp_ieee_overflow 0
		.amdhsa_exception_fp_ieee_underflow 0
		.amdhsa_exception_fp_ieee_inexact 0
		.amdhsa_exception_int_div_zero 0
	.end_amdhsa_kernel
	.section	.text._ZN2at6native12_GLOBAL__N_128vectorized_layer_norm_kernelIffLb0EEEviT0_PKT_S6_S6_PS3_S7_PS4_,"axG",@progbits,_ZN2at6native12_GLOBAL__N_128vectorized_layer_norm_kernelIffLb0EEEviT0_PKT_S6_S6_PS3_S7_PS4_,comdat
.Lfunc_end3:
	.size	_ZN2at6native12_GLOBAL__N_128vectorized_layer_norm_kernelIffLb0EEEviT0_PKT_S6_S6_PS3_S7_PS4_, .Lfunc_end3-_ZN2at6native12_GLOBAL__N_128vectorized_layer_norm_kernelIffLb0EEEviT0_PKT_S6_S6_PS3_S7_PS4_
                                        ; -- End function
	.section	.AMDGPU.csdata,"",@progbits
; Kernel info:
; codeLenInByte = 3168
; NumSgprs: 36
; NumVgprs: 35
; NumAgprs: 0
; TotalNumVgprs: 35
; ScratchSize: 0
; MemoryBound: 0
; FloatMode: 240
; IeeeMode: 1
; LDSByteSize: 0 bytes/workgroup (compile time only)
; SGPRBlocks: 4
; VGPRBlocks: 4
; NumSGPRsForWavesPerEU: 36
; NumVGPRsForWavesPerEU: 35
; AccumOffset: 36
; Occupancy: 8
; WaveLimiterHint : 0
; COMPUTE_PGM_RSRC2:SCRATCH_EN: 0
; COMPUTE_PGM_RSRC2:USER_SGPR: 6
; COMPUTE_PGM_RSRC2:TRAP_HANDLER: 0
; COMPUTE_PGM_RSRC2:TGID_X_EN: 1
; COMPUTE_PGM_RSRC2:TGID_Y_EN: 0
; COMPUTE_PGM_RSRC2:TGID_Z_EN: 0
; COMPUTE_PGM_RSRC2:TIDIG_COMP_CNT: 1
; COMPUTE_PGM_RSRC3_GFX90A:ACCUM_OFFSET: 8
; COMPUTE_PGM_RSRC3_GFX90A:TG_SPLIT: 0
	.section	.text._ZN2at6native12_GLOBAL__N_124RowwiseMomentsCUDAKernelIffLb0EEEvlT0_PKT_PS3_S7_,"axG",@progbits,_ZN2at6native12_GLOBAL__N_124RowwiseMomentsCUDAKernelIffLb0EEEvlT0_PKT_PS3_S7_,comdat
	.globl	_ZN2at6native12_GLOBAL__N_124RowwiseMomentsCUDAKernelIffLb0EEEvlT0_PKT_PS3_S7_ ; -- Begin function _ZN2at6native12_GLOBAL__N_124RowwiseMomentsCUDAKernelIffLb0EEEvlT0_PKT_PS3_S7_
	.p2align	8
	.type	_ZN2at6native12_GLOBAL__N_124RowwiseMomentsCUDAKernelIffLb0EEEvlT0_PKT_PS3_S7_,@function
_ZN2at6native12_GLOBAL__N_124RowwiseMomentsCUDAKernelIffLb0EEEvlT0_PKT_PS3_S7_: ; @_ZN2at6native12_GLOBAL__N_124RowwiseMomentsCUDAKernelIffLb0EEEvlT0_PKT_PS3_S7_
; %bb.0:
	s_load_dwordx2 s[10:11], s[4:5], 0x0
	s_load_dwordx4 s[0:3], s[4:5], 0x10
	s_load_dwordx2 s[8:9], s[4:5], 0x20
	s_mov_b32 s7, 0
	v_mov_b32_e32 v1, 0
	s_mov_b32 s12, s7
	s_mov_b32 s13, s7
	s_waitcnt lgkmcnt(0)
	v_cmp_gt_i64_e32 vcc, s[10:11], v[0:1]
	v_pk_mov_b32 v[2:3], s[12:13], s[12:13] op_sel:[0,1]
	v_pk_mov_b32 v[4:5], 0, 0
	s_and_saveexec_b64 s[12:13], vcc
	s_cbranch_execz .LBB4_4
; %bb.1:
	s_load_dword s14, s[4:5], 0x34
	s_mul_i32 s15, s11, s6
	s_mul_hi_u32 s16, s10, s6
	s_add_i32 s15, s16, s15
	v_lshlrev_b32_e32 v2, 2, v0
	s_waitcnt lgkmcnt(0)
	s_and_b32 s16, s14, 0xffff
	s_mul_i32 s14, s10, s6
	s_lshl_b64 s[14:15], s[14:15], 2
	s_add_u32 s0, s0, s14
	s_addc_u32 s1, s1, s15
	v_mov_b32_e32 v3, s1
	v_add_co_u32_e32 v6, vcc, s0, v2
	v_addc_co_u32_e32 v7, vcc, 0, v3, vcc
	s_lshl_b32 s17, s16, 2
	s_mov_b64 s[0:1], 0
	v_mov_b32_e32 v2, 0
	v_mov_b32_e32 v10, s7
	;; [unrolled: 1-line block ×3, first 2 shown]
	v_pk_mov_b32 v[8:9], v[0:1], v[0:1] op_sel:[0,1]
	s_mov_b64 s[14:15], 0
	v_mov_b32_e32 v3, 0
.LBB4_2:                                ; =>This Inner Loop Header: Depth=1
	global_load_dword v12, v[6:7], off
	s_add_u32 s14, s14, 1
	s_addc_u32 s15, s15, 0
	s_flbit_i32_b32 s18, s15
	s_min_u32 s20, s18, 32
	s_lshl_b64 s[18:19], s[14:15], s20
	s_min_u32 s18, s18, 1
	s_or_b32 s18, s19, s18
	v_cvt_f32_u32_e32 v1, s18
	s_sub_i32 s20, 32, s20
	v_add_co_u32_e32 v8, vcc, s16, v8
	v_ldexp_f32 v1, v1, s20
	v_addc_co_u32_e32 v9, vcc, v9, v10, vcc
	v_add_co_u32_e32 v6, vcc, s17, v6
	v_addc_co_u32_e32 v7, vcc, v7, v11, vcc
	v_cmp_le_i64_e32 vcc, s[10:11], v[8:9]
	s_or_b64 s[0:1], vcc, s[0:1]
	v_pk_mov_b32 v[4:5], s[14:15], s[14:15] op_sel:[0,1]
	s_waitcnt vmcnt(0)
	v_sub_f32_e32 v13, v12, v3
	v_div_scale_f32 v14, s[18:19], v1, v1, v13
	v_rcp_f32_e32 v15, v14
	v_div_scale_f32 v16, vcc, v13, v1, v13
	v_fma_f32 v17, -v14, v15, 1.0
	v_fmac_f32_e32 v15, v17, v15
	v_mul_f32_e32 v17, v16, v15
	v_fma_f32 v18, -v14, v17, v16
	v_fmac_f32_e32 v17, v18, v15
	v_fma_f32 v14, -v14, v17, v16
	v_div_fmas_f32 v14, v14, v15, v17
	v_div_fixup_f32 v14, v14, v1, v13
	v_add_f32_e32 v3, v3, v14
	v_sub_f32_e32 v12, v12, v3
	v_fmac_f32_e32 v2, v13, v12
	s_andn2_b64 exec, exec, s[0:1]
	s_cbranch_execnz .LBB4_2
; %bb.3:
	s_or_b64 exec, exec, s[0:1]
.LBB4_4:
	s_or_b64 exec, exec, s[12:13]
	v_mbcnt_lo_u32_b32 v6, -1, 0
	v_mbcnt_hi_u32_b32 v14, -1, v6
	v_and_b32_e32 v15, 63, v14
	v_cmp_gt_u32_e32 vcc, 32, v15
	v_cndmask_b32_e64 v6, 0, 1, vcc
	v_lshlrev_b32_e32 v6, 5, v6
	v_add_lshl_u32 v10, v6, v14, 2
	ds_bpermute_b32 v7, v10, v3
	ds_bpermute_b32 v6, v10, v2
	ds_bpermute_b32 v8, v10, v4
	ds_bpermute_b32 v9, v10, v5
	ds_bpermute_b32 v11, v10, v1
	v_cmp_neq_f32_e32 vcc, 0, v1
	s_and_saveexec_b64 s[0:1], vcc
	s_xor_b64 s[0:1], exec, s[0:1]
	s_cbranch_execz .LBB4_8
; %bb.5:
	s_waitcnt lgkmcnt(0)
	v_cmp_neq_f32_e32 vcc, 0, v11
	s_and_saveexec_b64 s[10:11], vcc
	s_cbranch_execz .LBB4_7
; %bb.6:
	v_add_f32_e32 v9, v1, v11
	v_div_scale_f32 v8, s[12:13], v9, v9, v11
	v_rcp_f32_e32 v12, v8
	v_pk_add_f32 v[4:5], v[6:7], v[2:3] neg_lo:[0,1] neg_hi:[0,1]
	v_pk_add_f32 v[6:7], v[2:3], v[6:7]
	v_mul_f32_e32 v2, v5, v5
	v_fma_f32 v4, -v8, v12, 1.0
	v_fmac_f32_e32 v12, v4, v12
	v_div_scale_f32 v4, vcc, v11, v9, v11
	v_mul_f32_e32 v13, v4, v12
	v_fma_f32 v16, -v8, v13, v4
	v_fmac_f32_e32 v13, v16, v12
	v_fma_f32 v4, -v8, v13, v4
	v_div_fmas_f32 v4, v4, v12, v13
	v_div_fixup_f32 v8, v4, v9, v11
	v_mul_f32_e32 v4, v1, v2
	v_mov_b32_e32 v7, v3
	v_pk_fma_f32 v[2:3], v[4:5], v[8:9], v[6:7] op_sel_hi:[1,0,1]
	v_pk_mov_b32 v[4:5], -1, -1
	v_mov_b32_e32 v1, v9
.LBB4_7:
	s_or_b64 exec, exec, s[10:11]
                                        ; implicit-def: $vgpr6_vgpr7
                                        ; implicit-def: $vgpr8
                                        ; implicit-def: $vgpr11
.LBB4_8:
	s_andn2_saveexec_b64 s[0:1], s[0:1]
	s_cbranch_execz .LBB4_10
; %bb.9:
	s_waitcnt lgkmcnt(0)
	v_mov_b32_e32 v1, v11
	v_pk_mov_b32 v[4:5], v[8:9], v[8:9] op_sel:[0,1]
	v_pk_mov_b32 v[2:3], v[6:7], v[6:7] op_sel:[0,1]
.LBB4_10:
	s_or_b64 exec, exec, s[0:1]
	v_cmp_gt_u32_e32 vcc, 48, v15
	s_waitcnt lgkmcnt(3)
	v_cndmask_b32_e64 v6, 0, 1, vcc
	v_lshlrev_b32_e32 v6, 4, v6
	s_waitcnt lgkmcnt(0)
	v_add_lshl_u32 v11, v6, v14, 2
	ds_bpermute_b32 v7, v11, v3
	ds_bpermute_b32 v6, v11, v2
	;; [unrolled: 1-line block ×5, first 2 shown]
	v_cmp_neq_f32_e32 vcc, 0, v1
	s_and_saveexec_b64 s[0:1], vcc
	s_xor_b64 s[0:1], exec, s[0:1]
	s_cbranch_execz .LBB4_14
; %bb.11:
	s_waitcnt lgkmcnt(0)
	v_cmp_neq_f32_e32 vcc, 0, v12
	s_and_saveexec_b64 s[10:11], vcc
	s_cbranch_execz .LBB4_13
; %bb.12:
	v_add_f32_e32 v9, v1, v12
	v_div_scale_f32 v8, s[12:13], v9, v9, v12
	v_rcp_f32_e32 v13, v8
	v_pk_add_f32 v[4:5], v[6:7], v[2:3] neg_lo:[0,1] neg_hi:[0,1]
	v_pk_add_f32 v[6:7], v[2:3], v[6:7]
	v_mul_f32_e32 v2, v5, v5
	v_fma_f32 v4, -v8, v13, 1.0
	v_fmac_f32_e32 v13, v4, v13
	v_div_scale_f32 v4, vcc, v12, v9, v12
	v_mul_f32_e32 v16, v4, v13
	v_fma_f32 v17, -v8, v16, v4
	v_fmac_f32_e32 v16, v17, v13
	v_fma_f32 v4, -v8, v16, v4
	v_div_fmas_f32 v4, v4, v13, v16
	v_div_fixup_f32 v8, v4, v9, v12
	v_mul_f32_e32 v4, v1, v2
	v_mov_b32_e32 v7, v3
	v_pk_fma_f32 v[2:3], v[4:5], v[8:9], v[6:7] op_sel_hi:[1,0,1]
	v_pk_mov_b32 v[4:5], -1, -1
	v_mov_b32_e32 v1, v9
.LBB4_13:
	s_or_b64 exec, exec, s[10:11]
                                        ; implicit-def: $vgpr6_vgpr7
                                        ; implicit-def: $vgpr8
                                        ; implicit-def: $vgpr12
.LBB4_14:
	s_andn2_saveexec_b64 s[0:1], s[0:1]
	s_cbranch_execz .LBB4_16
; %bb.15:
	s_waitcnt lgkmcnt(0)
	v_mov_b32_e32 v1, v12
	v_pk_mov_b32 v[4:5], v[8:9], v[8:9] op_sel:[0,1]
	v_pk_mov_b32 v[2:3], v[6:7], v[6:7] op_sel:[0,1]
.LBB4_16:
	s_or_b64 exec, exec, s[0:1]
	v_cmp_gt_u32_e32 vcc, 56, v15
	s_waitcnt lgkmcnt(3)
	v_cndmask_b32_e64 v6, 0, 1, vcc
	v_lshlrev_b32_e32 v6, 3, v6
	s_waitcnt lgkmcnt(0)
	v_add_lshl_u32 v12, v6, v14, 2
	ds_bpermute_b32 v7, v12, v3
	ds_bpermute_b32 v6, v12, v2
	ds_bpermute_b32 v8, v12, v4
	ds_bpermute_b32 v9, v12, v5
	ds_bpermute_b32 v13, v12, v1
	v_cmp_neq_f32_e32 vcc, 0, v1
	s_and_saveexec_b64 s[0:1], vcc
	s_xor_b64 s[0:1], exec, s[0:1]
	s_cbranch_execz .LBB4_20
; %bb.17:
	s_waitcnt lgkmcnt(0)
	v_cmp_neq_f32_e32 vcc, 0, v13
	s_and_saveexec_b64 s[10:11], vcc
	s_cbranch_execz .LBB4_19
; %bb.18:
	v_add_f32_e32 v9, v1, v13
	v_div_scale_f32 v8, s[12:13], v9, v9, v13
	v_rcp_f32_e32 v16, v8
	v_pk_add_f32 v[4:5], v[6:7], v[2:3] neg_lo:[0,1] neg_hi:[0,1]
	v_pk_add_f32 v[6:7], v[2:3], v[6:7]
	v_mul_f32_e32 v2, v5, v5
	v_fma_f32 v4, -v8, v16, 1.0
	v_fmac_f32_e32 v16, v4, v16
	v_div_scale_f32 v4, vcc, v13, v9, v13
	v_mul_f32_e32 v17, v4, v16
	v_fma_f32 v18, -v8, v17, v4
	v_fmac_f32_e32 v17, v18, v16
	v_fma_f32 v4, -v8, v17, v4
	v_div_fmas_f32 v4, v4, v16, v17
	v_div_fixup_f32 v8, v4, v9, v13
	v_mul_f32_e32 v4, v1, v2
	v_mov_b32_e32 v7, v3
	v_pk_fma_f32 v[2:3], v[4:5], v[8:9], v[6:7] op_sel_hi:[1,0,1]
	v_pk_mov_b32 v[4:5], -1, -1
	v_mov_b32_e32 v1, v9
.LBB4_19:
	s_or_b64 exec, exec, s[10:11]
                                        ; implicit-def: $vgpr6_vgpr7
                                        ; implicit-def: $vgpr8
                                        ; implicit-def: $vgpr13
.LBB4_20:
	s_andn2_saveexec_b64 s[0:1], s[0:1]
	s_cbranch_execz .LBB4_22
; %bb.21:
	s_waitcnt lgkmcnt(0)
	v_mov_b32_e32 v1, v13
	v_pk_mov_b32 v[4:5], v[8:9], v[8:9] op_sel:[0,1]
	v_pk_mov_b32 v[2:3], v[6:7], v[6:7] op_sel:[0,1]
.LBB4_22:
	s_or_b64 exec, exec, s[0:1]
	v_cmp_gt_u32_e32 vcc, 60, v15
	s_waitcnt lgkmcnt(3)
	v_cndmask_b32_e64 v6, 0, 1, vcc
	v_lshlrev_b32_e32 v6, 2, v6
	s_waitcnt lgkmcnt(0)
	v_add_lshl_u32 v13, v6, v14, 2
	ds_bpermute_b32 v7, v13, v3
	ds_bpermute_b32 v6, v13, v2
	ds_bpermute_b32 v8, v13, v4
	ds_bpermute_b32 v9, v13, v5
	ds_bpermute_b32 v16, v13, v1
	v_cmp_neq_f32_e32 vcc, 0, v1
	s_and_saveexec_b64 s[0:1], vcc
	s_xor_b64 s[0:1], exec, s[0:1]
	s_cbranch_execz .LBB4_26
; %bb.23:
	s_waitcnt lgkmcnt(0)
	v_cmp_neq_f32_e32 vcc, 0, v16
	s_and_saveexec_b64 s[10:11], vcc
	s_cbranch_execz .LBB4_25
; %bb.24:
	v_add_f32_e32 v9, v1, v16
	v_div_scale_f32 v8, s[12:13], v9, v9, v16
	v_rcp_f32_e32 v17, v8
	v_pk_add_f32 v[4:5], v[6:7], v[2:3] neg_lo:[0,1] neg_hi:[0,1]
	v_pk_add_f32 v[6:7], v[2:3], v[6:7]
	v_mul_f32_e32 v2, v5, v5
	v_fma_f32 v4, -v8, v17, 1.0
	v_fmac_f32_e32 v17, v4, v17
	v_div_scale_f32 v4, vcc, v16, v9, v16
	v_mul_f32_e32 v18, v4, v17
	v_fma_f32 v19, -v8, v18, v4
	v_fmac_f32_e32 v18, v19, v17
	v_fma_f32 v4, -v8, v18, v4
	v_div_fmas_f32 v4, v4, v17, v18
	v_div_fixup_f32 v8, v4, v9, v16
	v_mul_f32_e32 v4, v1, v2
	v_mov_b32_e32 v7, v3
	v_pk_fma_f32 v[2:3], v[4:5], v[8:9], v[6:7] op_sel_hi:[1,0,1]
	v_pk_mov_b32 v[4:5], -1, -1
	v_mov_b32_e32 v1, v9
.LBB4_25:
	s_or_b64 exec, exec, s[10:11]
                                        ; implicit-def: $vgpr6_vgpr7
                                        ; implicit-def: $vgpr8
                                        ; implicit-def: $vgpr16
.LBB4_26:
	s_andn2_saveexec_b64 s[0:1], s[0:1]
	s_cbranch_execz .LBB4_28
; %bb.27:
	s_waitcnt lgkmcnt(0)
	v_mov_b32_e32 v1, v16
	v_pk_mov_b32 v[4:5], v[8:9], v[8:9] op_sel:[0,1]
	v_pk_mov_b32 v[2:3], v[6:7], v[6:7] op_sel:[0,1]
.LBB4_28:
	s_or_b64 exec, exec, s[0:1]
	v_cmp_gt_u32_e32 vcc, 62, v15
	s_waitcnt lgkmcnt(3)
	v_cndmask_b32_e64 v6, 0, 1, vcc
	v_lshlrev_b32_e32 v6, 1, v6
	s_waitcnt lgkmcnt(0)
	v_add_lshl_u32 v16, v6, v14, 2
	ds_bpermute_b32 v7, v16, v3
	ds_bpermute_b32 v6, v16, v2
	;; [unrolled: 1-line block ×5, first 2 shown]
	v_cmp_neq_f32_e32 vcc, 0, v1
	s_and_saveexec_b64 s[0:1], vcc
	s_xor_b64 s[0:1], exec, s[0:1]
	s_cbranch_execz .LBB4_32
; %bb.29:
	s_waitcnt lgkmcnt(0)
	v_cmp_neq_f32_e32 vcc, 0, v17
	s_and_saveexec_b64 s[10:11], vcc
	s_cbranch_execz .LBB4_31
; %bb.30:
	v_add_f32_e32 v9, v1, v17
	v_div_scale_f32 v8, s[12:13], v9, v9, v17
	v_rcp_f32_e32 v18, v8
	v_pk_add_f32 v[4:5], v[6:7], v[2:3] neg_lo:[0,1] neg_hi:[0,1]
	v_pk_add_f32 v[6:7], v[2:3], v[6:7]
	v_mul_f32_e32 v2, v5, v5
	v_fma_f32 v4, -v8, v18, 1.0
	v_fmac_f32_e32 v18, v4, v18
	v_div_scale_f32 v4, vcc, v17, v9, v17
	v_mul_f32_e32 v19, v4, v18
	v_fma_f32 v20, -v8, v19, v4
	v_fmac_f32_e32 v19, v20, v18
	v_fma_f32 v4, -v8, v19, v4
	v_div_fmas_f32 v4, v4, v18, v19
	v_div_fixup_f32 v8, v4, v9, v17
	v_mul_f32_e32 v4, v1, v2
	v_mov_b32_e32 v7, v3
	v_pk_fma_f32 v[2:3], v[4:5], v[8:9], v[6:7] op_sel_hi:[1,0,1]
	v_pk_mov_b32 v[4:5], -1, -1
	v_mov_b32_e32 v1, v9
.LBB4_31:
	s_or_b64 exec, exec, s[10:11]
                                        ; implicit-def: $vgpr6_vgpr7
                                        ; implicit-def: $vgpr8
                                        ; implicit-def: $vgpr17
.LBB4_32:
	s_andn2_saveexec_b64 s[0:1], s[0:1]
	s_cbranch_execz .LBB4_34
; %bb.33:
	s_waitcnt lgkmcnt(0)
	v_mov_b32_e32 v1, v17
	v_pk_mov_b32 v[4:5], v[8:9], v[8:9] op_sel:[0,1]
	v_pk_mov_b32 v[2:3], v[6:7], v[6:7] op_sel:[0,1]
.LBB4_34:
	s_or_b64 exec, exec, s[0:1]
	v_cmp_ne_u32_e32 vcc, 63, v15
	s_waitcnt lgkmcnt(3)
	v_addc_co_u32_e32 v6, vcc, 0, v14, vcc
	v_lshlrev_b32_e32 v14, 2, v6
	ds_bpermute_b32 v7, v14, v3
	ds_bpermute_b32 v6, v14, v2
	s_waitcnt lgkmcnt(4)
	ds_bpermute_b32 v8, v14, v4
	s_waitcnt lgkmcnt(4)
	ds_bpermute_b32 v9, v14, v5
	ds_bpermute_b32 v15, v14, v1
	v_cmp_neq_f32_e32 vcc, 0, v1
	s_and_saveexec_b64 s[0:1], vcc
	s_xor_b64 s[0:1], exec, s[0:1]
	s_cbranch_execz .LBB4_38
; %bb.35:
	s_waitcnt lgkmcnt(0)
	v_cmp_neq_f32_e32 vcc, 0, v15
	s_and_saveexec_b64 s[10:11], vcc
	s_cbranch_execz .LBB4_37
; %bb.36:
	v_add_f32_e32 v9, v1, v15
	v_div_scale_f32 v8, s[12:13], v9, v9, v15
	v_rcp_f32_e32 v17, v8
	v_pk_add_f32 v[4:5], v[6:7], v[2:3] neg_lo:[0,1] neg_hi:[0,1]
	v_pk_add_f32 v[6:7], v[2:3], v[6:7]
	v_mul_f32_e32 v2, v5, v5
	v_fma_f32 v4, -v8, v17, 1.0
	v_fmac_f32_e32 v17, v4, v17
	v_div_scale_f32 v4, vcc, v15, v9, v15
	v_mul_f32_e32 v18, v4, v17
	v_fma_f32 v19, -v8, v18, v4
	v_fmac_f32_e32 v18, v19, v17
	v_fma_f32 v4, -v8, v18, v4
	v_div_fmas_f32 v4, v4, v17, v18
	v_div_fixup_f32 v8, v4, v9, v15
	v_mul_f32_e32 v4, v1, v2
	v_mov_b32_e32 v7, v3
	v_pk_fma_f32 v[2:3], v[4:5], v[8:9], v[6:7] op_sel_hi:[1,0,1]
	v_pk_mov_b32 v[4:5], -1, -1
	v_mov_b32_e32 v1, v9
.LBB4_37:
	s_or_b64 exec, exec, s[10:11]
                                        ; implicit-def: $vgpr6_vgpr7
                                        ; implicit-def: $vgpr8
                                        ; implicit-def: $vgpr15
.LBB4_38:
	s_andn2_saveexec_b64 s[0:1], s[0:1]
	s_cbranch_execz .LBB4_40
; %bb.39:
	s_waitcnt lgkmcnt(0)
	v_mov_b32_e32 v1, v15
	v_pk_mov_b32 v[4:5], v[8:9], v[8:9] op_sel:[0,1]
	v_pk_mov_b32 v[2:3], v[6:7], v[6:7] op_sel:[0,1]
.LBB4_40:
	s_or_b64 exec, exec, s[0:1]
	s_waitcnt lgkmcnt(3)
	v_and_b32_e32 v6, 63, v0
	v_cmp_eq_u32_e32 vcc, 0, v6
	s_waitcnt lgkmcnt(0)
	s_barrier
	s_and_saveexec_b64 s[0:1], vcc
	s_cbranch_execz .LBB4_42
; %bb.41:
	v_lshrrev_b32_e32 v7, 6, v0
	v_mul_u32_u24_e32 v7, 24, v7
	v_mov_b32_e32 v8, v3
	v_mov_b32_e32 v9, v2
	ds_write2_b64 v7, v[8:9], v[4:5] offset1:1
	ds_write_b32 v7, v1 offset:16
.LBB4_42:
	s_or_b64 exec, exec, s[0:1]
	s_waitcnt lgkmcnt(0)
	s_barrier
	s_load_dword s0, s[4:5], 0x34
	v_mul_u32_u24_e32 v4, 24, v6
	v_mov_b32_e32 v2, 0
	v_mov_b32_e32 v1, 0
	s_waitcnt lgkmcnt(0)
	s_bfe_u32 s0, s0, 0xa0006
	v_cmp_gt_u32_e32 vcc, s0, v0
	s_and_saveexec_b64 s[0:1], vcc
	s_cbranch_execnz .LBB4_48
; %bb.43:
	s_or_b64 exec, exec, s[0:1]
	s_and_saveexec_b64 s[0:1], vcc
	s_cbranch_execnz .LBB4_49
.LBB4_44:
	s_or_b64 exec, exec, s[0:1]
	v_mov_b32_e32 v3, 0
	s_and_saveexec_b64 s[0:1], vcc
	s_cbranch_execnz .LBB4_50
.LBB4_45:
	s_or_b64 exec, exec, s[0:1]
	v_cmp_gt_u32_e32 vcc, 64, v0
	s_and_saveexec_b64 s[0:1], vcc
	s_cbranch_execnz .LBB4_51
.LBB4_46:
	s_or_b64 exec, exec, s[0:1]
	v_cmp_eq_u32_e32 vcc, 0, v0
	s_and_saveexec_b64 s[0:1], vcc
	s_cbranch_execnz .LBB4_76
.LBB4_47:
	s_endpgm
.LBB4_48:
	ds_read_b32 v1, v4
	s_or_b64 exec, exec, s[0:1]
	s_and_saveexec_b64 s[0:1], vcc
	s_cbranch_execz .LBB4_44
.LBB4_49:
	ds_read_b32 v2, v4 offset:4
	s_or_b64 exec, exec, s[0:1]
	v_mov_b32_e32 v3, 0
	s_and_saveexec_b64 s[0:1], vcc
	s_cbranch_execz .LBB4_45
.LBB4_50:
	ds_read_b32 v3, v4 offset:16
	s_or_b64 exec, exec, s[0:1]
	v_cmp_gt_u32_e32 vcc, 64, v0
	s_and_saveexec_b64 s[0:1], vcc
	s_cbranch_execz .LBB4_46
.LBB4_51:
	s_waitcnt lgkmcnt(0)
	ds_bpermute_b32 v6, v10, v1
	ds_bpermute_b32 v4, v10, v2
	;; [unrolled: 1-line block ×3, first 2 shown]
	v_cmp_neq_f32_e32 vcc, 0, v3
	s_and_saveexec_b64 s[10:11], vcc
	s_cbranch_execz .LBB4_55
; %bb.52:
	s_waitcnt lgkmcnt(0)
	v_cmp_neq_f32_e32 vcc, 0, v5
	s_and_saveexec_b64 s[12:13], vcc
	s_cbranch_execz .LBB4_54
; %bb.53:
	v_sub_f32_e32 v6, v6, v1
	v_mul_f32_e32 v7, v6, v6
	v_mul_f32_e32 v7, v3, v7
	v_add_f32_e32 v3, v3, v5
	v_div_scale_f32 v8, s[14:15], v3, v3, v5
	v_rcp_f32_e32 v9, v8
	v_add_f32_e32 v2, v2, v4
	v_fma_f32 v4, -v8, v9, 1.0
	v_fmac_f32_e32 v9, v4, v9
	v_div_scale_f32 v4, vcc, v5, v3, v5
	v_mul_f32_e32 v10, v4, v9
	v_fma_f32 v15, -v8, v10, v4
	v_fmac_f32_e32 v10, v15, v9
	v_fma_f32 v4, -v8, v10, v4
	v_div_fmas_f32 v4, v4, v9, v10
	v_div_fixup_f32 v4, v4, v3, v5
	v_fmac_f32_e32 v1, v6, v4
	v_fmac_f32_e32 v2, v7, v4
.LBB4_54:
	s_or_b64 exec, exec, s[12:13]
	v_mov_b32_e32 v6, v1
	v_pk_mov_b32 v[4:5], v[2:3], v[2:3] op_sel:[0,1]
.LBB4_55:
	s_or_b64 exec, exec, s[10:11]
	s_waitcnt lgkmcnt(2)
	ds_bpermute_b32 v1, v11, v6
	s_waitcnt lgkmcnt(2)
	ds_bpermute_b32 v2, v11, v4
	s_waitcnt lgkmcnt(2)
	ds_bpermute_b32 v3, v11, v5
	v_cmp_neq_f32_e32 vcc, 0, v5
	s_and_saveexec_b64 s[10:11], vcc
	s_cbranch_execz .LBB4_59
; %bb.56:
	s_waitcnt lgkmcnt(0)
	v_cmp_neq_f32_e32 vcc, 0, v3
	s_and_saveexec_b64 s[12:13], vcc
	s_cbranch_execz .LBB4_58
; %bb.57:
	v_pk_add_f32 v[8:9], v[4:5], v[2:3]
	v_div_scale_f32 v2, s[14:15], v9, v9, v3
	v_rcp_f32_e32 v4, v2
	v_sub_f32_e32 v1, v1, v6
	v_mul_f32_e32 v7, v1, v1
	v_mul_f32_e32 v5, v5, v7
	v_fma_f32 v7, -v2, v4, 1.0
	v_fmac_f32_e32 v4, v7, v4
	v_div_scale_f32 v7, vcc, v3, v9, v3
	v_mul_f32_e32 v10, v7, v4
	v_fma_f32 v11, -v2, v10, v7
	v_fmac_f32_e32 v10, v11, v4
	v_fma_f32 v2, -v2, v10, v7
	v_div_fmas_f32 v2, v2, v4, v10
	v_div_fixup_f32 v2, v2, v9, v3
	v_fma_f32 v8, v5, v2, v8
	v_fmac_f32_e32 v6, v1, v2
	v_pk_mov_b32 v[4:5], v[8:9], v[8:9] op_sel:[0,1]
.LBB4_58:
	s_or_b64 exec, exec, s[12:13]
	v_mov_b32_e32 v1, v6
	v_pk_mov_b32 v[2:3], v[4:5], v[4:5] op_sel:[0,1]
.LBB4_59:
	s_or_b64 exec, exec, s[10:11]
	s_waitcnt lgkmcnt(2)
	ds_bpermute_b32 v6, v12, v1
	s_waitcnt lgkmcnt(2)
	ds_bpermute_b32 v4, v12, v2
	s_waitcnt lgkmcnt(2)
	ds_bpermute_b32 v5, v12, v3
	v_cmp_neq_f32_e32 vcc, 0, v3
	s_and_saveexec_b64 s[10:11], vcc
	s_cbranch_execz .LBB4_63
; %bb.60:
	s_waitcnt lgkmcnt(0)
	v_cmp_neq_f32_e32 vcc, 0, v5
	s_and_saveexec_b64 s[12:13], vcc
	s_cbranch_execz .LBB4_62
; %bb.61:
	v_pk_add_f32 v[8:9], v[2:3], v[4:5]
	v_div_scale_f32 v2, s[14:15], v9, v9, v5
	v_rcp_f32_e32 v4, v2
	v_sub_f32_e32 v6, v6, v1
	v_mul_f32_e32 v7, v6, v6
	v_mul_f32_e32 v3, v3, v7
	v_fma_f32 v7, -v2, v4, 1.0
	v_fmac_f32_e32 v4, v7, v4
	v_div_scale_f32 v7, vcc, v5, v9, v5
	v_mul_f32_e32 v10, v7, v4
	v_fma_f32 v11, -v2, v10, v7
	v_fmac_f32_e32 v10, v11, v4
	v_fma_f32 v2, -v2, v10, v7
	v_div_fmas_f32 v2, v2, v4, v10
	v_div_fixup_f32 v2, v2, v9, v5
	v_fma_f32 v8, v3, v2, v8
	v_fmac_f32_e32 v1, v6, v2
	v_pk_mov_b32 v[2:3], v[8:9], v[8:9] op_sel:[0,1]
.LBB4_62:
	s_or_b64 exec, exec, s[12:13]
	v_mov_b32_e32 v6, v1
	v_pk_mov_b32 v[4:5], v[2:3], v[2:3] op_sel:[0,1]
.LBB4_63:
	;; [unrolled: 39-line block ×4, first 2 shown]
	s_or_b64 exec, exec, s[10:11]
	s_waitcnt lgkmcnt(2)
	ds_bpermute_b32 v1, v14, v6
	s_waitcnt lgkmcnt(2)
	ds_bpermute_b32 v2, v14, v4
	;; [unrolled: 2-line block ×3, first 2 shown]
	v_cmp_neq_f32_e32 vcc, 0, v5
	s_and_saveexec_b64 s[10:11], vcc
	s_cbranch_execz .LBB4_75
; %bb.72:
	s_waitcnt lgkmcnt(0)
	v_cmp_neq_f32_e32 vcc, 0, v3
	s_and_saveexec_b64 s[12:13], vcc
	s_cbranch_execz .LBB4_74
; %bb.73:
	v_pk_add_f32 v[8:9], v[4:5], v[2:3]
	v_div_scale_f32 v2, s[14:15], v9, v9, v3
	v_rcp_f32_e32 v4, v2
	v_sub_f32_e32 v1, v1, v6
	v_mul_f32_e32 v7, v1, v1
	v_mul_f32_e32 v5, v5, v7
	v_fma_f32 v7, -v2, v4, 1.0
	v_fmac_f32_e32 v4, v7, v4
	v_div_scale_f32 v7, vcc, v3, v9, v3
	v_mul_f32_e32 v10, v7, v4
	v_fma_f32 v11, -v2, v10, v7
	v_fmac_f32_e32 v10, v11, v4
	v_fma_f32 v2, -v2, v10, v7
	v_div_fmas_f32 v2, v2, v4, v10
	v_div_fixup_f32 v2, v2, v9, v3
	v_fma_f32 v8, v5, v2, v8
	v_fmac_f32_e32 v6, v1, v2
	v_pk_mov_b32 v[4:5], v[8:9], v[8:9] op_sel:[0,1]
.LBB4_74:
	s_or_b64 exec, exec, s[12:13]
	v_pk_mov_b32 v[2:3], v[4:5], v[4:5] op_sel:[0,1]
	v_mov_b32_e32 v1, v6
.LBB4_75:
	s_or_b64 exec, exec, s[10:11]
	s_or_b64 exec, exec, s[0:1]
	v_cmp_eq_u32_e32 vcc, 0, v0
	s_and_saveexec_b64 s[0:1], vcc
	s_cbranch_execz .LBB4_47
.LBB4_76:
	s_waitcnt lgkmcnt(0)
	v_max_f32_e32 v0, v3, v3
	v_max_f32_e32 v0, 0, v0
	v_div_scale_f32 v3, s[0:1], v0, v0, v2
	v_rcp_f32_e32 v4, v3
	s_load_dword s4, s[4:5], 0x8
	s_lshl_b64 s[0:1], s[6:7], 2
	s_add_u32 s2, s2, s0
	v_fma_f32 v5, -v3, v4, 1.0
	v_fmac_f32_e32 v4, v5, v4
	v_div_scale_f32 v5, vcc, v2, v0, v2
	v_mul_f32_e32 v6, v5, v4
	v_fma_f32 v7, -v3, v6, v5
	v_fmac_f32_e32 v6, v7, v4
	v_fma_f32 v3, -v3, v6, v5
	v_div_fmas_f32 v3, v3, v4, v6
	v_div_fixup_f32 v0, v3, v0, v2
	s_waitcnt lgkmcnt(0)
	v_add_f32_e32 v0, s4, v0
	s_mov_b32 s4, 0x800000
	v_mul_f32_e32 v2, 0x4b800000, v0
	v_cmp_gt_f32_e32 vcc, s4, v0
	v_cndmask_b32_e32 v0, v0, v2, vcc
	v_rsq_f32_e32 v0, v0
	s_addc_u32 s3, s3, s1
	v_mov_b32_e32 v2, 0
	global_store_dword v2, v1, s[2:3]
	v_mul_f32_e32 v1, 0x45800000, v0
	s_add_u32 s0, s8, s0
	v_cndmask_b32_e32 v0, v0, v1, vcc
	s_addc_u32 s1, s9, s1
	global_store_dword v2, v0, s[0:1]
	s_endpgm
	.section	.rodata,"a",@progbits
	.p2align	6, 0x0
	.amdhsa_kernel _ZN2at6native12_GLOBAL__N_124RowwiseMomentsCUDAKernelIffLb0EEEvlT0_PKT_PS3_S7_
		.amdhsa_group_segment_fixed_size 1536
		.amdhsa_private_segment_fixed_size 0
		.amdhsa_kernarg_size 296
		.amdhsa_user_sgpr_count 6
		.amdhsa_user_sgpr_private_segment_buffer 1
		.amdhsa_user_sgpr_dispatch_ptr 0
		.amdhsa_user_sgpr_queue_ptr 0
		.amdhsa_user_sgpr_kernarg_segment_ptr 1
		.amdhsa_user_sgpr_dispatch_id 0
		.amdhsa_user_sgpr_flat_scratch_init 0
		.amdhsa_user_sgpr_kernarg_preload_length 0
		.amdhsa_user_sgpr_kernarg_preload_offset 0
		.amdhsa_user_sgpr_private_segment_size 0
		.amdhsa_uses_dynamic_stack 0
		.amdhsa_system_sgpr_private_segment_wavefront_offset 0
		.amdhsa_system_sgpr_workgroup_id_x 1
		.amdhsa_system_sgpr_workgroup_id_y 0
		.amdhsa_system_sgpr_workgroup_id_z 0
		.amdhsa_system_sgpr_workgroup_info 0
		.amdhsa_system_vgpr_workitem_id 0
		.amdhsa_next_free_vgpr 21
		.amdhsa_next_free_sgpr 21
		.amdhsa_accum_offset 24
		.amdhsa_reserve_vcc 1
		.amdhsa_reserve_flat_scratch 0
		.amdhsa_float_round_mode_32 0
		.amdhsa_float_round_mode_16_64 0
		.amdhsa_float_denorm_mode_32 3
		.amdhsa_float_denorm_mode_16_64 3
		.amdhsa_dx10_clamp 1
		.amdhsa_ieee_mode 1
		.amdhsa_fp16_overflow 0
		.amdhsa_tg_split 0
		.amdhsa_exception_fp_ieee_invalid_op 0
		.amdhsa_exception_fp_denorm_src 0
		.amdhsa_exception_fp_ieee_div_zero 0
		.amdhsa_exception_fp_ieee_overflow 0
		.amdhsa_exception_fp_ieee_underflow 0
		.amdhsa_exception_fp_ieee_inexact 0
		.amdhsa_exception_int_div_zero 0
	.end_amdhsa_kernel
	.section	.text._ZN2at6native12_GLOBAL__N_124RowwiseMomentsCUDAKernelIffLb0EEEvlT0_PKT_PS3_S7_,"axG",@progbits,_ZN2at6native12_GLOBAL__N_124RowwiseMomentsCUDAKernelIffLb0EEEvlT0_PKT_PS3_S7_,comdat
.Lfunc_end4:
	.size	_ZN2at6native12_GLOBAL__N_124RowwiseMomentsCUDAKernelIffLb0EEEvlT0_PKT_PS3_S7_, .Lfunc_end4-_ZN2at6native12_GLOBAL__N_124RowwiseMomentsCUDAKernelIffLb0EEEvlT0_PKT_PS3_S7_
                                        ; -- End function
	.section	.AMDGPU.csdata,"",@progbits
; Kernel info:
; codeLenInByte = 3580
; NumSgprs: 25
; NumVgprs: 21
; NumAgprs: 0
; TotalNumVgprs: 21
; ScratchSize: 0
; MemoryBound: 0
; FloatMode: 240
; IeeeMode: 1
; LDSByteSize: 1536 bytes/workgroup (compile time only)
; SGPRBlocks: 3
; VGPRBlocks: 2
; NumSGPRsForWavesPerEU: 25
; NumVGPRsForWavesPerEU: 21
; AccumOffset: 24
; Occupancy: 8
; WaveLimiterHint : 0
; COMPUTE_PGM_RSRC2:SCRATCH_EN: 0
; COMPUTE_PGM_RSRC2:USER_SGPR: 6
; COMPUTE_PGM_RSRC2:TRAP_HANDLER: 0
; COMPUTE_PGM_RSRC2:TGID_X_EN: 1
; COMPUTE_PGM_RSRC2:TGID_Y_EN: 0
; COMPUTE_PGM_RSRC2:TGID_Z_EN: 0
; COMPUTE_PGM_RSRC2:TIDIG_COMP_CNT: 0
; COMPUTE_PGM_RSRC3_GFX90A:ACCUM_OFFSET: 5
; COMPUTE_PGM_RSRC3_GFX90A:TG_SPLIT: 0
	.section	.text._ZN2at6native12_GLOBAL__N_126LayerNormForwardCUDAKernelIffLb0EEEvlPKT_PKT0_S8_S5_S5_PS3_,"axG",@progbits,_ZN2at6native12_GLOBAL__N_126LayerNormForwardCUDAKernelIffLb0EEEvlPKT_PKT0_S8_S5_S5_PS3_,comdat
	.globl	_ZN2at6native12_GLOBAL__N_126LayerNormForwardCUDAKernelIffLb0EEEvlPKT_PKT0_S8_S5_S5_PS3_ ; -- Begin function _ZN2at6native12_GLOBAL__N_126LayerNormForwardCUDAKernelIffLb0EEEvlPKT_PKT0_S8_S5_S5_PS3_
	.p2align	8
	.type	_ZN2at6native12_GLOBAL__N_126LayerNormForwardCUDAKernelIffLb0EEEvlPKT_PKT0_S8_S5_S5_PS3_,@function
_ZN2at6native12_GLOBAL__N_126LayerNormForwardCUDAKernelIffLb0EEEvlPKT_PKT0_S8_S5_S5_PS3_: ; @_ZN2at6native12_GLOBAL__N_126LayerNormForwardCUDAKernelIffLb0EEEvlPKT_PKT0_S8_S5_S5_PS3_
; %bb.0:
	s_load_dwordx8 s[8:15], s[4:5], 0x0
	v_mov_b32_e32 v1, 0
	s_waitcnt lgkmcnt(0)
	v_cmp_gt_i64_e32 vcc, s[8:9], v[0:1]
	s_and_saveexec_b64 s[0:1], vcc
	s_cbranch_execz .LBB5_8
; %bb.1:
	s_load_dwordx8 s[16:23], s[4:5], 0x20
	s_mov_b32 s7, 0
	s_load_dword s26, s[4:5], 0x44
	s_waitcnt lgkmcnt(0)
	s_mov_b64 s[22:23], 0
	v_lshlrev_b32_e32 v2, 2, v0
	s_cmp_lg_u64 s[16:17], 0
	s_cselect_b64 s[0:1], -1, 0
	s_cmp_lg_u64 s[18:19], 0
	s_cselect_b64 s[2:3], -1, 0
	s_lshl_b64 s[24:25], s[6:7], 2
	s_add_u32 s4, s12, s24
	s_addc_u32 s5, s13, s25
	s_add_u32 s12, s14, s24
	s_addc_u32 s13, s15, s25
	s_mul_i32 s24, s9, s6
	s_mul_hi_u32 s25, s8, s6
	s_add_i32 s25, s25, s24
	s_mul_i32 s24, s8, s6
	s_and_b32 s14, s26, 0xffff
	s_lshl_b64 s[24:25], s[24:25], 2
	s_add_u32 s6, s10, s24
	s_addc_u32 s26, s11, s25
	s_lshl_b32 s10, s14, 2
	s_add_u32 s11, s20, s24
	s_addc_u32 s20, s21, s25
	v_cndmask_b32_e64 v4, 0, 1, s[0:1]
	v_cndmask_b32_e64 v5, 0, 1, s[2:3]
	v_mov_b32_e32 v3, v1
	v_mov_b32_e32 v6, s26
	;; [unrolled: 1-line block ×5, first 2 shown]
	v_cmp_ne_u32_e64 s[0:1], 1, v4
	v_cmp_ne_u32_e64 s[2:3], 1, v5
	v_pk_mov_b32 v[4:5], v[0:1], v[0:1] op_sel:[0,1]
	s_mov_b32 s15, s7
	s_branch .LBB5_4
.LBB5_2:                                ;   in Loop: Header=BB5_4 Depth=1
	v_mov_b32_e32 v11, s19
	v_add_co_u32_e32 v10, vcc, s18, v2
	v_addc_co_u32_e32 v11, vcc, v11, v3, vcc
	global_load_dword v10, v[10:11], off
.LBB5_3:                                ;   in Loop: Header=BB5_4 Depth=1
	v_add_co_u32_e32 v12, vcc, s6, v2
	v_addc_co_u32_e32 v13, vcc, v6, v3, vcc
	global_load_dword v11, v[12:13], off
	global_load_dword v14, v1, s[4:5]
	global_load_dword v15, v1, s[12:13]
	v_add_co_u32_e32 v12, vcc, s11, v2
	v_addc_co_u32_e32 v13, vcc, v7, v3, vcc
	v_add_co_u32_e32 v4, vcc, s14, v4
	v_addc_co_u32_e32 v5, vcc, v5, v8, vcc
	v_cmp_le_i64_e32 vcc, s[8:9], v[4:5]
	s_or_b64 s[22:23], vcc, s[22:23]
	v_add_co_u32_e32 v2, vcc, s10, v2
	v_addc_co_u32_e32 v3, vcc, v3, v9, vcc
	s_waitcnt vmcnt(1)
	v_sub_f32_e32 v11, v11, v14
	s_waitcnt vmcnt(0)
	v_mul_f32_e32 v11, v11, v15
	v_fmac_f32_e32 v10, v0, v11
	global_store_dword v[12:13], v10, off
	s_andn2_b64 exec, exec, s[22:23]
	s_cbranch_execz .LBB5_8
.LBB5_4:                                ; =>This Inner Loop Header: Depth=1
	s_and_b64 vcc, exec, s[0:1]
	s_cbranch_vccnz .LBB5_6
; %bb.5:                                ;   in Loop: Header=BB5_4 Depth=1
	v_mov_b32_e32 v0, s17
	v_add_co_u32_e32 v10, vcc, s16, v2
	v_addc_co_u32_e32 v11, vcc, v0, v3, vcc
	global_load_dword v0, v[10:11], off
	s_and_b64 vcc, exec, s[2:3]
	s_cbranch_vccz .LBB5_2
	s_branch .LBB5_7
.LBB5_6:                                ;   in Loop: Header=BB5_4 Depth=1
	v_mov_b32_e32 v0, 1.0
	s_and_b64 vcc, exec, s[2:3]
	s_cbranch_vccz .LBB5_2
.LBB5_7:                                ;   in Loop: Header=BB5_4 Depth=1
	v_mov_b32_e32 v10, 0
	s_branch .LBB5_3
.LBB5_8:
	s_endpgm
	.section	.rodata,"a",@progbits
	.p2align	6, 0x0
	.amdhsa_kernel _ZN2at6native12_GLOBAL__N_126LayerNormForwardCUDAKernelIffLb0EEEvlPKT_PKT0_S8_S5_S5_PS3_
		.amdhsa_group_segment_fixed_size 0
		.amdhsa_private_segment_fixed_size 0
		.amdhsa_kernarg_size 312
		.amdhsa_user_sgpr_count 6
		.amdhsa_user_sgpr_private_segment_buffer 1
		.amdhsa_user_sgpr_dispatch_ptr 0
		.amdhsa_user_sgpr_queue_ptr 0
		.amdhsa_user_sgpr_kernarg_segment_ptr 1
		.amdhsa_user_sgpr_dispatch_id 0
		.amdhsa_user_sgpr_flat_scratch_init 0
		.amdhsa_user_sgpr_kernarg_preload_length 0
		.amdhsa_user_sgpr_kernarg_preload_offset 0
		.amdhsa_user_sgpr_private_segment_size 0
		.amdhsa_uses_dynamic_stack 0
		.amdhsa_system_sgpr_private_segment_wavefront_offset 0
		.amdhsa_system_sgpr_workgroup_id_x 1
		.amdhsa_system_sgpr_workgroup_id_y 0
		.amdhsa_system_sgpr_workgroup_id_z 0
		.amdhsa_system_sgpr_workgroup_info 0
		.amdhsa_system_vgpr_workitem_id 0
		.amdhsa_next_free_vgpr 16
		.amdhsa_next_free_sgpr 27
		.amdhsa_accum_offset 16
		.amdhsa_reserve_vcc 1
		.amdhsa_reserve_flat_scratch 0
		.amdhsa_float_round_mode_32 0
		.amdhsa_float_round_mode_16_64 0
		.amdhsa_float_denorm_mode_32 3
		.amdhsa_float_denorm_mode_16_64 3
		.amdhsa_dx10_clamp 1
		.amdhsa_ieee_mode 1
		.amdhsa_fp16_overflow 0
		.amdhsa_tg_split 0
		.amdhsa_exception_fp_ieee_invalid_op 0
		.amdhsa_exception_fp_denorm_src 0
		.amdhsa_exception_fp_ieee_div_zero 0
		.amdhsa_exception_fp_ieee_overflow 0
		.amdhsa_exception_fp_ieee_underflow 0
		.amdhsa_exception_fp_ieee_inexact 0
		.amdhsa_exception_int_div_zero 0
	.end_amdhsa_kernel
	.section	.text._ZN2at6native12_GLOBAL__N_126LayerNormForwardCUDAKernelIffLb0EEEvlPKT_PKT0_S8_S5_S5_PS3_,"axG",@progbits,_ZN2at6native12_GLOBAL__N_126LayerNormForwardCUDAKernelIffLb0EEEvlPKT_PKT0_S8_S5_S5_PS3_,comdat
.Lfunc_end5:
	.size	_ZN2at6native12_GLOBAL__N_126LayerNormForwardCUDAKernelIffLb0EEEvlPKT_PKT0_S8_S5_S5_PS3_, .Lfunc_end5-_ZN2at6native12_GLOBAL__N_126LayerNormForwardCUDAKernelIffLb0EEEvlPKT_PKT0_S8_S5_S5_PS3_
                                        ; -- End function
	.section	.AMDGPU.csdata,"",@progbits
; Kernel info:
; codeLenInByte = 396
; NumSgprs: 31
; NumVgprs: 16
; NumAgprs: 0
; TotalNumVgprs: 16
; ScratchSize: 0
; MemoryBound: 0
; FloatMode: 240
; IeeeMode: 1
; LDSByteSize: 0 bytes/workgroup (compile time only)
; SGPRBlocks: 3
; VGPRBlocks: 1
; NumSGPRsForWavesPerEU: 31
; NumVGPRsForWavesPerEU: 16
; AccumOffset: 16
; Occupancy: 8
; WaveLimiterHint : 0
; COMPUTE_PGM_RSRC2:SCRATCH_EN: 0
; COMPUTE_PGM_RSRC2:USER_SGPR: 6
; COMPUTE_PGM_RSRC2:TRAP_HANDLER: 0
; COMPUTE_PGM_RSRC2:TGID_X_EN: 1
; COMPUTE_PGM_RSRC2:TGID_Y_EN: 0
; COMPUTE_PGM_RSRC2:TGID_Z_EN: 0
; COMPUTE_PGM_RSRC2:TIDIG_COMP_CNT: 0
; COMPUTE_PGM_RSRC3_GFX90A:ACCUM_OFFSET: 3
; COMPUTE_PGM_RSRC3_GFX90A:TG_SPLIT: 0
	.section	.text._ZN2at6native12_GLOBAL__N_128vectorized_layer_norm_kernelIN3c104HalfEfLb0EEEviT0_PKT_S8_S8_PS5_S9_PS6_,"axG",@progbits,_ZN2at6native12_GLOBAL__N_128vectorized_layer_norm_kernelIN3c104HalfEfLb0EEEviT0_PKT_S8_S8_PS5_S9_PS6_,comdat
	.globl	_ZN2at6native12_GLOBAL__N_128vectorized_layer_norm_kernelIN3c104HalfEfLb0EEEviT0_PKT_S8_S8_PS5_S9_PS6_ ; -- Begin function _ZN2at6native12_GLOBAL__N_128vectorized_layer_norm_kernelIN3c104HalfEfLb0EEEviT0_PKT_S8_S8_PS5_S9_PS6_
	.p2align	8
	.type	_ZN2at6native12_GLOBAL__N_128vectorized_layer_norm_kernelIN3c104HalfEfLb0EEEviT0_PKT_S8_S8_PS5_S9_PS6_,@function
_ZN2at6native12_GLOBAL__N_128vectorized_layer_norm_kernelIN3c104HalfEfLb0EEEviT0_PKT_S8_S8_PS5_S9_PS6_: ; @_ZN2at6native12_GLOBAL__N_128vectorized_layer_norm_kernelIN3c104HalfEfLb0EEEviT0_PKT_S8_S8_PS5_S9_PS6_
; %bb.0:
	s_load_dwordx4 s[16:19], s[4:5], 0x0
	s_load_dword s0, s[4:5], 0x44
	v_and_b32_e32 v1, 0x3ff, v0
	v_bfe_u32 v14, v0, 10, 10
	s_mov_b32 s7, 0
	s_waitcnt lgkmcnt(0)
	s_ashr_i32 s1, s16, 31
	s_lshr_b32 s27, s0, 16
	s_and_b32 s0, s0, 0xffff
	s_mul_i32 s20, s27, s0
	v_mul_u32_u24_e32 v0, s0, v14
	v_mad_u32_u24 v16, v14, s0, v1
	s_lshr_b32 s0, s1, 30
	s_add_i32 s0, s16, s0
	s_mul_hi_u32 s2, s16, s6
	s_mul_i32 s3, s1, s6
	s_ashr_i32 s26, s0, 2
	s_add_i32 s23, s2, s3
	s_mul_i32 s22, s16, s6
	v_cmp_gt_i32_e64 s[0:1], s26, v16
	v_mov_b32_e32 v9, 0
	v_add_lshl_u32 v0, v0, v1, 3
	v_mov_b32_e32 v3, 0
	v_mov_b32_e32 v2, 0
	s_and_saveexec_b64 s[12:13], s[0:1]
	s_cbranch_execz .LBB6_4
; %bb.1:
	s_lshl_b64 s[2:3], s[22:23], 1
	s_add_u32 s2, s18, s2
	s_addc_u32 s3, s19, s3
	v_mov_b32_e32 v2, s3
	v_add_co_u32_e32 v3, vcc, s2, v0
	v_addc_co_u32_e32 v2, vcc, 0, v2, vcc
	s_ashr_i32 s21, s20, 31
	v_add_co_u32_e32 v4, vcc, 4, v3
	s_lshl_b64 s[24:25], s[20:21], 3
	v_addc_co_u32_e32 v5, vcc, 0, v2, vcc
	s_mov_b64 s[14:15], 0
	v_mov_b32_e32 v9, 0
	v_mov_b32_e32 v6, s25
	;; [unrolled: 1-line block ×5, first 2 shown]
.LBB6_2:                                ; =>This Inner Loop Header: Depth=1
	global_load_dwordx2 v[10:11], v[4:5], off offset:-4
	v_add_f32_e32 v8, 1.0, v9
	v_add_u32_e32 v7, s20, v7
	v_div_scale_f32 v12, s[2:3], v8, v8, 1.0
	v_add_f32_e32 v15, 1.0, v8
	v_cmp_le_i32_e64 s[2:3], s26, v7
	v_rcp_f32_e32 v17, v12
	v_div_scale_f32 v18, s[8:9], v15, v15, 1.0
	v_add_f32_e32 v20, 1.0, v15
	s_or_b64 s[14:15], s[2:3], s[14:15]
	v_rcp_f32_e32 v21, v18
	v_div_scale_f32 v22, s[2:3], v20, v20, 1.0
	v_add_f32_e32 v9, 1.0, v20
	v_rcp_f32_e32 v24, v22
	v_div_scale_f32 v25, s[10:11], v9, v9, 1.0
	v_add_co_u32_e32 v4, vcc, s24, v4
	v_rcp_f32_e32 v27, v25
	v_addc_co_u32_e32 v5, vcc, v5, v6, vcc
	v_fma_f32 v28, -v12, v17, 1.0
	v_div_scale_f32 v13, vcc, 1.0, v8, 1.0
	v_fmac_f32_e32 v17, v28, v17
	v_fma_f32 v28, -v18, v21, 1.0
	v_div_scale_f32 v19, s[8:9], 1.0, v15, 1.0
	v_mul_f32_e32 v29, v13, v17
	v_fmac_f32_e32 v21, v28, v21
	v_fma_f32 v28, -v22, v24, 1.0
	v_div_scale_f32 v23, s[2:3], 1.0, v20, 1.0
	v_fma_f32 v30, -v12, v29, v13
	v_mul_f32_e32 v31, v19, v21
	v_fmac_f32_e32 v24, v28, v24
	v_fma_f32 v28, -v25, v27, 1.0
	v_div_scale_f32 v26, s[10:11], 1.0, v9, 1.0
	v_fmac_f32_e32 v29, v30, v17
	v_fma_f32 v30, -v18, v31, v19
	v_mul_f32_e32 v32, v23, v24
	v_fmac_f32_e32 v27, v28, v27
	v_fma_f32 v12, -v12, v29, v13
	v_fmac_f32_e32 v31, v30, v21
	v_fma_f32 v13, -v22, v32, v23
	v_mul_f32_e32 v28, v26, v27
	v_div_fmas_f32 v12, v12, v17, v29
	v_fma_f32 v17, -v18, v31, v19
	v_fmac_f32_e32 v32, v13, v24
	v_fma_f32 v13, -v25, v28, v26
	s_mov_b64 vcc, s[8:9]
	v_div_fixup_f32 v8, v12, v8, 1.0
	v_div_fmas_f32 v12, v17, v21, v31
	v_fma_f32 v17, -v22, v32, v23
	v_fmac_f32_e32 v28, v13, v27
	s_mov_b64 vcc, s[2:3]
	v_div_fixup_f32 v15, v12, v15, 1.0
	v_div_fmas_f32 v12, v17, v24, v32
	v_fma_f32 v13, -v25, v28, v26
	s_mov_b64 vcc, s[10:11]
	v_div_fixup_f32 v17, v12, v20, 1.0
	v_div_fmas_f32 v12, v13, v27, v28
	v_div_fixup_f32 v23, v12, v9, 1.0
	s_waitcnt vmcnt(0)
	v_cvt_f32_f16_e32 v12, v10
	v_cvt_f32_f16_sdwa v13, v10 dst_sel:DWORD dst_unused:UNUSED_PAD src0_sel:WORD_1
	v_cvt_f32_f16_e32 v18, v11
	v_cvt_f32_f16_sdwa v19, v11 dst_sel:DWORD dst_unused:UNUSED_PAD src0_sel:WORD_1
	v_sub_f32_e32 v10, v12, v2
	v_fmac_f32_e32 v2, v8, v10
	v_pk_add_f32 v[20:21], v[12:13], v[2:3] op_sel_hi:[1,0] neg_lo:[0,1] neg_hi:[0,1]
	v_fmac_f32_e32 v2, v15, v21
	v_sub_f32_e32 v11, v13, v2
	v_sub_f32_e32 v12, v18, v2
	v_mov_b32_e32 v22, v2
	v_pk_mul_f32 v[10:11], v[20:21], v[10:11]
	v_fmac_f32_e32 v22, v17, v12
	v_add_f32_e32 v2, v3, v10
	v_sub_f32_e32 v13, v19, v22
	v_add_f32_e32 v3, v2, v11
	v_fma_f32 v2, v23, v13, v22
	v_mov_b32_e32 v23, v2
	v_pk_add_f32 v[10:11], v[18:19], v[22:23] neg_lo:[0,1] neg_hi:[0,1]
	v_pk_mul_f32 v[10:11], v[12:13], v[10:11]
	v_add_f32_e32 v3, v3, v10
	v_add_f32_e32 v3, v3, v11
	s_andn2_b64 exec, exec, s[14:15]
	s_cbranch_execnz .LBB6_2
; %bb.3:
	s_or_b64 exec, exec, s[14:15]
.LBB6_4:
	s_or_b64 exec, exec, s[12:13]
	v_mbcnt_lo_u32_b32 v4, -1, 0
	v_mbcnt_hi_u32_b32 v15, -1, v4
	v_and_b32_e32 v17, 63, v15
	v_cmp_gt_u32_e32 vcc, 32, v17
	v_cndmask_b32_e64 v4, 0, 1, vcc
	v_lshlrev_b32_e32 v4, 5, v4
	v_add_lshl_u32 v4, v4, v15, 2
	ds_bpermute_b32 v10, v4, v9
	ds_bpermute_b32 v8, v4, v2
	;; [unrolled: 1-line block ×3, first 2 shown]
	v_mov_b32_e32 v6, 0
	v_mov_b32_e32 v4, 0
	s_waitcnt lgkmcnt(2)
	v_add_f32_e32 v12, v9, v10
	v_cmp_lt_f32_e32 vcc, 0, v12
	v_mov_b32_e32 v5, 0
	s_and_saveexec_b64 s[2:3], vcc
	s_cbranch_execz .LBB6_6
; %bb.5:
	v_div_scale_f32 v4, s[8:9], v12, v12, 1.0
	v_rcp_f32_e32 v5, v4
	s_waitcnt lgkmcnt(1)
	v_sub_f32_e32 v11, v2, v8
	s_waitcnt lgkmcnt(0)
	v_add_f32_e32 v3, v3, v7
	v_fma_f32 v13, -v4, v5, 1.0
	v_fmac_f32_e32 v5, v13, v5
	v_div_scale_f32 v13, vcc, 1.0, v12, 1.0
	v_mul_f32_e32 v18, v13, v5
	v_fma_f32 v19, -v4, v18, v13
	v_fmac_f32_e32 v18, v19, v5
	v_fma_f32 v4, -v4, v18, v13
	v_div_fmas_f32 v4, v4, v5, v18
	v_div_fixup_f32 v4, v4, v12, 1.0
	v_mul_f32_e32 v9, v9, v4
	v_mul_f32_e32 v5, v11, v11
	;; [unrolled: 1-line block ×3, first 2 shown]
	v_pk_mul_f32 v[4:5], v[4:5], v[10:11] op_sel_hi:[1,0]
	v_pk_fma_f32 v[4:5], v[4:5], v[8:9], v[2:3]
.LBB6_6:
	s_or_b64 exec, exec, s[2:3]
	v_cmp_gt_u32_e32 vcc, 48, v17
	v_cndmask_b32_e64 v2, 0, 1, vcc
	v_lshlrev_b32_e32 v2, 4, v2
	v_add_lshl_u32 v3, v2, v15, 2
	s_waitcnt lgkmcnt(1)
	ds_bpermute_b32 v8, v3, v12
	ds_bpermute_b32 v2, v3, v4
	ds_bpermute_b32 v11, v3, v5
	s_waitcnt lgkmcnt(3)
	v_mov_b32_e32 v7, 0
	s_waitcnt lgkmcnt(2)
	v_add_f32_e32 v9, v12, v8
	v_cmp_lt_f32_e32 vcc, 0, v9
	s_and_saveexec_b64 s[2:3], vcc
	s_cbranch_execz .LBB6_8
; %bb.7:
	v_div_scale_f32 v3, s[8:9], v9, v9, 1.0
	v_rcp_f32_e32 v6, v3
	s_waitcnt lgkmcnt(1)
	v_sub_f32_e32 v7, v4, v2
	v_mul_f32_e32 v7, v7, v7
	v_fma_f32 v10, -v3, v6, 1.0
	v_fmac_f32_e32 v6, v10, v6
	v_div_scale_f32 v10, vcc, 1.0, v9, 1.0
	v_mul_f32_e32 v13, v10, v6
	v_fma_f32 v18, -v3, v13, v10
	v_fmac_f32_e32 v13, v18, v6
	v_fma_f32 v3, -v3, v13, v10
	v_div_fmas_f32 v3, v3, v6, v13
	v_div_fixup_f32 v6, v3, v9, 1.0
	v_mul_f32_e32 v10, v12, v6
	s_waitcnt lgkmcnt(0)
	v_pk_mul_f32 v[12:13], v[4:5], v[10:11]
	v_pk_add_f32 v[4:5], v[4:5], v[10:11]
	v_mov_b32_e32 v13, v5
	v_pk_mul_f32 v[4:5], v[6:7], v[8:9] op_sel_hi:[1,0]
	v_mov_b32_e32 v3, v10
	v_pk_fma_f32 v[6:7], v[4:5], v[2:3], v[12:13]
.LBB6_8:
	s_or_b64 exec, exec, s[2:3]
	v_cmp_gt_u32_e32 vcc, 56, v17
	s_waitcnt lgkmcnt(1)
	v_cndmask_b32_e64 v2, 0, 1, vcc
	v_lshlrev_b32_e32 v2, 3, v2
	v_add_lshl_u32 v2, v2, v15, 2
	ds_bpermute_b32 v8, v2, v9
	ds_bpermute_b32 v10, v2, v6
	;; [unrolled: 1-line block ×3, first 2 shown]
	v_mov_b32_e32 v4, 0
	v_mov_b32_e32 v2, 0
	s_waitcnt lgkmcnt(2)
	v_add_f32_e32 v18, v9, v8
	v_cmp_lt_f32_e32 vcc, 0, v18
	v_mov_b32_e32 v3, 0
	s_and_saveexec_b64 s[2:3], vcc
	s_cbranch_execz .LBB6_10
; %bb.9:
	v_div_scale_f32 v2, s[8:9], v18, v18, 1.0
	v_rcp_f32_e32 v3, v2
	s_waitcnt lgkmcnt(1)
	v_sub_f32_e32 v5, v6, v10
	v_fma_f32 v11, -v2, v3, 1.0
	v_fmac_f32_e32 v3, v11, v3
	v_div_scale_f32 v11, vcc, 1.0, v18, 1.0
	v_mul_f32_e32 v12, v11, v3
	v_fma_f32 v19, -v2, v12, v11
	v_fmac_f32_e32 v12, v19, v3
	v_fma_f32 v2, -v2, v12, v11
	v_div_fmas_f32 v2, v2, v3, v12
	v_div_fixup_f32 v2, v2, v18, 1.0
	v_mul_f32_e32 v12, v9, v2
	s_waitcnt lgkmcnt(0)
	v_pk_mul_f32 v[20:21], v[6:7], v[12:13]
	v_pk_add_f32 v[6:7], v[6:7], v[12:13]
	v_mul_f32_e32 v3, v5, v5
	v_mov_b32_e32 v21, v7
	v_pk_mul_f32 v[2:3], v[2:3], v[8:9] op_sel_hi:[1,0]
	v_mov_b32_e32 v11, v12
	v_pk_fma_f32 v[2:3], v[2:3], v[10:11], v[20:21]
.LBB6_10:
	s_or_b64 exec, exec, s[2:3]
	v_cmp_gt_u32_e32 vcc, 60, v17
	v_cndmask_b32_e64 v5, 0, 1, vcc
	v_lshlrev_b32_e32 v5, 2, v5
	v_add_lshl_u32 v5, v5, v15, 2
	ds_bpermute_b32 v8, v5, v18
	ds_bpermute_b32 v6, v5, v2
	ds_bpermute_b32 v11, v5, v3
	v_mov_b32_e32 v5, 0
	s_waitcnt lgkmcnt(2)
	v_add_f32_e32 v9, v18, v8
	v_cmp_lt_f32_e32 vcc, 0, v9
	s_and_saveexec_b64 s[2:3], vcc
	s_cbranch_execz .LBB6_12
; %bb.11:
	v_div_scale_f32 v4, s[8:9], v9, v9, 1.0
	v_rcp_f32_e32 v5, v4
	s_waitcnt lgkmcnt(1)
	v_sub_f32_e32 v7, v2, v6
	v_fma_f32 v10, -v4, v5, 1.0
	v_fmac_f32_e32 v5, v10, v5
	v_div_scale_f32 v10, vcc, 1.0, v9, 1.0
	v_mul_f32_e32 v12, v10, v5
	v_fma_f32 v13, -v4, v12, v10
	v_fmac_f32_e32 v12, v13, v5
	v_fma_f32 v4, -v4, v12, v10
	v_div_fmas_f32 v4, v4, v5, v12
	v_div_fixup_f32 v4, v4, v9, 1.0
	v_mul_f32_e32 v10, v18, v4
	s_waitcnt lgkmcnt(0)
	v_pk_mul_f32 v[12:13], v[2:3], v[10:11]
	v_pk_add_f32 v[2:3], v[2:3], v[10:11]
	v_mul_f32_e32 v5, v7, v7
	v_mov_b32_e32 v13, v3
	v_pk_mul_f32 v[2:3], v[4:5], v[8:9] op_sel_hi:[1,0]
	v_mov_b32_e32 v7, v10
	v_pk_fma_f32 v[4:5], v[2:3], v[6:7], v[12:13]
.LBB6_12:
	s_or_b64 exec, exec, s[2:3]
	v_cmp_gt_u32_e32 vcc, 62, v17
	v_cndmask_b32_e64 v2, 0, 1, vcc
	v_lshlrev_b32_e32 v2, 1, v2
	v_add_lshl_u32 v3, v2, v15, 2
	ds_bpermute_b32 v8, v3, v9
	ds_bpermute_b32 v10, v3, v4
	;; [unrolled: 1-line block ×3, first 2 shown]
	v_mov_b32_e32 v2, 0
	s_waitcnt lgkmcnt(4)
	v_mov_b32_e32 v6, 0
	s_waitcnt lgkmcnt(2)
	v_add_f32_e32 v18, v9, v8
	v_cmp_lt_f32_e32 vcc, 0, v18
	v_mov_b32_e32 v7, 0
	s_and_saveexec_b64 s[2:3], vcc
	s_cbranch_execz .LBB6_14
; %bb.13:
	v_div_scale_f32 v3, s[8:9], v18, v18, 1.0
	v_rcp_f32_e32 v6, v3
	s_waitcnt lgkmcnt(1)
	v_sub_f32_e32 v7, v4, v10
	v_mul_f32_e32 v7, v7, v7
	v_fma_f32 v11, -v3, v6, 1.0
	v_fmac_f32_e32 v6, v11, v6
	v_div_scale_f32 v11, vcc, 1.0, v18, 1.0
	v_mul_f32_e32 v12, v11, v6
	v_fma_f32 v19, -v3, v12, v11
	v_fmac_f32_e32 v12, v19, v6
	v_fma_f32 v3, -v3, v12, v11
	v_div_fmas_f32 v3, v3, v6, v12
	v_div_fixup_f32 v6, v3, v18, 1.0
	v_mul_f32_e32 v12, v9, v6
	s_waitcnt lgkmcnt(0)
	v_pk_mul_f32 v[20:21], v[4:5], v[12:13]
	v_pk_add_f32 v[4:5], v[4:5], v[12:13]
	v_mov_b32_e32 v21, v5
	v_pk_mul_f32 v[4:5], v[6:7], v[8:9] op_sel_hi:[1,0]
	v_mov_b32_e32 v11, v12
	v_pk_fma_f32 v[6:7], v[4:5], v[10:11], v[20:21]
.LBB6_14:
	s_or_b64 exec, exec, s[2:3]
	v_cmp_ne_u32_e32 vcc, 63, v17
	v_addc_co_u32_e32 v3, vcc, 0, v15, vcc
	v_lshlrev_b32_e32 v3, 2, v3
	ds_bpermute_b32 v8, v3, v18
	ds_bpermute_b32 v4, v3, v6
	;; [unrolled: 1-line block ×3, first 2 shown]
	v_mov_b32_e32 v3, 0
	s_waitcnt lgkmcnt(2)
	v_add_f32_e32 v12, v18, v8
	v_cmp_lt_f32_e32 vcc, 0, v12
	s_and_saveexec_b64 s[2:3], vcc
	s_cbranch_execz .LBB6_16
; %bb.15:
	v_div_scale_f32 v2, s[8:9], v12, v12, 1.0
	v_rcp_f32_e32 v3, v2
	s_waitcnt lgkmcnt(1)
	v_sub_f32_e32 v5, v6, v4
	v_fma_f32 v9, -v2, v3, 1.0
	v_fmac_f32_e32 v3, v9, v3
	v_div_scale_f32 v9, vcc, 1.0, v12, 1.0
	v_mul_f32_e32 v10, v9, v3
	v_fma_f32 v13, -v2, v10, v9
	v_fmac_f32_e32 v10, v13, v3
	v_fma_f32 v2, -v2, v10, v9
	v_div_fmas_f32 v2, v2, v3, v10
	v_div_fixup_f32 v2, v2, v12, 1.0
	v_mul_f32_e32 v10, v18, v2
	s_waitcnt lgkmcnt(0)
	v_pk_mul_f32 v[18:19], v[6:7], v[10:11]
	v_pk_add_f32 v[6:7], v[6:7], v[10:11]
	v_mul_f32_e32 v3, v5, v5
	v_mov_b32_e32 v19, v7
	v_pk_mul_f32 v[2:3], v[2:3], v[8:9] op_sel_hi:[1,0]
	v_mov_b32_e32 v5, v10
	v_pk_fma_f32 v[2:3], v[2:3], v[4:5], v[18:19]
.LBB6_16:
	s_or_b64 exec, exec, s[2:3]
	s_cmp_lt_u32 s27, 2
	s_cbranch_scc0 .LBB6_18
; %bb.17:
	s_waitcnt lgkmcnt(1)
	v_lshlrev_b32_e32 v4, 2, v15
	v_and_b32_e32 v4, 0x100, v4
	ds_bpermute_b32 v5, v4, v3
	v_cvt_f32_i32_e32 v6, s16
	ds_bpermute_b32 v8, v4, v2
	s_waitcnt lgkmcnt(1)
	v_div_scale_f32 v7, s[2:3], v6, v6, v5
	v_rcp_f32_e32 v9, v7
	v_div_scale_f32 v4, vcc, v5, v6, v5
	v_fma_f32 v10, -v7, v9, 1.0
	v_fmac_f32_e32 v9, v10, v9
	v_mul_f32_e32 v10, v4, v9
	v_fma_f32 v11, -v7, v10, v4
	v_fmac_f32_e32 v10, v11, v9
	v_fma_f32 v4, -v7, v10, v4
	v_div_fmas_f32 v4, v4, v9, v10
	v_div_fixup_f32 v9, v4, v6, v5
	s_cbranch_execz .LBB6_19
	s_branch .LBB6_31
.LBB6_18:
                                        ; implicit-def: $vgpr8_vgpr9
.LBB6_19:
	s_lshl_b32 s2, s27, 2
	s_add_i32 s12, s2, 0
	v_cmp_eq_u32_e64 s[2:3], 0, v1
	v_lshl_add_u32 v6, v14, 2, s12
	v_lshl_add_u32 v7, v14, 3, 0
.LBB6_20:                               ; =>This Inner Loop Header: Depth=1
	s_lshr_b32 s13, s27, 1
	s_and_b32 s8, s27, 0xfffe
	v_cmp_le_u32_e32 vcc, s13, v14
	v_cmp_gt_u32_e64 s[8:9], s8, v14
	s_and_b64 s[8:9], vcc, s[8:9]
	s_and_b64 s[10:11], s[2:3], s[8:9]
	s_and_saveexec_b64 s[8:9], s[10:11]
	s_cbranch_execz .LBB6_22
; %bb.21:                               ;   in Loop: Header=BB6_20 Depth=1
	s_waitcnt lgkmcnt(1)
	v_subrev_u32_e32 v4, s13, v14
	v_lshl_add_u32 v5, v4, 3, 0
	v_lshl_add_u32 v4, v4, 2, s12
	ds_write2_b32 v5, v2, v3 offset1:1
	ds_write_b32 v4, v12
.LBB6_22:                               ;   in Loop: Header=BB6_20 Depth=1
	s_or_b64 exec, exec, s[8:9]
	v_cmp_gt_u32_e32 vcc, s13, v14
	s_and_b64 s[10:11], s[2:3], vcc
	s_waitcnt lgkmcnt(0)
	s_barrier
	s_and_saveexec_b64 s[8:9], s[10:11]
	s_cbranch_execz .LBB6_26
; %bb.23:                               ;   in Loop: Header=BB6_20 Depth=1
	ds_read_b32 v9, v6
	v_mov_b32_e32 v5, 0
	v_mov_b32_e32 v4, 0
	s_waitcnt lgkmcnt(0)
	v_add_f32_e32 v8, v12, v9
	v_cmp_lt_f32_e32 vcc, 0, v8
	s_and_saveexec_b64 s[10:11], vcc
	s_cbranch_execz .LBB6_25
; %bb.24:                               ;   in Loop: Header=BB6_20 Depth=1
	v_div_scale_f32 v10, s[14:15], v8, v8, 1.0
	v_rcp_f32_e32 v11, v10
	ds_read2_b32 v[4:5], v7 offset1:1
	v_fma_f32 v15, -v10, v11, 1.0
	v_fmac_f32_e32 v11, v15, v11
	v_div_scale_f32 v15, vcc, 1.0, v8, 1.0
	v_mul_f32_e32 v17, v15, v11
	v_fma_f32 v18, -v10, v17, v15
	v_fmac_f32_e32 v17, v18, v11
	v_fma_f32 v10, -v10, v17, v15
	v_div_fmas_f32 v10, v10, v11, v17
	s_waitcnt lgkmcnt(0)
	v_sub_f32_e32 v13, v2, v4
	v_div_fixup_f32 v10, v10, v8, 1.0
	v_mul_f32_e32 v11, v9, v10
	v_add_f32_e32 v5, v3, v5
	v_mul_f32_e32 v3, v13, v13
	v_mul_f32_e32 v10, v12, v10
	;; [unrolled: 1-line block ×4, first 2 shown]
	v_pk_fma_f32 v[4:5], v[2:3], v[10:11], v[4:5] op_sel_hi:[1,0,1]
.LBB6_25:                               ;   in Loop: Header=BB6_20 Depth=1
	s_or_b64 exec, exec, s[10:11]
	v_mov_b32_e32 v12, v8
	v_mov_b32_e32 v2, v4
	;; [unrolled: 1-line block ×3, first 2 shown]
.LBB6_26:                               ;   in Loop: Header=BB6_20 Depth=1
	s_or_b64 exec, exec, s[8:9]
	s_cmp_lt_u32 s27, 4
	s_barrier
	s_cbranch_scc1 .LBB6_28
; %bb.27:                               ;   in Loop: Header=BB6_20 Depth=1
	s_mov_b32 s27, s13
	s_branch .LBB6_20
.LBB6_28:
	v_or_b32_e32 v1, v1, v14
	v_cmp_eq_u32_e32 vcc, 0, v1
	s_and_saveexec_b64 s[2:3], vcc
	s_cbranch_execz .LBB6_30
; %bb.29:
	v_cvt_f32_i32_e32 v1, s16
	v_div_scale_f32 v4, s[8:9], v1, v1, v3
	v_rcp_f32_e32 v5, v4
	v_div_scale_f32 v6, vcc, v3, v1, v3
	v_fma_f32 v7, -v4, v5, 1.0
	v_fmac_f32_e32 v5, v7, v5
	v_mul_f32_e32 v7, v6, v5
	v_fma_f32 v8, -v4, v7, v6
	v_fmac_f32_e32 v7, v8, v5
	v_fma_f32 v4, -v4, v7, v6
	v_div_fmas_f32 v4, v4, v5, v7
	v_div_fixup_f32 v1, v4, v1, v3
	v_mov_b32_e32 v3, 0
	ds_write2_b32 v3, v2, v1 offset1:1
.LBB6_30:
	s_or_b64 exec, exec, s[2:3]
	v_mov_b32_e32 v1, 0
	s_waitcnt lgkmcnt(0)
	s_barrier
	ds_read2_b32 v[8:9], v1 offset1:1
.LBB6_31:
	s_waitcnt lgkmcnt(0)
	v_add_f32_e32 v1, s17, v9
	s_mov_b32 s2, 0x800000
	v_mul_f32_e32 v2, 0x4b800000, v1
	v_cmp_gt_f32_e32 vcc, s2, v1
	v_cndmask_b32_e32 v1, v1, v2, vcc
	v_rsq_f32_e32 v1, v1
	s_load_dwordx8 s[8:15], s[4:5], 0x10
	s_load_dwordx2 s[24:25], s[4:5], 0x30
	v_mul_f32_e32 v2, 0x45800000, v1
	v_cndmask_b32_e32 v10, v1, v2, vcc
	s_and_saveexec_b64 s[2:3], s[0:1]
	s_cbranch_execz .LBB6_46
; %bb.32:
	s_waitcnt lgkmcnt(0)
	s_cmp_eq_u64 s[8:9], 0
	s_cselect_b64 s[16:17], -1, 0
	s_cmp_eq_u64 s[10:11], 0
	s_cselect_b64 s[0:1], -1, 0
	s_lshl_b64 s[22:23], s[22:23], 1
	s_add_u32 s27, s24, s22
	s_addc_u32 s28, s25, s23
	s_add_u32 s29, s18, s22
	s_addc_u32 s24, s19, s23
	v_cndmask_b32_e64 v4, 0, 1, s[0:1]
	s_ashr_i32 s21, s20, 31
	s_mov_b64 s[4:5], 0
	s_or_b64 s[18:19], s[16:17], s[0:1]
	v_mov_b32_e32 v11, v10
	v_mov_b32_e32 v12, v10
	;; [unrolled: 1-line block ×7, first 2 shown]
	s_lshl_b64 s[22:23], s[20:21], 3
	v_mov_b32_e32 v17, s24
	v_cmp_ne_u32_e64 s[0:1], 1, v4
	v_mov_b32_e32 v18, v16
	s_branch .LBB6_34
.LBB6_33:                               ;   in Loop: Header=BB6_34 Depth=1
	v_cvt_f16_f32_e32 v7, v7
	v_cvt_f16_f32_e32 v6, v6
	s_waitcnt vmcnt(0)
	v_cvt_f16_f32_e32 v14, v5
	v_cvt_f16_f32_e32 v4, v4
	v_add_u32_e32 v18, s20, v18
	v_pack_b32_f16 v5, v6, v7
	v_mov_b32_e32 v7, s28
	v_add_co_u32_e32 v6, vcc, s27, v0
	v_addc_co_u32_e32 v7, vcc, v7, v9, vcc
	v_pack_b32_f16 v4, v4, v14
	v_cmp_le_i32_e32 vcc, s26, v18
	global_store_dwordx2 v[6:7], v[4:5], off
	v_mov_b32_e32 v4, s23
	s_or_b64 s[4:5], vcc, s[4:5]
	v_add_co_u32_e32 v0, vcc, s22, v0
	v_addc_co_u32_e32 v9, vcc, v9, v4, vcc
	s_andn2_b64 exec, exec, s[4:5]
	s_cbranch_execz .LBB6_46
.LBB6_34:                               ; =>This Inner Loop Header: Depth=1
	v_add_co_u32_e32 v4, vcc, s29, v0
	v_addc_co_u32_e32 v5, vcc, v17, v9, vcc
	global_load_dwordx2 v[14:15], v[4:5], off
	s_and_b64 vcc, exec, s[18:19]
	s_cbranch_vccz .LBB6_38
; %bb.35:                               ;   in Loop: Header=BB6_34 Depth=1
	s_and_b64 vcc, exec, s[16:17]
	s_cbranch_vccz .LBB6_39
; %bb.36:                               ;   in Loop: Header=BB6_34 Depth=1
	s_and_b64 vcc, exec, s[0:1]
	s_cbranch_vccnz .LBB6_40
; %bb.37:                               ;   in Loop: Header=BB6_34 Depth=1
	s_waitcnt vmcnt(0)
	v_cvt_f32_f16_e32 v4, v14
	v_cvt_f32_f16_sdwa v5, v14 dst_sel:DWORD dst_unused:UNUSED_PAD src0_sel:WORD_1
	v_cvt_f32_f16_e32 v6, v15
	v_cvt_f32_f16_sdwa v7, v15 dst_sel:DWORD dst_unused:UNUSED_PAD src0_sel:WORD_1
	v_sub_f32_e32 v4, v4, v8
	v_sub_f32_e32 v5, v5, v1
	;; [unrolled: 1-line block ×4, first 2 shown]
	v_pk_mul_f32 v[6:7], v[12:13], v[6:7]
	v_pk_mul_f32 v[4:5], v[10:11], v[4:5]
	s_cbranch_execz .LBB6_41
	s_branch .LBB6_42
.LBB6_38:                               ;   in Loop: Header=BB6_34 Depth=1
                                        ; implicit-def: $vgpr4_vgpr5_vgpr6_vgpr7
	s_branch .LBB6_45
.LBB6_39:                               ;   in Loop: Header=BB6_34 Depth=1
                                        ; implicit-def: $vgpr4_vgpr5_vgpr6_vgpr7
	s_branch .LBB6_43
.LBB6_40:                               ;   in Loop: Header=BB6_34 Depth=1
                                        ; implicit-def: $vgpr4_vgpr5_vgpr6_vgpr7
.LBB6_41:                               ;   in Loop: Header=BB6_34 Depth=1
	v_mov_b32_e32 v5, s11
	v_add_co_u32_e32 v4, vcc, s10, v0
	v_addc_co_u32_e32 v5, vcc, v5, v9, vcc
	global_load_dwordx2 v[4:5], v[4:5], off
	s_waitcnt vmcnt(1)
	v_cvt_f32_f16_e32 v6, v14
	v_cvt_f32_f16_sdwa v7, v14 dst_sel:DWORD dst_unused:UNUSED_PAD src0_sel:WORD_1
	v_cvt_f32_f16_sdwa v19, v15 dst_sel:DWORD dst_unused:UNUSED_PAD src0_sel:WORD_1
	v_cvt_f32_f16_e32 v24, v15
	v_sub_f32_e32 v20, v6, v8
	v_sub_f32_e32 v21, v7, v1
	s_waitcnt vmcnt(0)
	v_cvt_f32_f16_e32 v22, v4
	v_cvt_f32_f16_e32 v6, v5
	v_cvt_f32_f16_sdwa v7, v5 dst_sel:DWORD dst_unused:UNUSED_PAD src0_sel:WORD_1
	v_cvt_f32_f16_sdwa v23, v4 dst_sel:DWORD dst_unused:UNUSED_PAD src0_sel:WORD_1
	v_sub_f32_e32 v4, v24, v2
	v_sub_f32_e32 v5, v19, v3
	v_pk_fma_f32 v[6:7], v[12:13], v[4:5], v[6:7]
	v_pk_fma_f32 v[4:5], v[10:11], v[20:21], v[22:23]
.LBB6_42:                               ;   in Loop: Header=BB6_34 Depth=1
	s_cbranch_execnz .LBB6_44
.LBB6_43:                               ;   in Loop: Header=BB6_34 Depth=1
	v_mov_b32_e32 v5, s9
	v_add_co_u32_e32 v4, vcc, s8, v0
	v_addc_co_u32_e32 v5, vcc, v5, v9, vcc
	global_load_dwordx2 v[4:5], v[4:5], off
	s_waitcnt vmcnt(1)
	v_cvt_f32_f16_e32 v6, v15
	v_cvt_f32_f16_sdwa v7, v15 dst_sel:DWORD dst_unused:UNUSED_PAD src0_sel:WORD_1
	v_cvt_f32_f16_e32 v19, v14
	v_cvt_f32_f16_sdwa v21, v14 dst_sel:DWORD dst_unused:UNUSED_PAD src0_sel:WORD_1
	v_sub_f32_e32 v6, v6, v2
	v_sub_f32_e32 v7, v7, v3
	;; [unrolled: 1-line block ×4, first 2 shown]
	v_pk_mul_f32 v[6:7], v[12:13], v[6:7]
	s_waitcnt vmcnt(0)
	v_cvt_f32_f16_e32 v22, v4
	v_cvt_f32_f16_e32 v24, v5
	v_cvt_f32_f16_sdwa v25, v5 dst_sel:DWORD dst_unused:UNUSED_PAD src0_sel:WORD_1
	v_cvt_f32_f16_sdwa v23, v4 dst_sel:DWORD dst_unused:UNUSED_PAD src0_sel:WORD_1
	v_pk_mul_f32 v[4:5], v[10:11], v[20:21]
	v_pk_mul_f32 v[6:7], v[6:7], v[24:25]
	;; [unrolled: 1-line block ×3, first 2 shown]
.LBB6_44:                               ;   in Loop: Header=BB6_34 Depth=1
	s_cbranch_execnz .LBB6_33
.LBB6_45:                               ;   in Loop: Header=BB6_34 Depth=1
	v_mov_b32_e32 v5, s9
	v_add_co_u32_e32 v4, vcc, s8, v0
	v_addc_co_u32_e32 v5, vcc, v5, v9, vcc
	v_mov_b32_e32 v7, s11
	v_add_co_u32_e32 v6, vcc, s10, v0
	v_addc_co_u32_e32 v7, vcc, v7, v9, vcc
	global_load_dwordx2 v[4:5], v[4:5], off
	s_waitcnt vmcnt(1)
	v_cvt_f32_f16_e32 v19, v15
	global_load_dwordx2 v[6:7], v[6:7], off
	v_cvt_f32_f16_sdwa v15, v15 dst_sel:DWORD dst_unused:UNUSED_PAD src0_sel:WORD_1
	v_cvt_f32_f16_e32 v20, v14
	v_cvt_f32_f16_sdwa v21, v14 dst_sel:DWORD dst_unused:UNUSED_PAD src0_sel:WORD_1
	v_sub_f32_e32 v14, v19, v2
	v_sub_f32_e32 v15, v15, v3
	v_sub_f32_e32 v20, v20, v8
	v_sub_f32_e32 v21, v21, v1
	v_pk_mul_f32 v[20:21], v[10:11], v[20:21]
	s_waitcnt vmcnt(1)
	v_cvt_f32_f16_e32 v22, v4
	v_cvt_f32_f16_sdwa v23, v4 dst_sel:DWORD dst_unused:UNUSED_PAD src0_sel:WORD_1
	v_cvt_f32_f16_e32 v4, v5
	v_cvt_f32_f16_sdwa v5, v5 dst_sel:DWORD dst_unused:UNUSED_PAD src0_sel:WORD_1
	s_waitcnt vmcnt(0)
	v_cvt_f32_f16_e32 v24, v6
	v_cvt_f32_f16_e32 v26, v7
	v_cvt_f32_f16_sdwa v27, v7 dst_sel:DWORD dst_unused:UNUSED_PAD src0_sel:WORD_1
	v_cvt_f32_f16_sdwa v25, v6 dst_sel:DWORD dst_unused:UNUSED_PAD src0_sel:WORD_1
	v_pk_mul_f32 v[6:7], v[12:13], v[14:15]
	v_pk_fma_f32 v[6:7], v[6:7], v[4:5], v[26:27]
	v_pk_fma_f32 v[4:5], v[20:21], v[22:23], v[24:25]
	s_branch .LBB6_33
.LBB6_46:
	s_or_b64 exec, exec, s[2:3]
	v_cmp_eq_u32_e32 vcc, 0, v16
	s_and_saveexec_b64 s[0:1], vcc
	s_cbranch_execz .LBB6_48
; %bb.47:
	s_lshl_b64 s[0:1], s[6:7], 2
	s_waitcnt lgkmcnt(0)
	s_add_u32 s2, s12, s0
	s_addc_u32 s3, s13, s1
	v_mov_b32_e32 v0, 0
	s_add_u32 s0, s14, s0
	s_addc_u32 s1, s15, s1
	global_store_dword v0, v8, s[2:3]
	global_store_dword v0, v10, s[0:1]
.LBB6_48:
	s_endpgm
	.section	.rodata,"a",@progbits
	.p2align	6, 0x0
	.amdhsa_kernel _ZN2at6native12_GLOBAL__N_128vectorized_layer_norm_kernelIN3c104HalfEfLb0EEEviT0_PKT_S8_S8_PS5_S9_PS6_
		.amdhsa_group_segment_fixed_size 0
		.amdhsa_private_segment_fixed_size 0
		.amdhsa_kernarg_size 312
		.amdhsa_user_sgpr_count 6
		.amdhsa_user_sgpr_private_segment_buffer 1
		.amdhsa_user_sgpr_dispatch_ptr 0
		.amdhsa_user_sgpr_queue_ptr 0
		.amdhsa_user_sgpr_kernarg_segment_ptr 1
		.amdhsa_user_sgpr_dispatch_id 0
		.amdhsa_user_sgpr_flat_scratch_init 0
		.amdhsa_user_sgpr_kernarg_preload_length 0
		.amdhsa_user_sgpr_kernarg_preload_offset 0
		.amdhsa_user_sgpr_private_segment_size 0
		.amdhsa_uses_dynamic_stack 0
		.amdhsa_system_sgpr_private_segment_wavefront_offset 0
		.amdhsa_system_sgpr_workgroup_id_x 1
		.amdhsa_system_sgpr_workgroup_id_y 0
		.amdhsa_system_sgpr_workgroup_id_z 0
		.amdhsa_system_sgpr_workgroup_info 0
		.amdhsa_system_vgpr_workitem_id 1
		.amdhsa_next_free_vgpr 33
		.amdhsa_next_free_sgpr 30
		.amdhsa_accum_offset 36
		.amdhsa_reserve_vcc 1
		.amdhsa_reserve_flat_scratch 0
		.amdhsa_float_round_mode_32 0
		.amdhsa_float_round_mode_16_64 0
		.amdhsa_float_denorm_mode_32 3
		.amdhsa_float_denorm_mode_16_64 3
		.amdhsa_dx10_clamp 1
		.amdhsa_ieee_mode 1
		.amdhsa_fp16_overflow 0
		.amdhsa_tg_split 0
		.amdhsa_exception_fp_ieee_invalid_op 0
		.amdhsa_exception_fp_denorm_src 0
		.amdhsa_exception_fp_ieee_div_zero 0
		.amdhsa_exception_fp_ieee_overflow 0
		.amdhsa_exception_fp_ieee_underflow 0
		.amdhsa_exception_fp_ieee_inexact 0
		.amdhsa_exception_int_div_zero 0
	.end_amdhsa_kernel
	.section	.text._ZN2at6native12_GLOBAL__N_128vectorized_layer_norm_kernelIN3c104HalfEfLb0EEEviT0_PKT_S8_S8_PS5_S9_PS6_,"axG",@progbits,_ZN2at6native12_GLOBAL__N_128vectorized_layer_norm_kernelIN3c104HalfEfLb0EEEviT0_PKT_S8_S8_PS5_S9_PS6_,comdat
.Lfunc_end6:
	.size	_ZN2at6native12_GLOBAL__N_128vectorized_layer_norm_kernelIN3c104HalfEfLb0EEEviT0_PKT_S8_S8_PS5_S9_PS6_, .Lfunc_end6-_ZN2at6native12_GLOBAL__N_128vectorized_layer_norm_kernelIN3c104HalfEfLb0EEEviT0_PKT_S8_S8_PS5_S9_PS6_
                                        ; -- End function
	.section	.AMDGPU.csdata,"",@progbits
; Kernel info:
; codeLenInByte = 3424
; NumSgprs: 34
; NumVgprs: 33
; NumAgprs: 0
; TotalNumVgprs: 33
; ScratchSize: 0
; MemoryBound: 0
; FloatMode: 240
; IeeeMode: 1
; LDSByteSize: 0 bytes/workgroup (compile time only)
; SGPRBlocks: 4
; VGPRBlocks: 4
; NumSGPRsForWavesPerEU: 34
; NumVGPRsForWavesPerEU: 33
; AccumOffset: 36
; Occupancy: 8
; WaveLimiterHint : 0
; COMPUTE_PGM_RSRC2:SCRATCH_EN: 0
; COMPUTE_PGM_RSRC2:USER_SGPR: 6
; COMPUTE_PGM_RSRC2:TRAP_HANDLER: 0
; COMPUTE_PGM_RSRC2:TGID_X_EN: 1
; COMPUTE_PGM_RSRC2:TGID_Y_EN: 0
; COMPUTE_PGM_RSRC2:TGID_Z_EN: 0
; COMPUTE_PGM_RSRC2:TIDIG_COMP_CNT: 1
; COMPUTE_PGM_RSRC3_GFX90A:ACCUM_OFFSET: 8
; COMPUTE_PGM_RSRC3_GFX90A:TG_SPLIT: 0
	.section	.text._ZN2at6native12_GLOBAL__N_124RowwiseMomentsCUDAKernelIN3c104HalfEfLb0EEEvlT0_PKT_PS5_S9_,"axG",@progbits,_ZN2at6native12_GLOBAL__N_124RowwiseMomentsCUDAKernelIN3c104HalfEfLb0EEEvlT0_PKT_PS5_S9_,comdat
	.globl	_ZN2at6native12_GLOBAL__N_124RowwiseMomentsCUDAKernelIN3c104HalfEfLb0EEEvlT0_PKT_PS5_S9_ ; -- Begin function _ZN2at6native12_GLOBAL__N_124RowwiseMomentsCUDAKernelIN3c104HalfEfLb0EEEvlT0_PKT_PS5_S9_
	.p2align	8
	.type	_ZN2at6native12_GLOBAL__N_124RowwiseMomentsCUDAKernelIN3c104HalfEfLb0EEEvlT0_PKT_PS5_S9_,@function
_ZN2at6native12_GLOBAL__N_124RowwiseMomentsCUDAKernelIN3c104HalfEfLb0EEEvlT0_PKT_PS5_S9_: ; @_ZN2at6native12_GLOBAL__N_124RowwiseMomentsCUDAKernelIN3c104HalfEfLb0EEEvlT0_PKT_PS5_S9_
; %bb.0:
	s_load_dwordx2 s[10:11], s[4:5], 0x0
	s_load_dwordx4 s[0:3], s[4:5], 0x10
	s_load_dwordx2 s[8:9], s[4:5], 0x20
	s_mov_b32 s7, 0
	v_mov_b32_e32 v1, 0
	s_mov_b32 s12, s7
	s_mov_b32 s13, s7
	s_waitcnt lgkmcnt(0)
	v_cmp_gt_i64_e32 vcc, s[10:11], v[0:1]
	v_pk_mov_b32 v[2:3], s[12:13], s[12:13] op_sel:[0,1]
	v_pk_mov_b32 v[4:5], 0, 0
	s_and_saveexec_b64 s[12:13], vcc
	s_cbranch_execz .LBB7_4
; %bb.1:
	s_load_dword s14, s[4:5], 0x34
	s_mul_i32 s15, s11, s6
	s_mul_hi_u32 s16, s10, s6
	s_add_i32 s15, s16, s15
	v_lshlrev_b32_e32 v2, 1, v0
	s_waitcnt lgkmcnt(0)
	s_and_b32 s16, s14, 0xffff
	s_mul_i32 s14, s10, s6
	s_lshl_b64 s[14:15], s[14:15], 1
	s_add_u32 s0, s0, s14
	s_addc_u32 s1, s1, s15
	v_mov_b32_e32 v3, s1
	v_add_co_u32_e32 v6, vcc, s0, v2
	v_addc_co_u32_e32 v7, vcc, 0, v3, vcc
	s_lshl_b32 s17, s16, 1
	s_mov_b64 s[0:1], 0
	v_mov_b32_e32 v2, 0
	v_mov_b32_e32 v10, s7
	;; [unrolled: 1-line block ×3, first 2 shown]
	v_pk_mov_b32 v[8:9], v[0:1], v[0:1] op_sel:[0,1]
	s_mov_b64 s[14:15], 0
	v_mov_b32_e32 v3, 0
.LBB7_2:                                ; =>This Inner Loop Header: Depth=1
	global_load_ushort v1, v[6:7], off
	s_add_u32 s14, s14, 1
	s_addc_u32 s15, s15, 0
	s_flbit_i32_b32 s18, s15
	s_min_u32 s20, s18, 32
	s_lshl_b64 s[18:19], s[14:15], s20
	s_min_u32 s18, s18, 1
	s_or_b32 s18, s19, s18
	v_cvt_f32_u32_e32 v12, s18
	s_sub_i32 s20, 32, s20
	v_add_co_u32_e32 v8, vcc, s16, v8
	v_addc_co_u32_e32 v9, vcc, v9, v10, vcc
	v_add_co_u32_e32 v6, vcc, s17, v6
	v_addc_co_u32_e32 v7, vcc, v7, v11, vcc
	v_cmp_le_i64_e32 vcc, s[10:11], v[8:9]
	s_or_b64 s[0:1], vcc, s[0:1]
	v_pk_mov_b32 v[4:5], s[14:15], s[14:15] op_sel:[0,1]
	s_waitcnt vmcnt(0)
	v_cvt_f32_f16_e32 v13, v1
	v_ldexp_f32 v1, v12, s20
	v_sub_f32_e32 v12, v13, v3
	v_div_scale_f32 v14, s[18:19], v1, v1, v12
	v_rcp_f32_e32 v15, v14
	v_div_scale_f32 v16, vcc, v12, v1, v12
	v_fma_f32 v17, -v14, v15, 1.0
	v_fmac_f32_e32 v15, v17, v15
	v_mul_f32_e32 v17, v16, v15
	v_fma_f32 v18, -v14, v17, v16
	v_fmac_f32_e32 v17, v18, v15
	v_fma_f32 v14, -v14, v17, v16
	v_div_fmas_f32 v14, v14, v15, v17
	v_div_fixup_f32 v14, v14, v1, v12
	v_add_f32_e32 v3, v3, v14
	v_sub_f32_e32 v13, v13, v3
	v_fmac_f32_e32 v2, v12, v13
	s_andn2_b64 exec, exec, s[0:1]
	s_cbranch_execnz .LBB7_2
; %bb.3:
	s_or_b64 exec, exec, s[0:1]
.LBB7_4:
	s_or_b64 exec, exec, s[12:13]
	v_mbcnt_lo_u32_b32 v6, -1, 0
	v_mbcnt_hi_u32_b32 v14, -1, v6
	v_and_b32_e32 v15, 63, v14
	v_cmp_gt_u32_e32 vcc, 32, v15
	v_cndmask_b32_e64 v6, 0, 1, vcc
	v_lshlrev_b32_e32 v6, 5, v6
	v_add_lshl_u32 v10, v6, v14, 2
	ds_bpermute_b32 v7, v10, v3
	ds_bpermute_b32 v6, v10, v2
	;; [unrolled: 1-line block ×5, first 2 shown]
	v_cmp_neq_f32_e32 vcc, 0, v1
	s_and_saveexec_b64 s[0:1], vcc
	s_xor_b64 s[0:1], exec, s[0:1]
	s_cbranch_execz .LBB7_8
; %bb.5:
	s_waitcnt lgkmcnt(0)
	v_cmp_neq_f32_e32 vcc, 0, v11
	s_and_saveexec_b64 s[10:11], vcc
	s_cbranch_execz .LBB7_7
; %bb.6:
	v_add_f32_e32 v9, v1, v11
	v_div_scale_f32 v8, s[12:13], v9, v9, v11
	v_rcp_f32_e32 v12, v8
	v_pk_add_f32 v[4:5], v[6:7], v[2:3] neg_lo:[0,1] neg_hi:[0,1]
	v_pk_add_f32 v[6:7], v[2:3], v[6:7]
	v_mul_f32_e32 v2, v5, v5
	v_fma_f32 v4, -v8, v12, 1.0
	v_fmac_f32_e32 v12, v4, v12
	v_div_scale_f32 v4, vcc, v11, v9, v11
	v_mul_f32_e32 v13, v4, v12
	v_fma_f32 v16, -v8, v13, v4
	v_fmac_f32_e32 v13, v16, v12
	v_fma_f32 v4, -v8, v13, v4
	v_div_fmas_f32 v4, v4, v12, v13
	v_div_fixup_f32 v8, v4, v9, v11
	v_mul_f32_e32 v4, v1, v2
	v_mov_b32_e32 v7, v3
	v_pk_fma_f32 v[2:3], v[4:5], v[8:9], v[6:7] op_sel_hi:[1,0,1]
	v_pk_mov_b32 v[4:5], -1, -1
	v_mov_b32_e32 v1, v9
.LBB7_7:
	s_or_b64 exec, exec, s[10:11]
                                        ; implicit-def: $vgpr6_vgpr7
                                        ; implicit-def: $vgpr8
                                        ; implicit-def: $vgpr11
.LBB7_8:
	s_andn2_saveexec_b64 s[0:1], s[0:1]
	s_cbranch_execz .LBB7_10
; %bb.9:
	s_waitcnt lgkmcnt(0)
	v_mov_b32_e32 v1, v11
	v_pk_mov_b32 v[4:5], v[8:9], v[8:9] op_sel:[0,1]
	v_pk_mov_b32 v[2:3], v[6:7], v[6:7] op_sel:[0,1]
.LBB7_10:
	s_or_b64 exec, exec, s[0:1]
	v_cmp_gt_u32_e32 vcc, 48, v15
	s_waitcnt lgkmcnt(3)
	v_cndmask_b32_e64 v6, 0, 1, vcc
	v_lshlrev_b32_e32 v6, 4, v6
	s_waitcnt lgkmcnt(0)
	v_add_lshl_u32 v11, v6, v14, 2
	ds_bpermute_b32 v7, v11, v3
	ds_bpermute_b32 v6, v11, v2
	;; [unrolled: 1-line block ×5, first 2 shown]
	v_cmp_neq_f32_e32 vcc, 0, v1
	s_and_saveexec_b64 s[0:1], vcc
	s_xor_b64 s[0:1], exec, s[0:1]
	s_cbranch_execz .LBB7_14
; %bb.11:
	s_waitcnt lgkmcnt(0)
	v_cmp_neq_f32_e32 vcc, 0, v12
	s_and_saveexec_b64 s[10:11], vcc
	s_cbranch_execz .LBB7_13
; %bb.12:
	v_add_f32_e32 v9, v1, v12
	v_div_scale_f32 v8, s[12:13], v9, v9, v12
	v_rcp_f32_e32 v13, v8
	v_pk_add_f32 v[4:5], v[6:7], v[2:3] neg_lo:[0,1] neg_hi:[0,1]
	v_pk_add_f32 v[6:7], v[2:3], v[6:7]
	v_mul_f32_e32 v2, v5, v5
	v_fma_f32 v4, -v8, v13, 1.0
	v_fmac_f32_e32 v13, v4, v13
	v_div_scale_f32 v4, vcc, v12, v9, v12
	v_mul_f32_e32 v16, v4, v13
	v_fma_f32 v17, -v8, v16, v4
	v_fmac_f32_e32 v16, v17, v13
	v_fma_f32 v4, -v8, v16, v4
	v_div_fmas_f32 v4, v4, v13, v16
	v_div_fixup_f32 v8, v4, v9, v12
	v_mul_f32_e32 v4, v1, v2
	v_mov_b32_e32 v7, v3
	v_pk_fma_f32 v[2:3], v[4:5], v[8:9], v[6:7] op_sel_hi:[1,0,1]
	v_pk_mov_b32 v[4:5], -1, -1
	v_mov_b32_e32 v1, v9
.LBB7_13:
	s_or_b64 exec, exec, s[10:11]
                                        ; implicit-def: $vgpr6_vgpr7
                                        ; implicit-def: $vgpr8
                                        ; implicit-def: $vgpr12
.LBB7_14:
	s_andn2_saveexec_b64 s[0:1], s[0:1]
	s_cbranch_execz .LBB7_16
; %bb.15:
	s_waitcnt lgkmcnt(0)
	v_mov_b32_e32 v1, v12
	v_pk_mov_b32 v[4:5], v[8:9], v[8:9] op_sel:[0,1]
	v_pk_mov_b32 v[2:3], v[6:7], v[6:7] op_sel:[0,1]
.LBB7_16:
	s_or_b64 exec, exec, s[0:1]
	v_cmp_gt_u32_e32 vcc, 56, v15
	s_waitcnt lgkmcnt(3)
	v_cndmask_b32_e64 v6, 0, 1, vcc
	v_lshlrev_b32_e32 v6, 3, v6
	s_waitcnt lgkmcnt(0)
	v_add_lshl_u32 v12, v6, v14, 2
	ds_bpermute_b32 v7, v12, v3
	ds_bpermute_b32 v6, v12, v2
	ds_bpermute_b32 v8, v12, v4
	ds_bpermute_b32 v9, v12, v5
	ds_bpermute_b32 v13, v12, v1
	v_cmp_neq_f32_e32 vcc, 0, v1
	s_and_saveexec_b64 s[0:1], vcc
	s_xor_b64 s[0:1], exec, s[0:1]
	s_cbranch_execz .LBB7_20
; %bb.17:
	s_waitcnt lgkmcnt(0)
	v_cmp_neq_f32_e32 vcc, 0, v13
	s_and_saveexec_b64 s[10:11], vcc
	s_cbranch_execz .LBB7_19
; %bb.18:
	v_add_f32_e32 v9, v1, v13
	v_div_scale_f32 v8, s[12:13], v9, v9, v13
	v_rcp_f32_e32 v16, v8
	v_pk_add_f32 v[4:5], v[6:7], v[2:3] neg_lo:[0,1] neg_hi:[0,1]
	v_pk_add_f32 v[6:7], v[2:3], v[6:7]
	v_mul_f32_e32 v2, v5, v5
	v_fma_f32 v4, -v8, v16, 1.0
	v_fmac_f32_e32 v16, v4, v16
	v_div_scale_f32 v4, vcc, v13, v9, v13
	v_mul_f32_e32 v17, v4, v16
	v_fma_f32 v18, -v8, v17, v4
	v_fmac_f32_e32 v17, v18, v16
	v_fma_f32 v4, -v8, v17, v4
	v_div_fmas_f32 v4, v4, v16, v17
	v_div_fixup_f32 v8, v4, v9, v13
	v_mul_f32_e32 v4, v1, v2
	v_mov_b32_e32 v7, v3
	v_pk_fma_f32 v[2:3], v[4:5], v[8:9], v[6:7] op_sel_hi:[1,0,1]
	v_pk_mov_b32 v[4:5], -1, -1
	v_mov_b32_e32 v1, v9
.LBB7_19:
	s_or_b64 exec, exec, s[10:11]
                                        ; implicit-def: $vgpr6_vgpr7
                                        ; implicit-def: $vgpr8
                                        ; implicit-def: $vgpr13
.LBB7_20:
	s_andn2_saveexec_b64 s[0:1], s[0:1]
	s_cbranch_execz .LBB7_22
; %bb.21:
	s_waitcnt lgkmcnt(0)
	v_mov_b32_e32 v1, v13
	v_pk_mov_b32 v[4:5], v[8:9], v[8:9] op_sel:[0,1]
	v_pk_mov_b32 v[2:3], v[6:7], v[6:7] op_sel:[0,1]
.LBB7_22:
	s_or_b64 exec, exec, s[0:1]
	v_cmp_gt_u32_e32 vcc, 60, v15
	s_waitcnt lgkmcnt(3)
	v_cndmask_b32_e64 v6, 0, 1, vcc
	v_lshlrev_b32_e32 v6, 2, v6
	s_waitcnt lgkmcnt(0)
	v_add_lshl_u32 v13, v6, v14, 2
	ds_bpermute_b32 v7, v13, v3
	ds_bpermute_b32 v6, v13, v2
	;; [unrolled: 1-line block ×5, first 2 shown]
	v_cmp_neq_f32_e32 vcc, 0, v1
	s_and_saveexec_b64 s[0:1], vcc
	s_xor_b64 s[0:1], exec, s[0:1]
	s_cbranch_execz .LBB7_26
; %bb.23:
	s_waitcnt lgkmcnt(0)
	v_cmp_neq_f32_e32 vcc, 0, v16
	s_and_saveexec_b64 s[10:11], vcc
	s_cbranch_execz .LBB7_25
; %bb.24:
	v_add_f32_e32 v9, v1, v16
	v_div_scale_f32 v8, s[12:13], v9, v9, v16
	v_rcp_f32_e32 v17, v8
	v_pk_add_f32 v[4:5], v[6:7], v[2:3] neg_lo:[0,1] neg_hi:[0,1]
	v_pk_add_f32 v[6:7], v[2:3], v[6:7]
	v_mul_f32_e32 v2, v5, v5
	v_fma_f32 v4, -v8, v17, 1.0
	v_fmac_f32_e32 v17, v4, v17
	v_div_scale_f32 v4, vcc, v16, v9, v16
	v_mul_f32_e32 v18, v4, v17
	v_fma_f32 v19, -v8, v18, v4
	v_fmac_f32_e32 v18, v19, v17
	v_fma_f32 v4, -v8, v18, v4
	v_div_fmas_f32 v4, v4, v17, v18
	v_div_fixup_f32 v8, v4, v9, v16
	v_mul_f32_e32 v4, v1, v2
	v_mov_b32_e32 v7, v3
	v_pk_fma_f32 v[2:3], v[4:5], v[8:9], v[6:7] op_sel_hi:[1,0,1]
	v_pk_mov_b32 v[4:5], -1, -1
	v_mov_b32_e32 v1, v9
.LBB7_25:
	s_or_b64 exec, exec, s[10:11]
                                        ; implicit-def: $vgpr6_vgpr7
                                        ; implicit-def: $vgpr8
                                        ; implicit-def: $vgpr16
.LBB7_26:
	s_andn2_saveexec_b64 s[0:1], s[0:1]
	s_cbranch_execz .LBB7_28
; %bb.27:
	s_waitcnt lgkmcnt(0)
	v_mov_b32_e32 v1, v16
	v_pk_mov_b32 v[4:5], v[8:9], v[8:9] op_sel:[0,1]
	v_pk_mov_b32 v[2:3], v[6:7], v[6:7] op_sel:[0,1]
.LBB7_28:
	s_or_b64 exec, exec, s[0:1]
	v_cmp_gt_u32_e32 vcc, 62, v15
	s_waitcnt lgkmcnt(3)
	v_cndmask_b32_e64 v6, 0, 1, vcc
	v_lshlrev_b32_e32 v6, 1, v6
	s_waitcnt lgkmcnt(0)
	v_add_lshl_u32 v16, v6, v14, 2
	ds_bpermute_b32 v7, v16, v3
	ds_bpermute_b32 v6, v16, v2
	;; [unrolled: 1-line block ×5, first 2 shown]
	v_cmp_neq_f32_e32 vcc, 0, v1
	s_and_saveexec_b64 s[0:1], vcc
	s_xor_b64 s[0:1], exec, s[0:1]
	s_cbranch_execz .LBB7_32
; %bb.29:
	s_waitcnt lgkmcnt(0)
	v_cmp_neq_f32_e32 vcc, 0, v17
	s_and_saveexec_b64 s[10:11], vcc
	s_cbranch_execz .LBB7_31
; %bb.30:
	v_add_f32_e32 v9, v1, v17
	v_div_scale_f32 v8, s[12:13], v9, v9, v17
	v_rcp_f32_e32 v18, v8
	v_pk_add_f32 v[4:5], v[6:7], v[2:3] neg_lo:[0,1] neg_hi:[0,1]
	v_pk_add_f32 v[6:7], v[2:3], v[6:7]
	v_mul_f32_e32 v2, v5, v5
	v_fma_f32 v4, -v8, v18, 1.0
	v_fmac_f32_e32 v18, v4, v18
	v_div_scale_f32 v4, vcc, v17, v9, v17
	v_mul_f32_e32 v19, v4, v18
	v_fma_f32 v20, -v8, v19, v4
	v_fmac_f32_e32 v19, v20, v18
	v_fma_f32 v4, -v8, v19, v4
	v_div_fmas_f32 v4, v4, v18, v19
	v_div_fixup_f32 v8, v4, v9, v17
	v_mul_f32_e32 v4, v1, v2
	v_mov_b32_e32 v7, v3
	v_pk_fma_f32 v[2:3], v[4:5], v[8:9], v[6:7] op_sel_hi:[1,0,1]
	v_pk_mov_b32 v[4:5], -1, -1
	v_mov_b32_e32 v1, v9
.LBB7_31:
	s_or_b64 exec, exec, s[10:11]
                                        ; implicit-def: $vgpr6_vgpr7
                                        ; implicit-def: $vgpr8
                                        ; implicit-def: $vgpr17
.LBB7_32:
	s_andn2_saveexec_b64 s[0:1], s[0:1]
	s_cbranch_execz .LBB7_34
; %bb.33:
	s_waitcnt lgkmcnt(0)
	v_mov_b32_e32 v1, v17
	v_pk_mov_b32 v[4:5], v[8:9], v[8:9] op_sel:[0,1]
	v_pk_mov_b32 v[2:3], v[6:7], v[6:7] op_sel:[0,1]
.LBB7_34:
	s_or_b64 exec, exec, s[0:1]
	v_cmp_ne_u32_e32 vcc, 63, v15
	s_waitcnt lgkmcnt(3)
	v_addc_co_u32_e32 v6, vcc, 0, v14, vcc
	v_lshlrev_b32_e32 v14, 2, v6
	ds_bpermute_b32 v7, v14, v3
	ds_bpermute_b32 v6, v14, v2
	s_waitcnt lgkmcnt(4)
	ds_bpermute_b32 v8, v14, v4
	s_waitcnt lgkmcnt(4)
	ds_bpermute_b32 v9, v14, v5
	ds_bpermute_b32 v15, v14, v1
	v_cmp_neq_f32_e32 vcc, 0, v1
	s_and_saveexec_b64 s[0:1], vcc
	s_xor_b64 s[0:1], exec, s[0:1]
	s_cbranch_execz .LBB7_38
; %bb.35:
	s_waitcnt lgkmcnt(0)
	v_cmp_neq_f32_e32 vcc, 0, v15
	s_and_saveexec_b64 s[10:11], vcc
	s_cbranch_execz .LBB7_37
; %bb.36:
	v_add_f32_e32 v9, v1, v15
	v_div_scale_f32 v8, s[12:13], v9, v9, v15
	v_rcp_f32_e32 v17, v8
	v_pk_add_f32 v[4:5], v[6:7], v[2:3] neg_lo:[0,1] neg_hi:[0,1]
	v_pk_add_f32 v[6:7], v[2:3], v[6:7]
	v_mul_f32_e32 v2, v5, v5
	v_fma_f32 v4, -v8, v17, 1.0
	v_fmac_f32_e32 v17, v4, v17
	v_div_scale_f32 v4, vcc, v15, v9, v15
	v_mul_f32_e32 v18, v4, v17
	v_fma_f32 v19, -v8, v18, v4
	v_fmac_f32_e32 v18, v19, v17
	v_fma_f32 v4, -v8, v18, v4
	v_div_fmas_f32 v4, v4, v17, v18
	v_div_fixup_f32 v8, v4, v9, v15
	v_mul_f32_e32 v4, v1, v2
	v_mov_b32_e32 v7, v3
	v_pk_fma_f32 v[2:3], v[4:5], v[8:9], v[6:7] op_sel_hi:[1,0,1]
	v_pk_mov_b32 v[4:5], -1, -1
	v_mov_b32_e32 v1, v9
.LBB7_37:
	s_or_b64 exec, exec, s[10:11]
                                        ; implicit-def: $vgpr6_vgpr7
                                        ; implicit-def: $vgpr8
                                        ; implicit-def: $vgpr15
.LBB7_38:
	s_andn2_saveexec_b64 s[0:1], s[0:1]
	s_cbranch_execz .LBB7_40
; %bb.39:
	s_waitcnt lgkmcnt(0)
	v_mov_b32_e32 v1, v15
	v_pk_mov_b32 v[4:5], v[8:9], v[8:9] op_sel:[0,1]
	v_pk_mov_b32 v[2:3], v[6:7], v[6:7] op_sel:[0,1]
.LBB7_40:
	s_or_b64 exec, exec, s[0:1]
	s_waitcnt lgkmcnt(3)
	v_and_b32_e32 v6, 63, v0
	v_cmp_eq_u32_e32 vcc, 0, v6
	s_waitcnt lgkmcnt(0)
	s_barrier
	s_and_saveexec_b64 s[0:1], vcc
	s_cbranch_execz .LBB7_42
; %bb.41:
	v_lshrrev_b32_e32 v7, 6, v0
	v_mul_u32_u24_e32 v7, 24, v7
	v_mov_b32_e32 v8, v3
	v_mov_b32_e32 v9, v2
	ds_write2_b64 v7, v[8:9], v[4:5] offset1:1
	ds_write_b32 v7, v1 offset:16
.LBB7_42:
	s_or_b64 exec, exec, s[0:1]
	s_waitcnt lgkmcnt(0)
	s_barrier
	s_load_dword s0, s[4:5], 0x34
	v_mul_u32_u24_e32 v4, 24, v6
	v_mov_b32_e32 v2, 0
	v_mov_b32_e32 v1, 0
	s_waitcnt lgkmcnt(0)
	s_bfe_u32 s0, s0, 0xa0006
	v_cmp_gt_u32_e32 vcc, s0, v0
	s_and_saveexec_b64 s[0:1], vcc
	s_cbranch_execnz .LBB7_48
; %bb.43:
	s_or_b64 exec, exec, s[0:1]
	s_and_saveexec_b64 s[0:1], vcc
	s_cbranch_execnz .LBB7_49
.LBB7_44:
	s_or_b64 exec, exec, s[0:1]
	v_mov_b32_e32 v3, 0
	s_and_saveexec_b64 s[0:1], vcc
	s_cbranch_execnz .LBB7_50
.LBB7_45:
	s_or_b64 exec, exec, s[0:1]
	v_cmp_gt_u32_e32 vcc, 64, v0
	s_and_saveexec_b64 s[0:1], vcc
	s_cbranch_execnz .LBB7_51
.LBB7_46:
	s_or_b64 exec, exec, s[0:1]
	v_cmp_eq_u32_e32 vcc, 0, v0
	s_and_saveexec_b64 s[0:1], vcc
	s_cbranch_execnz .LBB7_76
.LBB7_47:
	s_endpgm
.LBB7_48:
	ds_read_b32 v1, v4
	s_or_b64 exec, exec, s[0:1]
	s_and_saveexec_b64 s[0:1], vcc
	s_cbranch_execz .LBB7_44
.LBB7_49:
	ds_read_b32 v2, v4 offset:4
	s_or_b64 exec, exec, s[0:1]
	v_mov_b32_e32 v3, 0
	s_and_saveexec_b64 s[0:1], vcc
	s_cbranch_execz .LBB7_45
.LBB7_50:
	ds_read_b32 v3, v4 offset:16
	s_or_b64 exec, exec, s[0:1]
	v_cmp_gt_u32_e32 vcc, 64, v0
	s_and_saveexec_b64 s[0:1], vcc
	s_cbranch_execz .LBB7_46
.LBB7_51:
	s_waitcnt lgkmcnt(0)
	ds_bpermute_b32 v6, v10, v1
	ds_bpermute_b32 v4, v10, v2
	;; [unrolled: 1-line block ×3, first 2 shown]
	v_cmp_neq_f32_e32 vcc, 0, v3
	s_and_saveexec_b64 s[10:11], vcc
	s_cbranch_execz .LBB7_55
; %bb.52:
	s_waitcnt lgkmcnt(0)
	v_cmp_neq_f32_e32 vcc, 0, v5
	s_and_saveexec_b64 s[12:13], vcc
	s_cbranch_execz .LBB7_54
; %bb.53:
	v_sub_f32_e32 v6, v6, v1
	v_mul_f32_e32 v7, v6, v6
	v_mul_f32_e32 v7, v3, v7
	v_add_f32_e32 v3, v3, v5
	v_div_scale_f32 v8, s[14:15], v3, v3, v5
	v_rcp_f32_e32 v9, v8
	v_add_f32_e32 v2, v2, v4
	v_fma_f32 v4, -v8, v9, 1.0
	v_fmac_f32_e32 v9, v4, v9
	v_div_scale_f32 v4, vcc, v5, v3, v5
	v_mul_f32_e32 v10, v4, v9
	v_fma_f32 v15, -v8, v10, v4
	v_fmac_f32_e32 v10, v15, v9
	v_fma_f32 v4, -v8, v10, v4
	v_div_fmas_f32 v4, v4, v9, v10
	v_div_fixup_f32 v4, v4, v3, v5
	v_fmac_f32_e32 v1, v6, v4
	v_fmac_f32_e32 v2, v7, v4
.LBB7_54:
	s_or_b64 exec, exec, s[12:13]
	v_mov_b32_e32 v6, v1
	v_pk_mov_b32 v[4:5], v[2:3], v[2:3] op_sel:[0,1]
.LBB7_55:
	s_or_b64 exec, exec, s[10:11]
	s_waitcnt lgkmcnt(2)
	ds_bpermute_b32 v1, v11, v6
	s_waitcnt lgkmcnt(2)
	ds_bpermute_b32 v2, v11, v4
	s_waitcnt lgkmcnt(2)
	ds_bpermute_b32 v3, v11, v5
	v_cmp_neq_f32_e32 vcc, 0, v5
	s_and_saveexec_b64 s[10:11], vcc
	s_cbranch_execz .LBB7_59
; %bb.56:
	s_waitcnt lgkmcnt(0)
	v_cmp_neq_f32_e32 vcc, 0, v3
	s_and_saveexec_b64 s[12:13], vcc
	s_cbranch_execz .LBB7_58
; %bb.57:
	v_pk_add_f32 v[8:9], v[4:5], v[2:3]
	v_div_scale_f32 v2, s[14:15], v9, v9, v3
	v_rcp_f32_e32 v4, v2
	v_sub_f32_e32 v1, v1, v6
	v_mul_f32_e32 v7, v1, v1
	v_mul_f32_e32 v5, v5, v7
	v_fma_f32 v7, -v2, v4, 1.0
	v_fmac_f32_e32 v4, v7, v4
	v_div_scale_f32 v7, vcc, v3, v9, v3
	v_mul_f32_e32 v10, v7, v4
	v_fma_f32 v11, -v2, v10, v7
	v_fmac_f32_e32 v10, v11, v4
	v_fma_f32 v2, -v2, v10, v7
	v_div_fmas_f32 v2, v2, v4, v10
	v_div_fixup_f32 v2, v2, v9, v3
	v_fma_f32 v8, v5, v2, v8
	v_fmac_f32_e32 v6, v1, v2
	v_pk_mov_b32 v[4:5], v[8:9], v[8:9] op_sel:[0,1]
.LBB7_58:
	s_or_b64 exec, exec, s[12:13]
	v_mov_b32_e32 v1, v6
	v_pk_mov_b32 v[2:3], v[4:5], v[4:5] op_sel:[0,1]
.LBB7_59:
	s_or_b64 exec, exec, s[10:11]
	s_waitcnt lgkmcnt(2)
	ds_bpermute_b32 v6, v12, v1
	s_waitcnt lgkmcnt(2)
	ds_bpermute_b32 v4, v12, v2
	s_waitcnt lgkmcnt(2)
	ds_bpermute_b32 v5, v12, v3
	v_cmp_neq_f32_e32 vcc, 0, v3
	s_and_saveexec_b64 s[10:11], vcc
	s_cbranch_execz .LBB7_63
; %bb.60:
	s_waitcnt lgkmcnt(0)
	v_cmp_neq_f32_e32 vcc, 0, v5
	s_and_saveexec_b64 s[12:13], vcc
	s_cbranch_execz .LBB7_62
; %bb.61:
	v_pk_add_f32 v[8:9], v[2:3], v[4:5]
	v_div_scale_f32 v2, s[14:15], v9, v9, v5
	v_rcp_f32_e32 v4, v2
	v_sub_f32_e32 v6, v6, v1
	v_mul_f32_e32 v7, v6, v6
	v_mul_f32_e32 v3, v3, v7
	v_fma_f32 v7, -v2, v4, 1.0
	v_fmac_f32_e32 v4, v7, v4
	v_div_scale_f32 v7, vcc, v5, v9, v5
	v_mul_f32_e32 v10, v7, v4
	v_fma_f32 v11, -v2, v10, v7
	v_fmac_f32_e32 v10, v11, v4
	v_fma_f32 v2, -v2, v10, v7
	v_div_fmas_f32 v2, v2, v4, v10
	v_div_fixup_f32 v2, v2, v9, v5
	v_fma_f32 v8, v3, v2, v8
	v_fmac_f32_e32 v1, v6, v2
	v_pk_mov_b32 v[2:3], v[8:9], v[8:9] op_sel:[0,1]
.LBB7_62:
	s_or_b64 exec, exec, s[12:13]
	v_mov_b32_e32 v6, v1
	v_pk_mov_b32 v[4:5], v[2:3], v[2:3] op_sel:[0,1]
.LBB7_63:
	;; [unrolled: 39-line block ×4, first 2 shown]
	s_or_b64 exec, exec, s[10:11]
	s_waitcnt lgkmcnt(2)
	ds_bpermute_b32 v1, v14, v6
	s_waitcnt lgkmcnt(2)
	ds_bpermute_b32 v2, v14, v4
	;; [unrolled: 2-line block ×3, first 2 shown]
	v_cmp_neq_f32_e32 vcc, 0, v5
	s_and_saveexec_b64 s[10:11], vcc
	s_cbranch_execz .LBB7_75
; %bb.72:
	s_waitcnt lgkmcnt(0)
	v_cmp_neq_f32_e32 vcc, 0, v3
	s_and_saveexec_b64 s[12:13], vcc
	s_cbranch_execz .LBB7_74
; %bb.73:
	v_pk_add_f32 v[8:9], v[4:5], v[2:3]
	v_div_scale_f32 v2, s[14:15], v9, v9, v3
	v_rcp_f32_e32 v4, v2
	v_sub_f32_e32 v1, v1, v6
	v_mul_f32_e32 v7, v1, v1
	v_mul_f32_e32 v5, v5, v7
	v_fma_f32 v7, -v2, v4, 1.0
	v_fmac_f32_e32 v4, v7, v4
	v_div_scale_f32 v7, vcc, v3, v9, v3
	v_mul_f32_e32 v10, v7, v4
	v_fma_f32 v11, -v2, v10, v7
	v_fmac_f32_e32 v10, v11, v4
	v_fma_f32 v2, -v2, v10, v7
	v_div_fmas_f32 v2, v2, v4, v10
	v_div_fixup_f32 v2, v2, v9, v3
	v_fma_f32 v8, v5, v2, v8
	v_fmac_f32_e32 v6, v1, v2
	v_pk_mov_b32 v[4:5], v[8:9], v[8:9] op_sel:[0,1]
.LBB7_74:
	s_or_b64 exec, exec, s[12:13]
	v_pk_mov_b32 v[2:3], v[4:5], v[4:5] op_sel:[0,1]
	v_mov_b32_e32 v1, v6
.LBB7_75:
	s_or_b64 exec, exec, s[10:11]
	s_or_b64 exec, exec, s[0:1]
	v_cmp_eq_u32_e32 vcc, 0, v0
	s_and_saveexec_b64 s[0:1], vcc
	s_cbranch_execz .LBB7_47
.LBB7_76:
	s_waitcnt lgkmcnt(0)
	v_max_f32_e32 v0, v3, v3
	v_max_f32_e32 v0, 0, v0
	v_div_scale_f32 v3, s[0:1], v0, v0, v2
	v_rcp_f32_e32 v4, v3
	s_load_dword s4, s[4:5], 0x8
	s_lshl_b64 s[0:1], s[6:7], 2
	s_add_u32 s2, s2, s0
	v_fma_f32 v5, -v3, v4, 1.0
	v_fmac_f32_e32 v4, v5, v4
	v_div_scale_f32 v5, vcc, v2, v0, v2
	v_mul_f32_e32 v6, v5, v4
	v_fma_f32 v7, -v3, v6, v5
	v_fmac_f32_e32 v6, v7, v4
	v_fma_f32 v3, -v3, v6, v5
	v_div_fmas_f32 v3, v3, v4, v6
	v_div_fixup_f32 v0, v3, v0, v2
	s_waitcnt lgkmcnt(0)
	v_add_f32_e32 v0, s4, v0
	s_mov_b32 s4, 0x800000
	v_mul_f32_e32 v2, 0x4b800000, v0
	v_cmp_gt_f32_e32 vcc, s4, v0
	v_cndmask_b32_e32 v0, v0, v2, vcc
	v_rsq_f32_e32 v0, v0
	s_addc_u32 s3, s3, s1
	v_mov_b32_e32 v2, 0
	global_store_dword v2, v1, s[2:3]
	v_mul_f32_e32 v1, 0x45800000, v0
	s_add_u32 s0, s8, s0
	v_cndmask_b32_e32 v0, v0, v1, vcc
	s_addc_u32 s1, s9, s1
	global_store_dword v2, v0, s[0:1]
	s_endpgm
	.section	.rodata,"a",@progbits
	.p2align	6, 0x0
	.amdhsa_kernel _ZN2at6native12_GLOBAL__N_124RowwiseMomentsCUDAKernelIN3c104HalfEfLb0EEEvlT0_PKT_PS5_S9_
		.amdhsa_group_segment_fixed_size 1536
		.amdhsa_private_segment_fixed_size 0
		.amdhsa_kernarg_size 296
		.amdhsa_user_sgpr_count 6
		.amdhsa_user_sgpr_private_segment_buffer 1
		.amdhsa_user_sgpr_dispatch_ptr 0
		.amdhsa_user_sgpr_queue_ptr 0
		.amdhsa_user_sgpr_kernarg_segment_ptr 1
		.amdhsa_user_sgpr_dispatch_id 0
		.amdhsa_user_sgpr_flat_scratch_init 0
		.amdhsa_user_sgpr_kernarg_preload_length 0
		.amdhsa_user_sgpr_kernarg_preload_offset 0
		.amdhsa_user_sgpr_private_segment_size 0
		.amdhsa_uses_dynamic_stack 0
		.amdhsa_system_sgpr_private_segment_wavefront_offset 0
		.amdhsa_system_sgpr_workgroup_id_x 1
		.amdhsa_system_sgpr_workgroup_id_y 0
		.amdhsa_system_sgpr_workgroup_id_z 0
		.amdhsa_system_sgpr_workgroup_info 0
		.amdhsa_system_vgpr_workitem_id 0
		.amdhsa_next_free_vgpr 21
		.amdhsa_next_free_sgpr 21
		.amdhsa_accum_offset 24
		.amdhsa_reserve_vcc 1
		.amdhsa_reserve_flat_scratch 0
		.amdhsa_float_round_mode_32 0
		.amdhsa_float_round_mode_16_64 0
		.amdhsa_float_denorm_mode_32 3
		.amdhsa_float_denorm_mode_16_64 3
		.amdhsa_dx10_clamp 1
		.amdhsa_ieee_mode 1
		.amdhsa_fp16_overflow 0
		.amdhsa_tg_split 0
		.amdhsa_exception_fp_ieee_invalid_op 0
		.amdhsa_exception_fp_denorm_src 0
		.amdhsa_exception_fp_ieee_div_zero 0
		.amdhsa_exception_fp_ieee_overflow 0
		.amdhsa_exception_fp_ieee_underflow 0
		.amdhsa_exception_fp_ieee_inexact 0
		.amdhsa_exception_int_div_zero 0
	.end_amdhsa_kernel
	.section	.text._ZN2at6native12_GLOBAL__N_124RowwiseMomentsCUDAKernelIN3c104HalfEfLb0EEEvlT0_PKT_PS5_S9_,"axG",@progbits,_ZN2at6native12_GLOBAL__N_124RowwiseMomentsCUDAKernelIN3c104HalfEfLb0EEEvlT0_PKT_PS5_S9_,comdat
.Lfunc_end7:
	.size	_ZN2at6native12_GLOBAL__N_124RowwiseMomentsCUDAKernelIN3c104HalfEfLb0EEEvlT0_PKT_PS5_S9_, .Lfunc_end7-_ZN2at6native12_GLOBAL__N_124RowwiseMomentsCUDAKernelIN3c104HalfEfLb0EEEvlT0_PKT_PS5_S9_
                                        ; -- End function
	.section	.AMDGPU.csdata,"",@progbits
; Kernel info:
; codeLenInByte = 3584
; NumSgprs: 25
; NumVgprs: 21
; NumAgprs: 0
; TotalNumVgprs: 21
; ScratchSize: 0
; MemoryBound: 0
; FloatMode: 240
; IeeeMode: 1
; LDSByteSize: 1536 bytes/workgroup (compile time only)
; SGPRBlocks: 3
; VGPRBlocks: 2
; NumSGPRsForWavesPerEU: 25
; NumVGPRsForWavesPerEU: 21
; AccumOffset: 24
; Occupancy: 8
; WaveLimiterHint : 0
; COMPUTE_PGM_RSRC2:SCRATCH_EN: 0
; COMPUTE_PGM_RSRC2:USER_SGPR: 6
; COMPUTE_PGM_RSRC2:TRAP_HANDLER: 0
; COMPUTE_PGM_RSRC2:TGID_X_EN: 1
; COMPUTE_PGM_RSRC2:TGID_Y_EN: 0
; COMPUTE_PGM_RSRC2:TGID_Z_EN: 0
; COMPUTE_PGM_RSRC2:TIDIG_COMP_CNT: 0
; COMPUTE_PGM_RSRC3_GFX90A:ACCUM_OFFSET: 5
; COMPUTE_PGM_RSRC3_GFX90A:TG_SPLIT: 0
	.section	.text._ZN2at6native12_GLOBAL__N_126LayerNormForwardCUDAKernelIN3c104HalfEfLb0EEEvlPKT_PKT0_SA_S7_S7_PS5_,"axG",@progbits,_ZN2at6native12_GLOBAL__N_126LayerNormForwardCUDAKernelIN3c104HalfEfLb0EEEvlPKT_PKT0_SA_S7_S7_PS5_,comdat
	.globl	_ZN2at6native12_GLOBAL__N_126LayerNormForwardCUDAKernelIN3c104HalfEfLb0EEEvlPKT_PKT0_SA_S7_S7_PS5_ ; -- Begin function _ZN2at6native12_GLOBAL__N_126LayerNormForwardCUDAKernelIN3c104HalfEfLb0EEEvlPKT_PKT0_SA_S7_S7_PS5_
	.p2align	8
	.type	_ZN2at6native12_GLOBAL__N_126LayerNormForwardCUDAKernelIN3c104HalfEfLb0EEEvlPKT_PKT0_SA_S7_S7_PS5_,@function
_ZN2at6native12_GLOBAL__N_126LayerNormForwardCUDAKernelIN3c104HalfEfLb0EEEvlPKT_PKT0_SA_S7_S7_PS5_: ; @_ZN2at6native12_GLOBAL__N_126LayerNormForwardCUDAKernelIN3c104HalfEfLb0EEEvlPKT_PKT0_SA_S7_S7_PS5_
; %bb.0:
	s_load_dwordx8 s[8:15], s[4:5], 0x0
	v_mov_b32_e32 v1, 0
	s_waitcnt lgkmcnt(0)
	v_cmp_gt_i64_e32 vcc, s[8:9], v[0:1]
	s_and_saveexec_b64 s[0:1], vcc
	s_cbranch_execz .LBB8_8
; %bb.1:
	s_load_dwordx8 s[16:23], s[4:5], 0x20
	s_mov_b32 s7, 0
	s_waitcnt lgkmcnt(0)
	s_mov_b64 s[22:23], 0
	v_lshlrev_b32_e32 v2, 1, v0
	v_mov_b32_e32 v3, v1
	s_cmp_lg_u64 s[16:17], 0
	s_cselect_b64 s[0:1], -1, 0
	s_cmp_lg_u64 s[18:19], 0
	s_cselect_b64 s[2:3], -1, 0
	s_lshl_b64 s[24:25], s[6:7], 2
	s_add_u32 s26, s12, s24
	s_addc_u32 s27, s13, s25
	s_load_dword s13, s[4:5], 0x44
	s_load_dword s12, s[26:27], 0x0
	s_add_u32 s4, s14, s24
	s_addc_u32 s5, s15, s25
	s_mul_i32 s14, s9, s6
	s_mul_hi_u32 s15, s8, s6
	s_add_i32 s15, s15, s14
	s_mul_i32 s14, s8, s6
	s_load_dword s4, s[4:5], 0x0
	s_waitcnt lgkmcnt(0)
	s_and_b32 s5, s13, 0xffff
	s_lshl_b64 s[14:15], s[14:15], 1
	s_add_u32 s6, s10, s14
	s_addc_u32 s24, s11, s15
	s_lshl_b32 s10, s5, 1
	s_add_u32 s11, s20, s14
	s_addc_u32 s14, s21, s15
	v_cndmask_b32_e64 v8, 0, 1, s[0:1]
	v_cndmask_b32_e64 v9, 0, 1, s[2:3]
	v_mov_b32_e32 v4, s24
	v_mov_b32_e32 v5, s14
	;; [unrolled: 1-line block ×4, first 2 shown]
	v_cmp_ne_u32_e64 s[0:1], 1, v8
	v_cmp_ne_u32_e64 s[2:3], 1, v9
	s_mov_b32 s13, s7
	s_branch .LBB8_4
.LBB8_2:                                ;   in Loop: Header=BB8_4 Depth=1
	v_mov_b32_e32 v9, s19
	v_add_co_u32_e32 v10, vcc, s18, v2
	v_addc_co_u32_e32 v11, vcc, v9, v3, vcc
	global_load_ushort v9, v[10:11], off
	s_waitcnt vmcnt(0)
	v_cvt_f32_f16_e32 v9, v9
.LBB8_3:                                ;   in Loop: Header=BB8_4 Depth=1
	v_add_co_u32_e32 v10, vcc, s6, v2
	v_addc_co_u32_e32 v11, vcc, v4, v3, vcc
	global_load_ushort v12, v[10:11], off
	v_add_co_u32_e32 v10, vcc, s11, v2
	v_addc_co_u32_e32 v11, vcc, v5, v3, vcc
	v_add_co_u32_e32 v0, vcc, s5, v0
	v_addc_co_u32_e32 v1, vcc, v1, v6, vcc
	v_cmp_le_i64_e32 vcc, s[8:9], v[0:1]
	s_or_b64 s[22:23], vcc, s[22:23]
	v_add_co_u32_e32 v2, vcc, s10, v2
	v_addc_co_u32_e32 v3, vcc, v3, v7, vcc
	s_waitcnt vmcnt(0)
	v_cvt_f32_f16_e32 v12, v12
	v_subrev_f32_e32 v12, s12, v12
	v_mul_f32_e32 v12, s4, v12
	v_fma_mixlo_f16 v8, v8, v12, v9
	global_store_short v[10:11], v8, off
	s_andn2_b64 exec, exec, s[22:23]
	s_cbranch_execz .LBB8_8
.LBB8_4:                                ; =>This Inner Loop Header: Depth=1
	s_and_b64 vcc, exec, s[0:1]
	s_cbranch_vccnz .LBB8_6
; %bb.5:                                ;   in Loop: Header=BB8_4 Depth=1
	v_mov_b32_e32 v9, s17
	v_add_co_u32_e32 v8, vcc, s16, v2
	v_addc_co_u32_e32 v9, vcc, v9, v3, vcc
	global_load_ushort v8, v[8:9], off
	s_waitcnt vmcnt(0)
	v_cvt_f32_f16_e32 v8, v8
	s_and_b64 vcc, exec, s[2:3]
	s_cbranch_vccz .LBB8_2
	s_branch .LBB8_7
.LBB8_6:                                ;   in Loop: Header=BB8_4 Depth=1
	v_mov_b32_e32 v8, 1.0
	s_and_b64 vcc, exec, s[2:3]
	s_cbranch_vccz .LBB8_2
.LBB8_7:                                ;   in Loop: Header=BB8_4 Depth=1
	v_mov_b32_e32 v9, 0
	s_branch .LBB8_3
.LBB8_8:
	s_endpgm
	.section	.rodata,"a",@progbits
	.p2align	6, 0x0
	.amdhsa_kernel _ZN2at6native12_GLOBAL__N_126LayerNormForwardCUDAKernelIN3c104HalfEfLb0EEEvlPKT_PKT0_SA_S7_S7_PS5_
		.amdhsa_group_segment_fixed_size 0
		.amdhsa_private_segment_fixed_size 0
		.amdhsa_kernarg_size 312
		.amdhsa_user_sgpr_count 6
		.amdhsa_user_sgpr_private_segment_buffer 1
		.amdhsa_user_sgpr_dispatch_ptr 0
		.amdhsa_user_sgpr_queue_ptr 0
		.amdhsa_user_sgpr_kernarg_segment_ptr 1
		.amdhsa_user_sgpr_dispatch_id 0
		.amdhsa_user_sgpr_flat_scratch_init 0
		.amdhsa_user_sgpr_kernarg_preload_length 0
		.amdhsa_user_sgpr_kernarg_preload_offset 0
		.amdhsa_user_sgpr_private_segment_size 0
		.amdhsa_uses_dynamic_stack 0
		.amdhsa_system_sgpr_private_segment_wavefront_offset 0
		.amdhsa_system_sgpr_workgroup_id_x 1
		.amdhsa_system_sgpr_workgroup_id_y 0
		.amdhsa_system_sgpr_workgroup_id_z 0
		.amdhsa_system_sgpr_workgroup_info 0
		.amdhsa_system_vgpr_workitem_id 0
		.amdhsa_next_free_vgpr 13
		.amdhsa_next_free_sgpr 28
		.amdhsa_accum_offset 16
		.amdhsa_reserve_vcc 1
		.amdhsa_reserve_flat_scratch 0
		.amdhsa_float_round_mode_32 0
		.amdhsa_float_round_mode_16_64 0
		.amdhsa_float_denorm_mode_32 3
		.amdhsa_float_denorm_mode_16_64 3
		.amdhsa_dx10_clamp 1
		.amdhsa_ieee_mode 1
		.amdhsa_fp16_overflow 0
		.amdhsa_tg_split 0
		.amdhsa_exception_fp_ieee_invalid_op 0
		.amdhsa_exception_fp_denorm_src 0
		.amdhsa_exception_fp_ieee_div_zero 0
		.amdhsa_exception_fp_ieee_overflow 0
		.amdhsa_exception_fp_ieee_underflow 0
		.amdhsa_exception_fp_ieee_inexact 0
		.amdhsa_exception_int_div_zero 0
	.end_amdhsa_kernel
	.section	.text._ZN2at6native12_GLOBAL__N_126LayerNormForwardCUDAKernelIN3c104HalfEfLb0EEEvlPKT_PKT0_SA_S7_S7_PS5_,"axG",@progbits,_ZN2at6native12_GLOBAL__N_126LayerNormForwardCUDAKernelIN3c104HalfEfLb0EEEvlPKT_PKT0_SA_S7_S7_PS5_,comdat
.Lfunc_end8:
	.size	_ZN2at6native12_GLOBAL__N_126LayerNormForwardCUDAKernelIN3c104HalfEfLb0EEEvlPKT_PKT0_SA_S7_S7_PS5_, .Lfunc_end8-_ZN2at6native12_GLOBAL__N_126LayerNormForwardCUDAKernelIN3c104HalfEfLb0EEEvlPKT_PKT0_SA_S7_S7_PS5_
                                        ; -- End function
	.section	.AMDGPU.csdata,"",@progbits
; Kernel info:
; codeLenInByte = 412
; NumSgprs: 32
; NumVgprs: 13
; NumAgprs: 0
; TotalNumVgprs: 13
; ScratchSize: 0
; MemoryBound: 0
; FloatMode: 240
; IeeeMode: 1
; LDSByteSize: 0 bytes/workgroup (compile time only)
; SGPRBlocks: 3
; VGPRBlocks: 1
; NumSGPRsForWavesPerEU: 32
; NumVGPRsForWavesPerEU: 13
; AccumOffset: 16
; Occupancy: 8
; WaveLimiterHint : 0
; COMPUTE_PGM_RSRC2:SCRATCH_EN: 0
; COMPUTE_PGM_RSRC2:USER_SGPR: 6
; COMPUTE_PGM_RSRC2:TRAP_HANDLER: 0
; COMPUTE_PGM_RSRC2:TGID_X_EN: 1
; COMPUTE_PGM_RSRC2:TGID_Y_EN: 0
; COMPUTE_PGM_RSRC2:TGID_Z_EN: 0
; COMPUTE_PGM_RSRC2:TIDIG_COMP_CNT: 0
; COMPUTE_PGM_RSRC3_GFX90A:ACCUM_OFFSET: 3
; COMPUTE_PGM_RSRC3_GFX90A:TG_SPLIT: 0
	.section	.text._ZN2at6native12_GLOBAL__N_128vectorized_layer_norm_kernelIN3c108BFloat16EfLb0EEEviT0_PKT_S8_S8_PS5_S9_PS6_,"axG",@progbits,_ZN2at6native12_GLOBAL__N_128vectorized_layer_norm_kernelIN3c108BFloat16EfLb0EEEviT0_PKT_S8_S8_PS5_S9_PS6_,comdat
	.globl	_ZN2at6native12_GLOBAL__N_128vectorized_layer_norm_kernelIN3c108BFloat16EfLb0EEEviT0_PKT_S8_S8_PS5_S9_PS6_ ; -- Begin function _ZN2at6native12_GLOBAL__N_128vectorized_layer_norm_kernelIN3c108BFloat16EfLb0EEEviT0_PKT_S8_S8_PS5_S9_PS6_
	.p2align	8
	.type	_ZN2at6native12_GLOBAL__N_128vectorized_layer_norm_kernelIN3c108BFloat16EfLb0EEEviT0_PKT_S8_S8_PS5_S9_PS6_,@function
_ZN2at6native12_GLOBAL__N_128vectorized_layer_norm_kernelIN3c108BFloat16EfLb0EEEviT0_PKT_S8_S8_PS5_S9_PS6_: ; @_ZN2at6native12_GLOBAL__N_128vectorized_layer_norm_kernelIN3c108BFloat16EfLb0EEEviT0_PKT_S8_S8_PS5_S9_PS6_
; %bb.0:
	s_load_dwordx4 s[16:19], s[4:5], 0x0
	s_load_dword s0, s[4:5], 0x44
	v_and_b32_e32 v1, 0x3ff, v0
	v_bfe_u32 v9, v0, 10, 10
	s_mov_b32 s7, 0
	s_waitcnt lgkmcnt(0)
	s_ashr_i32 s1, s16, 31
	s_lshr_b32 s27, s0, 16
	s_and_b32 s0, s0, 0xffff
	s_mul_i32 s20, s27, s0
	v_mul_u32_u24_e32 v0, s0, v9
	v_mad_u32_u24 v14, v9, s0, v1
	s_lshr_b32 s0, s1, 30
	s_add_i32 s0, s16, s0
	s_mul_hi_u32 s2, s16, s6
	s_mul_i32 s3, s1, s6
	s_ashr_i32 s26, s0, 2
	s_add_i32 s23, s2, s3
	s_mul_i32 s22, s16, s6
	v_cmp_gt_i32_e64 s[0:1], s26, v14
	v_mov_b32_e32 v12, 0
	v_add_lshl_u32 v0, v0, v1, 3
	v_mov_b32_e32 v10, 0
	v_mov_b32_e32 v11, 0
	s_and_saveexec_b64 s[12:13], s[0:1]
	s_cbranch_execz .LBB9_4
; %bb.1:
	s_lshl_b64 s[2:3], s[22:23], 1
	s_add_u32 s2, s18, s2
	s_addc_u32 s3, s19, s3
	s_ashr_i32 s21, s20, 31
	v_mov_b32_e32 v3, s3
	v_add_co_u32_e32 v2, vcc, s2, v0
	s_lshl_b64 s[24:25], s[20:21], 3
	v_addc_co_u32_e32 v3, vcc, 0, v3, vcc
	s_mov_b64 s[14:15], 0
	v_mov_b32_e32 v12, 0
	v_mov_b32_e32 v6, s25
	;; [unrolled: 1-line block ×5, first 2 shown]
.LBB9_2:                                ; =>This Inner Loop Header: Depth=1
	global_load_dwordx2 v[4:5], v[2:3], off
	v_add_f32_e32 v8, 1.0, v12
	v_add_u32_e32 v7, s20, v7
	v_div_scale_f32 v13, s[2:3], v8, v8, 1.0
	v_add_f32_e32 v16, 1.0, v8
	v_cmp_le_i32_e64 s[2:3], s26, v7
	v_rcp_f32_e32 v17, v13
	v_div_scale_f32 v18, s[8:9], v16, v16, 1.0
	v_add_f32_e32 v20, 1.0, v16
	s_or_b64 s[14:15], s[2:3], s[14:15]
	v_rcp_f32_e32 v21, v18
	v_div_scale_f32 v22, s[2:3], v20, v20, 1.0
	v_add_f32_e32 v12, 1.0, v20
	v_rcp_f32_e32 v24, v22
	v_add_co_u32_e32 v2, vcc, s24, v2
	v_div_scale_f32 v25, s[10:11], v12, v12, 1.0
	v_addc_co_u32_e32 v3, vcc, v3, v6, vcc
	v_rcp_f32_e32 v27, v25
	v_fma_f32 v28, -v13, v17, 1.0
	v_div_scale_f32 v15, vcc, 1.0, v8, 1.0
	v_fmac_f32_e32 v17, v28, v17
	v_fma_f32 v28, -v18, v21, 1.0
	v_div_scale_f32 v19, s[8:9], 1.0, v16, 1.0
	v_mul_f32_e32 v29, v15, v17
	v_fmac_f32_e32 v21, v28, v21
	v_fma_f32 v28, -v22, v24, 1.0
	v_div_scale_f32 v23, s[2:3], 1.0, v20, 1.0
	v_fma_f32 v30, -v13, v29, v15
	v_mul_f32_e32 v31, v19, v21
	v_fmac_f32_e32 v24, v28, v24
	v_fma_f32 v28, -v25, v27, 1.0
	v_fmac_f32_e32 v29, v30, v17
	v_fma_f32 v30, -v18, v31, v19
	v_mul_f32_e32 v32, v23, v24
	v_div_scale_f32 v26, s[10:11], 1.0, v12, 1.0
	v_fmac_f32_e32 v27, v28, v27
	v_fma_f32 v13, -v13, v29, v15
	v_fmac_f32_e32 v31, v30, v21
	v_fma_f32 v15, -v22, v32, v23
	v_mul_f32_e32 v28, v26, v27
	v_div_fmas_f32 v13, v13, v17, v29
	v_fma_f32 v17, -v18, v31, v19
	v_fmac_f32_e32 v32, v15, v24
	s_mov_b64 vcc, s[8:9]
	v_fma_f32 v15, -v25, v28, v26
	v_div_fixup_f32 v8, v13, v8, 1.0
	v_div_fmas_f32 v13, v17, v21, v31
	v_fma_f32 v17, -v22, v32, v23
	s_mov_b64 vcc, s[2:3]
	v_fmac_f32_e32 v28, v15, v27
	v_div_fmas_f32 v15, v17, v24, v32
	v_div_fixup_f32 v13, v13, v16, 1.0
	v_fma_f32 v16, -v25, v28, v26
	v_div_fixup_f32 v15, v15, v20, 1.0
	s_mov_b64 vcc, s[10:11]
	v_div_fmas_f32 v16, v16, v27, v28
	v_div_fixup_f32 v16, v16, v12, 1.0
	s_waitcnt vmcnt(0)
	v_lshlrev_b32_e32 v18, 16, v4
	v_sub_f32_e32 v19, v18, v11
	v_and_b32_e32 v17, 0xffff0000, v4
	v_fmac_f32_e32 v11, v8, v19
	v_alignbit_b32 v4, v5, v4, 16
	v_sub_f32_e32 v8, v18, v11
	v_sub_f32_e32 v18, v17, v11
	v_and_b32_e32 v4, 0xffff0000, v4
	v_fmac_f32_e32 v11, v13, v18
	v_sub_f32_e32 v13, v4, v11
	v_and_b32_e32 v5, 0xffff0000, v5
	v_fmac_f32_e32 v10, v19, v8
	v_sub_f32_e32 v8, v17, v11
	v_fmac_f32_e32 v11, v15, v13
	v_fmac_f32_e32 v10, v18, v8
	v_sub_f32_e32 v8, v5, v11
	v_sub_f32_e32 v4, v4, v11
	v_fmac_f32_e32 v11, v16, v8
	v_fmac_f32_e32 v10, v13, v4
	v_sub_f32_e32 v4, v5, v11
	v_fmac_f32_e32 v10, v8, v4
	s_andn2_b64 exec, exec, s[14:15]
	s_cbranch_execnz .LBB9_2
; %bb.3:
	s_or_b64 exec, exec, s[14:15]
.LBB9_4:
	s_or_b64 exec, exec, s[12:13]
	v_mbcnt_lo_u32_b32 v2, -1, 0
	v_mbcnt_hi_u32_b32 v15, -1, v2
	v_and_b32_e32 v16, 63, v15
	v_cmp_gt_u32_e32 vcc, 32, v16
	v_cndmask_b32_e64 v2, 0, 1, vcc
	v_lshlrev_b32_e32 v2, 5, v2
	v_add_lshl_u32 v2, v2, v15, 2
	ds_bpermute_b32 v8, v2, v12
	ds_bpermute_b32 v6, v2, v11
	;; [unrolled: 1-line block ×3, first 2 shown]
	v_mov_b32_e32 v4, 0
	v_mov_b32_e32 v2, 0
	s_waitcnt lgkmcnt(2)
	v_add_f32_e32 v13, v12, v8
	v_cmp_lt_f32_e32 vcc, 0, v13
	v_mov_b32_e32 v3, 0
	s_and_saveexec_b64 s[2:3], vcc
	s_cbranch_execz .LBB9_6
; %bb.5:
	v_div_scale_f32 v2, s[8:9], v13, v13, 1.0
	v_rcp_f32_e32 v3, v2
	s_waitcnt lgkmcnt(1)
	v_sub_f32_e32 v17, v11, v6
	v_fma_f32 v7, -v2, v3, 1.0
	v_fmac_f32_e32 v3, v7, v3
	v_div_scale_f32 v7, vcc, 1.0, v13, 1.0
	v_mul_f32_e32 v18, v7, v3
	v_fma_f32 v19, -v2, v18, v7
	v_fmac_f32_e32 v18, v19, v3
	v_fma_f32 v2, -v2, v18, v7
	v_div_fmas_f32 v2, v2, v3, v18
	v_div_fixup_f32 v2, v2, v13, 1.0
	v_mul_f32_e32 v7, v12, v2
	v_mul_f32_e32 v3, v17, v17
	;; [unrolled: 1-line block ×3, first 2 shown]
	s_waitcnt lgkmcnt(0)
	v_add_f32_e32 v19, v10, v5
	v_pk_mul_f32 v[2:3], v[2:3], v[8:9] op_sel_hi:[1,0]
	v_pk_fma_f32 v[2:3], v[2:3], v[6:7], v[18:19]
.LBB9_6:
	s_or_b64 exec, exec, s[2:3]
	v_cmp_gt_u32_e32 vcc, 48, v16
	s_waitcnt lgkmcnt(0)
	v_cndmask_b32_e64 v5, 0, 1, vcc
	v_lshlrev_b32_e32 v5, 4, v5
	v_add_lshl_u32 v5, v5, v15, 2
	ds_bpermute_b32 v8, v5, v13
	ds_bpermute_b32 v6, v5, v2
	;; [unrolled: 1-line block ×3, first 2 shown]
	v_mov_b32_e32 v5, 0
	s_waitcnt lgkmcnt(2)
	v_add_f32_e32 v12, v13, v8
	v_cmp_lt_f32_e32 vcc, 0, v12
	s_and_saveexec_b64 s[2:3], vcc
	s_cbranch_execz .LBB9_8
; %bb.7:
	v_div_scale_f32 v4, s[8:9], v12, v12, 1.0
	v_rcp_f32_e32 v5, v4
	s_waitcnt lgkmcnt(1)
	v_sub_f32_e32 v7, v2, v6
	v_fma_f32 v10, -v4, v5, 1.0
	v_fmac_f32_e32 v5, v10, v5
	v_div_scale_f32 v10, vcc, 1.0, v12, 1.0
	v_mul_f32_e32 v17, v10, v5
	v_fma_f32 v18, -v4, v17, v10
	v_fmac_f32_e32 v17, v18, v5
	v_fma_f32 v4, -v4, v17, v10
	v_div_fmas_f32 v4, v4, v5, v17
	v_div_fixup_f32 v4, v4, v12, 1.0
	v_mul_f32_e32 v10, v13, v4
	s_waitcnt lgkmcnt(0)
	v_pk_mul_f32 v[18:19], v[2:3], v[10:11]
	v_pk_add_f32 v[2:3], v[2:3], v[10:11]
	v_mul_f32_e32 v5, v7, v7
	v_mov_b32_e32 v19, v3
	v_pk_mul_f32 v[2:3], v[4:5], v[8:9] op_sel_hi:[1,0]
	v_mov_b32_e32 v7, v10
	v_pk_fma_f32 v[4:5], v[2:3], v[6:7], v[18:19]
.LBB9_8:
	s_or_b64 exec, exec, s[2:3]
	v_cmp_gt_u32_e32 vcc, 56, v16
	v_cndmask_b32_e64 v2, 0, 1, vcc
	v_lshlrev_b32_e32 v2, 3, v2
	v_add_lshl_u32 v3, v2, v15, 2
	ds_bpermute_b32 v8, v3, v12
	ds_bpermute_b32 v10, v3, v4
	;; [unrolled: 1-line block ×3, first 2 shown]
	v_mov_b32_e32 v2, 0
	s_waitcnt lgkmcnt(4)
	v_mov_b32_e32 v6, 0
	s_waitcnt lgkmcnt(2)
	v_add_f32_e32 v17, v12, v8
	v_cmp_lt_f32_e32 vcc, 0, v17
	v_mov_b32_e32 v7, 0
	s_and_saveexec_b64 s[2:3], vcc
	s_cbranch_execz .LBB9_10
; %bb.9:
	v_div_scale_f32 v3, s[8:9], v17, v17, 1.0
	v_rcp_f32_e32 v6, v3
	s_waitcnt lgkmcnt(1)
	v_sub_f32_e32 v7, v4, v10
	v_mul_f32_e32 v7, v7, v7
	v_fma_f32 v11, -v3, v6, 1.0
	v_fmac_f32_e32 v6, v11, v6
	v_div_scale_f32 v11, vcc, 1.0, v17, 1.0
	v_mul_f32_e32 v18, v11, v6
	v_fma_f32 v19, -v3, v18, v11
	v_fmac_f32_e32 v18, v19, v6
	v_fma_f32 v3, -v3, v18, v11
	v_div_fmas_f32 v3, v3, v6, v18
	v_div_fixup_f32 v6, v3, v17, 1.0
	v_mul_f32_e32 v12, v12, v6
	s_waitcnt lgkmcnt(0)
	v_pk_mul_f32 v[18:19], v[4:5], v[12:13]
	v_pk_add_f32 v[4:5], v[4:5], v[12:13]
	v_mov_b32_e32 v19, v5
	v_pk_mul_f32 v[4:5], v[6:7], v[8:9] op_sel_hi:[1,0]
	v_mov_b32_e32 v11, v12
	v_pk_fma_f32 v[6:7], v[4:5], v[10:11], v[18:19]
.LBB9_10:
	s_or_b64 exec, exec, s[2:3]
	v_cmp_gt_u32_e32 vcc, 60, v16
	v_cndmask_b32_e64 v3, 0, 1, vcc
	v_lshlrev_b32_e32 v3, 2, v3
	v_add_lshl_u32 v3, v3, v15, 2
	ds_bpermute_b32 v8, v3, v17
	ds_bpermute_b32 v4, v3, v6
	;; [unrolled: 1-line block ×3, first 2 shown]
	v_mov_b32_e32 v3, 0
	s_waitcnt lgkmcnt(2)
	v_add_f32_e32 v12, v17, v8
	v_cmp_lt_f32_e32 vcc, 0, v12
	s_and_saveexec_b64 s[2:3], vcc
	s_cbranch_execz .LBB9_12
; %bb.11:
	v_div_scale_f32 v2, s[8:9], v12, v12, 1.0
	v_rcp_f32_e32 v3, v2
	s_waitcnt lgkmcnt(1)
	v_sub_f32_e32 v5, v6, v4
	v_fma_f32 v10, -v2, v3, 1.0
	v_fmac_f32_e32 v3, v10, v3
	v_div_scale_f32 v10, vcc, 1.0, v12, 1.0
	v_mul_f32_e32 v13, v10, v3
	v_fma_f32 v18, -v2, v13, v10
	v_fmac_f32_e32 v13, v18, v3
	v_fma_f32 v2, -v2, v13, v10
	v_div_fmas_f32 v2, v2, v3, v13
	v_div_fixup_f32 v2, v2, v12, 1.0
	v_mul_f32_e32 v10, v17, v2
	s_waitcnt lgkmcnt(0)
	v_pk_mul_f32 v[18:19], v[6:7], v[10:11]
	v_pk_add_f32 v[6:7], v[6:7], v[10:11]
	v_mul_f32_e32 v3, v5, v5
	v_mov_b32_e32 v19, v7
	v_pk_mul_f32 v[2:3], v[2:3], v[8:9] op_sel_hi:[1,0]
	v_mov_b32_e32 v5, v10
	v_pk_fma_f32 v[2:3], v[2:3], v[4:5], v[18:19]
.LBB9_12:
	s_or_b64 exec, exec, s[2:3]
	v_cmp_gt_u32_e32 vcc, 62, v16
	s_waitcnt lgkmcnt(1)
	v_cndmask_b32_e64 v4, 0, 1, vcc
	v_lshlrev_b32_e32 v4, 1, v4
	v_add_lshl_u32 v5, v4, v15, 2
	ds_bpermute_b32 v8, v5, v12
	ds_bpermute_b32 v10, v5, v2
	;; [unrolled: 1-line block ×3, first 2 shown]
	v_mov_b32_e32 v4, 0
	v_mov_b32_e32 v6, 0
	s_waitcnt lgkmcnt(2)
	v_add_f32_e32 v17, v12, v8
	v_cmp_lt_f32_e32 vcc, 0, v17
	v_mov_b32_e32 v7, 0
	s_and_saveexec_b64 s[2:3], vcc
	s_cbranch_execz .LBB9_14
; %bb.13:
	v_div_scale_f32 v5, s[8:9], v17, v17, 1.0
	v_rcp_f32_e32 v6, v5
	s_waitcnt lgkmcnt(1)
	v_sub_f32_e32 v7, v2, v10
	v_mul_f32_e32 v7, v7, v7
	v_fma_f32 v11, -v5, v6, 1.0
	v_fmac_f32_e32 v6, v11, v6
	v_div_scale_f32 v11, vcc, 1.0, v17, 1.0
	v_mul_f32_e32 v18, v11, v6
	v_fma_f32 v19, -v5, v18, v11
	v_fmac_f32_e32 v18, v19, v6
	v_fma_f32 v5, -v5, v18, v11
	v_div_fmas_f32 v5, v5, v6, v18
	v_div_fixup_f32 v6, v5, v17, 1.0
	v_mul_f32_e32 v12, v12, v6
	s_waitcnt lgkmcnt(0)
	v_pk_mul_f32 v[18:19], v[2:3], v[12:13]
	v_pk_add_f32 v[2:3], v[2:3], v[12:13]
	v_mov_b32_e32 v19, v3
	v_pk_mul_f32 v[2:3], v[6:7], v[8:9] op_sel_hi:[1,0]
	v_mov_b32_e32 v11, v12
	v_pk_fma_f32 v[6:7], v[2:3], v[10:11], v[18:19]
.LBB9_14:
	s_or_b64 exec, exec, s[2:3]
	v_cmp_ne_u32_e32 vcc, 63, v16
	v_addc_co_u32_e32 v2, vcc, 0, v15, vcc
	v_lshlrev_b32_e32 v3, 2, v2
	ds_bpermute_b32 v8, v3, v17
	ds_bpermute_b32 v2, v3, v6
	;; [unrolled: 1-line block ×3, first 2 shown]
	v_mov_b32_e32 v5, 0
	s_waitcnt lgkmcnt(2)
	v_add_f32_e32 v12, v17, v8
	v_cmp_lt_f32_e32 vcc, 0, v12
	s_and_saveexec_b64 s[2:3], vcc
	s_cbranch_execz .LBB9_16
; %bb.15:
	v_div_scale_f32 v3, s[8:9], v12, v12, 1.0
	v_rcp_f32_e32 v4, v3
	s_waitcnt lgkmcnt(1)
	v_sub_f32_e32 v5, v6, v2
	v_mul_f32_e32 v5, v5, v5
	v_fma_f32 v10, -v3, v4, 1.0
	v_fmac_f32_e32 v4, v10, v4
	v_div_scale_f32 v10, vcc, 1.0, v12, 1.0
	v_mul_f32_e32 v13, v10, v4
	v_fma_f32 v16, -v3, v13, v10
	v_fmac_f32_e32 v13, v16, v4
	v_fma_f32 v3, -v3, v13, v10
	v_div_fmas_f32 v3, v3, v4, v13
	v_div_fixup_f32 v4, v3, v12, 1.0
	v_mul_f32_e32 v10, v17, v4
	s_waitcnt lgkmcnt(0)
	v_pk_mul_f32 v[16:17], v[6:7], v[10:11]
	v_pk_add_f32 v[6:7], v[6:7], v[10:11]
	v_mov_b32_e32 v17, v7
	v_pk_mul_f32 v[4:5], v[4:5], v[8:9] op_sel_hi:[1,0]
	v_mov_b32_e32 v3, v10
	v_pk_fma_f32 v[4:5], v[4:5], v[2:3], v[16:17]
.LBB9_16:
	s_or_b64 exec, exec, s[2:3]
	s_cmp_lt_u32 s27, 2
	s_cbranch_scc0 .LBB9_18
; %bb.17:
	s_waitcnt lgkmcnt(1)
	v_lshlrev_b32_e32 v2, 2, v15
	v_and_b32_e32 v2, 0x100, v2
	ds_bpermute_b32 v3, v2, v5
	v_cvt_f32_i32_e32 v6, s16
	ds_bpermute_b32 v2, v2, v4
	s_waitcnt lgkmcnt(1)
	v_div_scale_f32 v7, s[2:3], v6, v6, v3
	v_rcp_f32_e32 v8, v7
	v_div_scale_f32 v10, vcc, v3, v6, v3
	v_fma_f32 v11, -v7, v8, 1.0
	v_fmac_f32_e32 v8, v11, v8
	v_mul_f32_e32 v11, v10, v8
	v_fma_f32 v13, -v7, v11, v10
	v_fmac_f32_e32 v11, v13, v8
	v_fma_f32 v7, -v7, v11, v10
	v_div_fmas_f32 v7, v7, v8, v11
	v_div_fixup_f32 v3, v7, v6, v3
	s_cbranch_execz .LBB9_19
	s_branch .LBB9_31
.LBB9_18:
                                        ; implicit-def: $vgpr2_vgpr3
.LBB9_19:
	s_lshl_b32 s2, s27, 2
	s_add_i32 s12, s2, 0
	v_cmp_eq_u32_e64 s[2:3], 0, v1
	v_lshl_add_u32 v6, v9, 2, s12
	v_lshl_add_u32 v7, v9, 3, 0
.LBB9_20:                               ; =>This Inner Loop Header: Depth=1
	s_lshr_b32 s13, s27, 1
	s_and_b32 s8, s27, 0xfffe
	v_cmp_le_u32_e32 vcc, s13, v9
	v_cmp_gt_u32_e64 s[8:9], s8, v9
	s_and_b64 s[8:9], vcc, s[8:9]
	s_and_b64 s[10:11], s[2:3], s[8:9]
	s_and_saveexec_b64 s[8:9], s[10:11]
	s_cbranch_execz .LBB9_22
; %bb.21:                               ;   in Loop: Header=BB9_20 Depth=1
	s_waitcnt lgkmcnt(0)
	v_subrev_u32_e32 v2, s13, v9
	v_lshl_add_u32 v3, v2, 3, 0
	v_lshl_add_u32 v2, v2, 2, s12
	ds_write2_b32 v3, v4, v5 offset1:1
	ds_write_b32 v2, v12
.LBB9_22:                               ;   in Loop: Header=BB9_20 Depth=1
	s_or_b64 exec, exec, s[8:9]
	v_cmp_gt_u32_e32 vcc, s13, v9
	s_and_b64 s[10:11], s[2:3], vcc
	s_waitcnt lgkmcnt(0)
	s_barrier
	s_and_saveexec_b64 s[8:9], s[10:11]
	s_cbranch_execz .LBB9_26
; %bb.23:                               ;   in Loop: Header=BB9_20 Depth=1
	ds_read_b32 v10, v6
	v_mov_b32_e32 v3, 0
	v_mov_b32_e32 v2, 0
	s_waitcnt lgkmcnt(0)
	v_add_f32_e32 v8, v12, v10
	v_cmp_lt_f32_e32 vcc, 0, v8
	s_and_saveexec_b64 s[10:11], vcc
	s_cbranch_execz .LBB9_25
; %bb.24:                               ;   in Loop: Header=BB9_20 Depth=1
	v_div_scale_f32 v11, s[14:15], v8, v8, 1.0
	v_rcp_f32_e32 v13, v11
	ds_read2_b32 v[2:3], v7 offset1:1
	v_fma_f32 v16, -v11, v13, 1.0
	v_fmac_f32_e32 v13, v16, v13
	v_div_scale_f32 v16, vcc, 1.0, v8, 1.0
	v_mul_f32_e32 v17, v16, v13
	v_fma_f32 v18, -v11, v17, v16
	v_fmac_f32_e32 v17, v18, v13
	v_fma_f32 v11, -v11, v17, v16
	v_div_fmas_f32 v11, v11, v13, v17
	s_waitcnt lgkmcnt(0)
	v_sub_f32_e32 v15, v4, v2
	v_div_fixup_f32 v11, v11, v8, 1.0
	v_mul_f32_e32 v13, v10, v11
	v_add_f32_e32 v3, v5, v3
	v_mul_f32_e32 v5, v15, v15
	v_mul_f32_e32 v12, v12, v11
	;; [unrolled: 1-line block ×4, first 2 shown]
	v_pk_fma_f32 v[2:3], v[4:5], v[12:13], v[2:3] op_sel_hi:[1,0,1]
.LBB9_25:                               ;   in Loop: Header=BB9_20 Depth=1
	s_or_b64 exec, exec, s[10:11]
	v_mov_b32_e32 v12, v8
	v_mov_b32_e32 v4, v2
	;; [unrolled: 1-line block ×3, first 2 shown]
.LBB9_26:                               ;   in Loop: Header=BB9_20 Depth=1
	s_or_b64 exec, exec, s[8:9]
	s_cmp_lt_u32 s27, 4
	s_barrier
	s_cbranch_scc1 .LBB9_28
; %bb.27:                               ;   in Loop: Header=BB9_20 Depth=1
	s_mov_b32 s27, s13
	s_branch .LBB9_20
.LBB9_28:
	v_or_b32_e32 v1, v1, v9
	v_cmp_eq_u32_e32 vcc, 0, v1
	s_and_saveexec_b64 s[2:3], vcc
	s_cbranch_execz .LBB9_30
; %bb.29:
	v_cvt_f32_i32_e32 v1, s16
	v_div_scale_f32 v2, s[8:9], v1, v1, v5
	v_rcp_f32_e32 v3, v2
	v_div_scale_f32 v6, vcc, v5, v1, v5
	v_fma_f32 v7, -v2, v3, 1.0
	v_fmac_f32_e32 v3, v7, v3
	v_mul_f32_e32 v7, v6, v3
	v_fma_f32 v8, -v2, v7, v6
	v_fmac_f32_e32 v7, v8, v3
	v_fma_f32 v2, -v2, v7, v6
	v_div_fmas_f32 v2, v2, v3, v7
	v_div_fixup_f32 v1, v2, v1, v5
	v_mov_b32_e32 v2, 0
	ds_write2_b32 v2, v4, v1 offset1:1
.LBB9_30:
	s_or_b64 exec, exec, s[2:3]
	v_mov_b32_e32 v1, 0
	s_waitcnt lgkmcnt(0)
	s_barrier
	ds_read2_b32 v[2:3], v1 offset1:1
.LBB9_31:
	s_waitcnt lgkmcnt(0)
	v_add_f32_e32 v1, s17, v3
	s_mov_b32 s2, 0x800000
	v_mul_f32_e32 v3, 0x4b800000, v1
	v_cmp_gt_f32_e32 vcc, s2, v1
	v_cndmask_b32_e32 v1, v1, v3, vcc
	v_rsq_f32_e32 v1, v1
	s_load_dwordx8 s[8:15], s[4:5], 0x10
	s_load_dwordx2 s[24:25], s[4:5], 0x30
	v_mul_f32_e32 v3, 0x45800000, v1
	v_cndmask_b32_e32 v4, v1, v3, vcc
	s_and_saveexec_b64 s[2:3], s[0:1]
	s_cbranch_execz .LBB9_46
; %bb.32:
	s_waitcnt lgkmcnt(0)
	s_cmp_eq_u64 s[8:9], 0
	s_cselect_b64 s[16:17], -1, 0
	s_cmp_eq_u64 s[10:11], 0
	s_cselect_b64 s[0:1], -1, 0
	s_lshl_b64 s[22:23], s[22:23], 1
	s_add_u32 s27, s24, s22
	s_addc_u32 s28, s25, s23
	s_add_u32 s29, s18, s22
	s_addc_u32 s30, s19, s23
	v_cndmask_b32_e64 v6, 0, 1, s[0:1]
	s_ashr_i32 s21, s20, 31
	s_mov_b64 s[4:5], 0
	s_or_b64 s[18:19], s[16:17], s[0:1]
	v_mov_b32_e32 v5, v4
	v_mov_b32_e32 v3, v2
	;; [unrolled: 1-line block ×3, first 2 shown]
	s_lshl_b64 s[22:23], s[20:21], 3
	s_movk_i32 s21, 0x7fff
	v_cmp_ne_u32_e64 s[0:1], 1, v6
	v_mov_b32_e32 v15, 0x7fc0
	v_mov_b32_e32 v16, 0x7fc00000
	;; [unrolled: 1-line block ×3, first 2 shown]
	s_branch .LBB9_34
.LBB9_33:                               ;   in Loop: Header=BB9_34 Depth=1
	v_bfe_u32 v6, v9, 16, 1
	s_add_u32 s29, s29, s22
	v_add3_u32 v6, v9, v6, s21
	s_addc_u32 s30, s30, s23
	v_and_b32_e32 v8, 0xffff0000, v6
	v_add_co_u32_e32 v6, vcc, s27, v0
	s_add_u32 s27, s27, s22
	v_mov_b32_e32 v7, s28
	s_addc_u32 s28, s28, s23
	s_add_u32 s8, s8, s22
	v_addc_co_u32_e32 v7, vcc, 0, v7, vcc
	s_addc_u32 s9, s9, s23
	v_cmp_o_f32_e32 vcc, v9, v9
	v_add_u32_e32 v17, s20, v17
	s_add_u32 s10, s10, s22
	v_cndmask_b32_e32 v9, v16, v8, vcc
	v_or_b32_sdwa v11, v1, v13 dst_sel:DWORD dst_unused:UNUSED_PAD src0_sel:DWORD src1_sel:WORD_0
	s_addc_u32 s11, s11, s23
	v_cmp_le_i32_e32 vcc, s26, v17
	v_lshl_or_b32 v8, v12, 16, v10
	v_or_b32_e32 v9, v11, v9
	s_or_b64 s[4:5], vcc, s[4:5]
	global_store_dwordx2 v[6:7], v[8:9], off
	s_andn2_b64 exec, exec, s[4:5]
	s_cbranch_execz .LBB9_46
.LBB9_34:                               ; =>This Inner Loop Header: Depth=1
	v_mov_b32_e32 v7, s30
	v_add_co_u32_e32 v6, vcc, s29, v0
	v_addc_co_u32_e32 v7, vcc, 0, v7, vcc
	global_load_dwordx2 v[6:7], v[6:7], off
	s_and_b64 vcc, exec, s[18:19]
	s_waitcnt vmcnt(0)
	v_lshrrev_b64 v[8:9], 16, v[6:7]
	s_cbranch_vccz .LBB9_38
; %bb.35:                               ;   in Loop: Header=BB9_34 Depth=1
	s_and_b64 vcc, exec, s[16:17]
	s_cbranch_vccz .LBB9_39
; %bb.36:                               ;   in Loop: Header=BB9_34 Depth=1
	s_and_b64 vcc, exec, s[0:1]
	s_cbranch_vccnz .LBB9_40
; %bb.37:                               ;   in Loop: Header=BB9_34 Depth=1
	v_lshlrev_b32_e32 v9, 16, v6
	v_sub_f32_e32 v9, v9, v2
	v_lshlrev_b32_e32 v13, 16, v7
	v_lshlrev_b32_e32 v12, 16, v8
	v_mul_f32_e32 v9, v4, v9
	v_pk_add_f32 v[12:13], v[12:13], v[2:3] neg_lo:[0,1] neg_hi:[0,1]
	v_bfe_u32 v10, v9, 16, 1
	v_pk_mul_f32 v[12:13], v[4:5], v[12:13]
	v_add3_u32 v10, v9, v10, s21
	v_bfe_u32 v11, v13, 16, 1
	v_lshrrev_b32_e32 v10, 16, v10
	v_cmp_o_f32_e32 vcc, v9, v9
	v_bfe_u32 v9, v12, 16, 1
	v_add3_u32 v11, v13, v11, s21
	v_cndmask_b32_e32 v10, v15, v10, vcc
	v_add3_u32 v9, v12, v9, s21
	v_lshrrev_b32_e32 v11, 16, v11
	v_cmp_o_f32_e32 vcc, v13, v13
	v_lshrrev_b32_e32 v9, 16, v9
	v_cndmask_b32_e32 v13, v15, v11, vcc
	v_cmp_o_f32_e32 vcc, v12, v12
	v_cndmask_b32_e32 v12, v15, v9, vcc
	v_and_b32_e32 v9, 0xffff0000, v7
	v_sub_f32_e32 v9, v9, v2
	v_mul_f32_e32 v9, v4, v9
	s_cbranch_execz .LBB9_41
	s_branch .LBB9_42
.LBB9_38:                               ;   in Loop: Header=BB9_34 Depth=1
                                        ; implicit-def: $vgpr12_vgpr13
                                        ; implicit-def: $vgpr9
                                        ; implicit-def: $vgpr10_vgpr11
	s_branch .LBB9_45
.LBB9_39:                               ;   in Loop: Header=BB9_34 Depth=1
                                        ; implicit-def: $vgpr12_vgpr13
                                        ; implicit-def: $vgpr9
                                        ; implicit-def: $vgpr10_vgpr11
	s_branch .LBB9_43
.LBB9_40:                               ;   in Loop: Header=BB9_34 Depth=1
                                        ; implicit-def: $vgpr12_vgpr13
                                        ; implicit-def: $vgpr9
                                        ; implicit-def: $vgpr10_vgpr11
.LBB9_41:                               ;   in Loop: Header=BB9_34 Depth=1
	v_mov_b32_e32 v9, s11
	v_add_co_u32_e32 v10, vcc, s10, v0
	v_addc_co_u32_e32 v11, vcc, 0, v9, vcc
	global_load_dwordx2 v[10:11], v[10:11], off
	v_lshlrev_b32_e32 v9, 16, v6
	v_lshlrev_b32_e32 v13, 16, v7
	v_lshlrev_b32_e32 v12, 16, v8
	v_and_b32_e32 v18, 0xffff0000, v7
	v_sub_f32_e32 v20, v9, v2
	v_pk_add_f32 v[12:13], v[12:13], v[2:3] neg_lo:[0,1] neg_hi:[0,1]
	v_sub_f32_e32 v21, v18, v2
	s_waitcnt vmcnt(0)
	v_lshlrev_b32_e32 v22, 16, v10
	v_lshlrev_b32_e32 v19, 16, v11
	v_and_b32_e32 v18, 0xffff0000, v10
	v_fmac_f32_e32 v22, v4, v20
	v_pk_fma_f32 v[12:13], v[4:5], v[12:13], v[18:19]
	v_bfe_u32 v10, v22, 16, 1
	v_bfe_u32 v18, v13, 16, 1
	v_add3_u32 v10, v22, v10, s21
	v_and_b32_e32 v9, 0xffff0000, v11
	v_bfe_u32 v11, v12, 16, 1
	v_add3_u32 v18, v13, v18, s21
	v_lshrrev_b32_e32 v10, 16, v10
	v_cmp_o_f32_e32 vcc, v22, v22
	v_add3_u32 v11, v12, v11, s21
	v_lshrrev_b32_e32 v18, 16, v18
	v_cndmask_b32_e32 v10, v15, v10, vcc
	v_cmp_o_f32_e32 vcc, v13, v13
	v_lshrrev_b32_e32 v11, 16, v11
	v_cndmask_b32_e32 v13, v15, v18, vcc
	v_cmp_o_f32_e32 vcc, v12, v12
	v_cndmask_b32_e32 v12, v15, v11, vcc
	v_fmac_f32_e32 v9, v4, v21
.LBB9_42:                               ;   in Loop: Header=BB9_34 Depth=1
	s_cbranch_execnz .LBB9_44
.LBB9_43:                               ;   in Loop: Header=BB9_34 Depth=1
	v_mov_b32_e32 v9, s9
	v_add_co_u32_e32 v10, vcc, s8, v0
	v_addc_co_u32_e32 v11, vcc, 0, v9, vcc
	global_load_dwordx2 v[10:11], v[10:11], off
	v_lshlrev_b32_e32 v9, 16, v6
	v_lshlrev_b32_e32 v13, 16, v7
	;; [unrolled: 1-line block ×3, first 2 shown]
	v_and_b32_e32 v18, 0xffff0000, v7
	v_sub_f32_e32 v9, v9, v2
	v_pk_add_f32 v[12:13], v[12:13], v[2:3] neg_lo:[0,1] neg_hi:[0,1]
	v_sub_f32_e32 v18, v18, v2
	v_mul_f32_e32 v9, v4, v9
	v_pk_mul_f32 v[12:13], v[4:5], v[12:13]
	v_mul_f32_e32 v20, v4, v18
	s_waitcnt vmcnt(0)
	v_lshlrev_b32_e32 v21, 16, v10
	v_lshlrev_b32_e32 v19, 16, v11
	v_and_b32_e32 v18, 0xffff0000, v10
	v_mul_f32_e32 v9, v9, v21
	v_pk_mul_f32 v[12:13], v[12:13], v[18:19]
	v_bfe_u32 v10, v9, 16, 1
	v_bfe_u32 v19, v13, 16, 1
	v_add3_u32 v10, v9, v10, s21
	v_bfe_u32 v18, v12, 16, 1
	v_add3_u32 v19, v13, v19, s21
	v_lshrrev_b32_e32 v10, 16, v10
	v_cmp_o_f32_e32 vcc, v9, v9
	v_add3_u32 v18, v12, v18, s21
	v_lshrrev_b32_e32 v19, 16, v19
	v_cndmask_b32_e32 v10, v15, v10, vcc
	v_cmp_o_f32_e32 vcc, v13, v13
	v_and_b32_e32 v11, 0xffff0000, v11
	v_lshrrev_b32_e32 v18, 16, v18
	v_cndmask_b32_e32 v13, v15, v19, vcc
	v_cmp_o_f32_e32 vcc, v12, v12
	v_cndmask_b32_e32 v12, v15, v18, vcc
	v_mul_f32_e32 v9, v20, v11
.LBB9_44:                               ;   in Loop: Header=BB9_34 Depth=1
	s_cbranch_execnz .LBB9_33
.LBB9_45:                               ;   in Loop: Header=BB9_34 Depth=1
	v_mov_b32_e32 v9, s9
	v_add_co_u32_e32 v10, vcc, s8, v0
	v_addc_co_u32_e32 v11, vcc, 0, v9, vcc
	v_mov_b32_e32 v9, s11
	v_add_co_u32_e32 v12, vcc, s10, v0
	v_addc_co_u32_e32 v13, vcc, 0, v9, vcc
	global_load_dwordx2 v[18:19], v[10:11], off
	global_load_dwordx2 v[20:21], v[12:13], off
	v_lshlrev_b32_e32 v6, 16, v6
	v_lshlrev_b32_e32 v9, 16, v7
	;; [unrolled: 1-line block ×3, first 2 shown]
	v_sub_f32_e32 v11, v6, v2
	v_and_b32_e32 v10, 0xffff0000, v7
	v_pk_add_f32 v[6:7], v[8:9], v[2:3] neg_lo:[0,1] neg_hi:[0,1]
	v_mul_f32_e32 v22, v4, v11
	v_sub_f32_e32 v8, v10, v2
	v_pk_mul_f32 v[6:7], v[4:5], v[6:7]
	v_mul_f32_e32 v8, v4, v8
	s_waitcnt vmcnt(1)
	v_lshlrev_b32_e32 v23, 16, v18
	s_waitcnt vmcnt(0)
	v_lshlrev_b32_e32 v24, 16, v20
	v_lshlrev_b32_e32 v11, 16, v19
	v_and_b32_e32 v10, 0xffff0000, v18
	v_lshlrev_b32_e32 v13, 16, v21
	v_and_b32_e32 v12, 0xffff0000, v20
	v_fmac_f32_e32 v24, v22, v23
	v_pk_fma_f32 v[6:7], v[6:7], v[10:11], v[12:13]
	v_bfe_u32 v10, v24, 16, 1
	v_bfe_u32 v12, v7, 16, 1
	v_add3_u32 v10, v24, v10, s21
	v_bfe_u32 v11, v6, 16, 1
	v_add3_u32 v12, v7, v12, s21
	v_lshrrev_b32_e32 v10, 16, v10
	v_cmp_o_f32_e32 vcc, v24, v24
	v_add3_u32 v11, v6, v11, s21
	v_lshrrev_b32_e32 v12, 16, v12
	v_cndmask_b32_e32 v10, v15, v10, vcc
	v_cmp_o_f32_e32 vcc, v7, v7
	v_and_b32_e32 v18, 0xffff0000, v19
	v_and_b32_e32 v9, 0xffff0000, v21
	v_lshrrev_b32_e32 v11, 16, v11
	v_cndmask_b32_e32 v13, v15, v12, vcc
	v_cmp_o_f32_e32 vcc, v6, v6
	v_cndmask_b32_e32 v12, v15, v11, vcc
	v_fmac_f32_e32 v9, v8, v18
	s_branch .LBB9_33
.LBB9_46:
	s_or_b64 exec, exec, s[2:3]
	v_cmp_eq_u32_e32 vcc, 0, v14
	s_and_saveexec_b64 s[0:1], vcc
	s_cbranch_execz .LBB9_48
; %bb.47:
	s_lshl_b64 s[0:1], s[6:7], 2
	s_waitcnt lgkmcnt(0)
	s_add_u32 s2, s12, s0
	s_addc_u32 s3, s13, s1
	v_mov_b32_e32 v0, 0
	s_add_u32 s0, s14, s0
	s_addc_u32 s1, s15, s1
	global_store_dword v0, v2, s[2:3]
	global_store_dword v0, v4, s[0:1]
.LBB9_48:
	s_endpgm
	.section	.rodata,"a",@progbits
	.p2align	6, 0x0
	.amdhsa_kernel _ZN2at6native12_GLOBAL__N_128vectorized_layer_norm_kernelIN3c108BFloat16EfLb0EEEviT0_PKT_S8_S8_PS5_S9_PS6_
		.amdhsa_group_segment_fixed_size 0
		.amdhsa_private_segment_fixed_size 0
		.amdhsa_kernarg_size 312
		.amdhsa_user_sgpr_count 6
		.amdhsa_user_sgpr_private_segment_buffer 1
		.amdhsa_user_sgpr_dispatch_ptr 0
		.amdhsa_user_sgpr_queue_ptr 0
		.amdhsa_user_sgpr_kernarg_segment_ptr 1
		.amdhsa_user_sgpr_dispatch_id 0
		.amdhsa_user_sgpr_flat_scratch_init 0
		.amdhsa_user_sgpr_kernarg_preload_length 0
		.amdhsa_user_sgpr_kernarg_preload_offset 0
		.amdhsa_user_sgpr_private_segment_size 0
		.amdhsa_uses_dynamic_stack 0
		.amdhsa_system_sgpr_private_segment_wavefront_offset 0
		.amdhsa_system_sgpr_workgroup_id_x 1
		.amdhsa_system_sgpr_workgroup_id_y 0
		.amdhsa_system_sgpr_workgroup_id_z 0
		.amdhsa_system_sgpr_workgroup_info 0
		.amdhsa_system_vgpr_workitem_id 1
		.amdhsa_next_free_vgpr 33
		.amdhsa_next_free_sgpr 31
		.amdhsa_accum_offset 36
		.amdhsa_reserve_vcc 1
		.amdhsa_reserve_flat_scratch 0
		.amdhsa_float_round_mode_32 0
		.amdhsa_float_round_mode_16_64 0
		.amdhsa_float_denorm_mode_32 3
		.amdhsa_float_denorm_mode_16_64 3
		.amdhsa_dx10_clamp 1
		.amdhsa_ieee_mode 1
		.amdhsa_fp16_overflow 0
		.amdhsa_tg_split 0
		.amdhsa_exception_fp_ieee_invalid_op 0
		.amdhsa_exception_fp_denorm_src 0
		.amdhsa_exception_fp_ieee_div_zero 0
		.amdhsa_exception_fp_ieee_overflow 0
		.amdhsa_exception_fp_ieee_underflow 0
		.amdhsa_exception_fp_ieee_inexact 0
		.amdhsa_exception_int_div_zero 0
	.end_amdhsa_kernel
	.section	.text._ZN2at6native12_GLOBAL__N_128vectorized_layer_norm_kernelIN3c108BFloat16EfLb0EEEviT0_PKT_S8_S8_PS5_S9_PS6_,"axG",@progbits,_ZN2at6native12_GLOBAL__N_128vectorized_layer_norm_kernelIN3c108BFloat16EfLb0EEEviT0_PKT_S8_S8_PS5_S9_PS6_,comdat
.Lfunc_end9:
	.size	_ZN2at6native12_GLOBAL__N_128vectorized_layer_norm_kernelIN3c108BFloat16EfLb0EEEviT0_PKT_S8_S8_PS5_S9_PS6_, .Lfunc_end9-_ZN2at6native12_GLOBAL__N_128vectorized_layer_norm_kernelIN3c108BFloat16EfLb0EEEviT0_PKT_S8_S8_PS5_S9_PS6_
                                        ; -- End function
	.section	.AMDGPU.csdata,"",@progbits
; Kernel info:
; codeLenInByte = 3752
; NumSgprs: 35
; NumVgprs: 33
; NumAgprs: 0
; TotalNumVgprs: 33
; ScratchSize: 0
; MemoryBound: 0
; FloatMode: 240
; IeeeMode: 1
; LDSByteSize: 0 bytes/workgroup (compile time only)
; SGPRBlocks: 4
; VGPRBlocks: 4
; NumSGPRsForWavesPerEU: 35
; NumVGPRsForWavesPerEU: 33
; AccumOffset: 36
; Occupancy: 8
; WaveLimiterHint : 0
; COMPUTE_PGM_RSRC2:SCRATCH_EN: 0
; COMPUTE_PGM_RSRC2:USER_SGPR: 6
; COMPUTE_PGM_RSRC2:TRAP_HANDLER: 0
; COMPUTE_PGM_RSRC2:TGID_X_EN: 1
; COMPUTE_PGM_RSRC2:TGID_Y_EN: 0
; COMPUTE_PGM_RSRC2:TGID_Z_EN: 0
; COMPUTE_PGM_RSRC2:TIDIG_COMP_CNT: 1
; COMPUTE_PGM_RSRC3_GFX90A:ACCUM_OFFSET: 8
; COMPUTE_PGM_RSRC3_GFX90A:TG_SPLIT: 0
	.section	.text._ZN2at6native12_GLOBAL__N_124RowwiseMomentsCUDAKernelIN3c108BFloat16EfLb0EEEvlT0_PKT_PS5_S9_,"axG",@progbits,_ZN2at6native12_GLOBAL__N_124RowwiseMomentsCUDAKernelIN3c108BFloat16EfLb0EEEvlT0_PKT_PS5_S9_,comdat
	.globl	_ZN2at6native12_GLOBAL__N_124RowwiseMomentsCUDAKernelIN3c108BFloat16EfLb0EEEvlT0_PKT_PS5_S9_ ; -- Begin function _ZN2at6native12_GLOBAL__N_124RowwiseMomentsCUDAKernelIN3c108BFloat16EfLb0EEEvlT0_PKT_PS5_S9_
	.p2align	8
	.type	_ZN2at6native12_GLOBAL__N_124RowwiseMomentsCUDAKernelIN3c108BFloat16EfLb0EEEvlT0_PKT_PS5_S9_,@function
_ZN2at6native12_GLOBAL__N_124RowwiseMomentsCUDAKernelIN3c108BFloat16EfLb0EEEvlT0_PKT_PS5_S9_: ; @_ZN2at6native12_GLOBAL__N_124RowwiseMomentsCUDAKernelIN3c108BFloat16EfLb0EEEvlT0_PKT_PS5_S9_
; %bb.0:
	s_load_dwordx2 s[10:11], s[4:5], 0x0
	s_load_dwordx4 s[0:3], s[4:5], 0x10
	s_load_dwordx2 s[8:9], s[4:5], 0x20
	s_mov_b32 s7, 0
	v_mov_b32_e32 v1, 0
	s_mov_b32 s12, s7
	s_mov_b32 s13, s7
	s_waitcnt lgkmcnt(0)
	v_cmp_gt_i64_e32 vcc, s[10:11], v[0:1]
	v_pk_mov_b32 v[2:3], s[12:13], s[12:13] op_sel:[0,1]
	v_pk_mov_b32 v[4:5], 0, 0
	s_and_saveexec_b64 s[12:13], vcc
	s_cbranch_execz .LBB10_4
; %bb.1:
	s_load_dword s14, s[4:5], 0x34
	s_mul_i32 s15, s11, s6
	s_mul_hi_u32 s16, s10, s6
	s_add_i32 s15, s16, s15
	v_lshlrev_b32_e32 v2, 1, v0
	s_waitcnt lgkmcnt(0)
	s_and_b32 s16, s14, 0xffff
	s_mul_i32 s14, s10, s6
	s_lshl_b64 s[14:15], s[14:15], 1
	s_add_u32 s0, s0, s14
	s_addc_u32 s1, s1, s15
	v_mov_b32_e32 v3, s1
	v_add_co_u32_e32 v6, vcc, s0, v2
	v_addc_co_u32_e32 v7, vcc, 0, v3, vcc
	s_lshl_b32 s17, s16, 1
	s_mov_b64 s[0:1], 0
	v_mov_b32_e32 v2, 0
	v_mov_b32_e32 v10, s7
	;; [unrolled: 1-line block ×3, first 2 shown]
	v_pk_mov_b32 v[8:9], v[0:1], v[0:1] op_sel:[0,1]
	s_mov_b64 s[14:15], 0
	v_mov_b32_e32 v3, 0
.LBB10_2:                               ; =>This Inner Loop Header: Depth=1
	global_load_ushort v12, v[6:7], off
	s_add_u32 s14, s14, 1
	s_addc_u32 s15, s15, 0
	s_flbit_i32_b32 s18, s15
	s_min_u32 s20, s18, 32
	s_lshl_b64 s[18:19], s[14:15], s20
	s_min_u32 s18, s18, 1
	s_or_b32 s18, s19, s18
	v_cvt_f32_u32_e32 v1, s18
	s_sub_i32 s20, 32, s20
	v_add_co_u32_e32 v8, vcc, s16, v8
	v_ldexp_f32 v1, v1, s20
	v_addc_co_u32_e32 v9, vcc, v9, v10, vcc
	v_add_co_u32_e32 v6, vcc, s17, v6
	v_addc_co_u32_e32 v7, vcc, v7, v11, vcc
	v_cmp_le_i64_e32 vcc, s[10:11], v[8:9]
	s_or_b64 s[0:1], vcc, s[0:1]
	v_pk_mov_b32 v[4:5], s[14:15], s[14:15] op_sel:[0,1]
	s_waitcnt vmcnt(0)
	v_lshlrev_b32_e32 v12, 16, v12
	v_sub_f32_e32 v13, v12, v3
	v_div_scale_f32 v14, s[18:19], v1, v1, v13
	v_rcp_f32_e32 v15, v14
	v_div_scale_f32 v16, vcc, v13, v1, v13
	v_fma_f32 v17, -v14, v15, 1.0
	v_fmac_f32_e32 v15, v17, v15
	v_mul_f32_e32 v17, v16, v15
	v_fma_f32 v18, -v14, v17, v16
	v_fmac_f32_e32 v17, v18, v15
	v_fma_f32 v14, -v14, v17, v16
	v_div_fmas_f32 v14, v14, v15, v17
	v_div_fixup_f32 v14, v14, v1, v13
	v_add_f32_e32 v3, v3, v14
	v_sub_f32_e32 v12, v12, v3
	v_fmac_f32_e32 v2, v13, v12
	s_andn2_b64 exec, exec, s[0:1]
	s_cbranch_execnz .LBB10_2
; %bb.3:
	s_or_b64 exec, exec, s[0:1]
.LBB10_4:
	s_or_b64 exec, exec, s[12:13]
	v_mbcnt_lo_u32_b32 v6, -1, 0
	v_mbcnt_hi_u32_b32 v14, -1, v6
	v_and_b32_e32 v15, 63, v14
	v_cmp_gt_u32_e32 vcc, 32, v15
	v_cndmask_b32_e64 v6, 0, 1, vcc
	v_lshlrev_b32_e32 v6, 5, v6
	v_add_lshl_u32 v10, v6, v14, 2
	ds_bpermute_b32 v7, v10, v3
	ds_bpermute_b32 v6, v10, v2
	;; [unrolled: 1-line block ×5, first 2 shown]
	v_cmp_neq_f32_e32 vcc, 0, v1
	s_and_saveexec_b64 s[0:1], vcc
	s_xor_b64 s[0:1], exec, s[0:1]
	s_cbranch_execz .LBB10_8
; %bb.5:
	s_waitcnt lgkmcnt(0)
	v_cmp_neq_f32_e32 vcc, 0, v11
	s_and_saveexec_b64 s[10:11], vcc
	s_cbranch_execz .LBB10_7
; %bb.6:
	v_add_f32_e32 v9, v1, v11
	v_div_scale_f32 v8, s[12:13], v9, v9, v11
	v_rcp_f32_e32 v12, v8
	v_pk_add_f32 v[4:5], v[6:7], v[2:3] neg_lo:[0,1] neg_hi:[0,1]
	v_pk_add_f32 v[6:7], v[2:3], v[6:7]
	v_mul_f32_e32 v2, v5, v5
	v_fma_f32 v4, -v8, v12, 1.0
	v_fmac_f32_e32 v12, v4, v12
	v_div_scale_f32 v4, vcc, v11, v9, v11
	v_mul_f32_e32 v13, v4, v12
	v_fma_f32 v16, -v8, v13, v4
	v_fmac_f32_e32 v13, v16, v12
	v_fma_f32 v4, -v8, v13, v4
	v_div_fmas_f32 v4, v4, v12, v13
	v_div_fixup_f32 v8, v4, v9, v11
	v_mul_f32_e32 v4, v1, v2
	v_mov_b32_e32 v7, v3
	v_pk_fma_f32 v[2:3], v[4:5], v[8:9], v[6:7] op_sel_hi:[1,0,1]
	v_pk_mov_b32 v[4:5], -1, -1
	v_mov_b32_e32 v1, v9
.LBB10_7:
	s_or_b64 exec, exec, s[10:11]
                                        ; implicit-def: $vgpr6_vgpr7
                                        ; implicit-def: $vgpr8
                                        ; implicit-def: $vgpr11
.LBB10_8:
	s_andn2_saveexec_b64 s[0:1], s[0:1]
	s_cbranch_execz .LBB10_10
; %bb.9:
	s_waitcnt lgkmcnt(0)
	v_mov_b32_e32 v1, v11
	v_pk_mov_b32 v[4:5], v[8:9], v[8:9] op_sel:[0,1]
	v_pk_mov_b32 v[2:3], v[6:7], v[6:7] op_sel:[0,1]
.LBB10_10:
	s_or_b64 exec, exec, s[0:1]
	v_cmp_gt_u32_e32 vcc, 48, v15
	s_waitcnt lgkmcnt(3)
	v_cndmask_b32_e64 v6, 0, 1, vcc
	v_lshlrev_b32_e32 v6, 4, v6
	s_waitcnt lgkmcnt(0)
	v_add_lshl_u32 v11, v6, v14, 2
	ds_bpermute_b32 v7, v11, v3
	ds_bpermute_b32 v6, v11, v2
	ds_bpermute_b32 v8, v11, v4
	ds_bpermute_b32 v9, v11, v5
	ds_bpermute_b32 v12, v11, v1
	v_cmp_neq_f32_e32 vcc, 0, v1
	s_and_saveexec_b64 s[0:1], vcc
	s_xor_b64 s[0:1], exec, s[0:1]
	s_cbranch_execz .LBB10_14
; %bb.11:
	s_waitcnt lgkmcnt(0)
	v_cmp_neq_f32_e32 vcc, 0, v12
	s_and_saveexec_b64 s[10:11], vcc
	s_cbranch_execz .LBB10_13
; %bb.12:
	v_add_f32_e32 v9, v1, v12
	v_div_scale_f32 v8, s[12:13], v9, v9, v12
	v_rcp_f32_e32 v13, v8
	v_pk_add_f32 v[4:5], v[6:7], v[2:3] neg_lo:[0,1] neg_hi:[0,1]
	v_pk_add_f32 v[6:7], v[2:3], v[6:7]
	v_mul_f32_e32 v2, v5, v5
	v_fma_f32 v4, -v8, v13, 1.0
	v_fmac_f32_e32 v13, v4, v13
	v_div_scale_f32 v4, vcc, v12, v9, v12
	v_mul_f32_e32 v16, v4, v13
	v_fma_f32 v17, -v8, v16, v4
	v_fmac_f32_e32 v16, v17, v13
	v_fma_f32 v4, -v8, v16, v4
	v_div_fmas_f32 v4, v4, v13, v16
	v_div_fixup_f32 v8, v4, v9, v12
	v_mul_f32_e32 v4, v1, v2
	v_mov_b32_e32 v7, v3
	v_pk_fma_f32 v[2:3], v[4:5], v[8:9], v[6:7] op_sel_hi:[1,0,1]
	v_pk_mov_b32 v[4:5], -1, -1
	v_mov_b32_e32 v1, v9
.LBB10_13:
	s_or_b64 exec, exec, s[10:11]
                                        ; implicit-def: $vgpr6_vgpr7
                                        ; implicit-def: $vgpr8
                                        ; implicit-def: $vgpr12
.LBB10_14:
	s_andn2_saveexec_b64 s[0:1], s[0:1]
	s_cbranch_execz .LBB10_16
; %bb.15:
	s_waitcnt lgkmcnt(0)
	v_mov_b32_e32 v1, v12
	v_pk_mov_b32 v[4:5], v[8:9], v[8:9] op_sel:[0,1]
	v_pk_mov_b32 v[2:3], v[6:7], v[6:7] op_sel:[0,1]
.LBB10_16:
	s_or_b64 exec, exec, s[0:1]
	v_cmp_gt_u32_e32 vcc, 56, v15
	s_waitcnt lgkmcnt(3)
	v_cndmask_b32_e64 v6, 0, 1, vcc
	v_lshlrev_b32_e32 v6, 3, v6
	s_waitcnt lgkmcnt(0)
	v_add_lshl_u32 v12, v6, v14, 2
	ds_bpermute_b32 v7, v12, v3
	ds_bpermute_b32 v6, v12, v2
	;; [unrolled: 1-line block ×5, first 2 shown]
	v_cmp_neq_f32_e32 vcc, 0, v1
	s_and_saveexec_b64 s[0:1], vcc
	s_xor_b64 s[0:1], exec, s[0:1]
	s_cbranch_execz .LBB10_20
; %bb.17:
	s_waitcnt lgkmcnt(0)
	v_cmp_neq_f32_e32 vcc, 0, v13
	s_and_saveexec_b64 s[10:11], vcc
	s_cbranch_execz .LBB10_19
; %bb.18:
	v_add_f32_e32 v9, v1, v13
	v_div_scale_f32 v8, s[12:13], v9, v9, v13
	v_rcp_f32_e32 v16, v8
	v_pk_add_f32 v[4:5], v[6:7], v[2:3] neg_lo:[0,1] neg_hi:[0,1]
	v_pk_add_f32 v[6:7], v[2:3], v[6:7]
	v_mul_f32_e32 v2, v5, v5
	v_fma_f32 v4, -v8, v16, 1.0
	v_fmac_f32_e32 v16, v4, v16
	v_div_scale_f32 v4, vcc, v13, v9, v13
	v_mul_f32_e32 v17, v4, v16
	v_fma_f32 v18, -v8, v17, v4
	v_fmac_f32_e32 v17, v18, v16
	v_fma_f32 v4, -v8, v17, v4
	v_div_fmas_f32 v4, v4, v16, v17
	v_div_fixup_f32 v8, v4, v9, v13
	v_mul_f32_e32 v4, v1, v2
	v_mov_b32_e32 v7, v3
	v_pk_fma_f32 v[2:3], v[4:5], v[8:9], v[6:7] op_sel_hi:[1,0,1]
	v_pk_mov_b32 v[4:5], -1, -1
	v_mov_b32_e32 v1, v9
.LBB10_19:
	s_or_b64 exec, exec, s[10:11]
                                        ; implicit-def: $vgpr6_vgpr7
                                        ; implicit-def: $vgpr8
                                        ; implicit-def: $vgpr13
.LBB10_20:
	s_andn2_saveexec_b64 s[0:1], s[0:1]
	s_cbranch_execz .LBB10_22
; %bb.21:
	s_waitcnt lgkmcnt(0)
	v_mov_b32_e32 v1, v13
	v_pk_mov_b32 v[4:5], v[8:9], v[8:9] op_sel:[0,1]
	v_pk_mov_b32 v[2:3], v[6:7], v[6:7] op_sel:[0,1]
.LBB10_22:
	s_or_b64 exec, exec, s[0:1]
	v_cmp_gt_u32_e32 vcc, 60, v15
	s_waitcnt lgkmcnt(3)
	v_cndmask_b32_e64 v6, 0, 1, vcc
	v_lshlrev_b32_e32 v6, 2, v6
	s_waitcnt lgkmcnt(0)
	v_add_lshl_u32 v13, v6, v14, 2
	ds_bpermute_b32 v7, v13, v3
	ds_bpermute_b32 v6, v13, v2
	;; [unrolled: 1-line block ×5, first 2 shown]
	v_cmp_neq_f32_e32 vcc, 0, v1
	s_and_saveexec_b64 s[0:1], vcc
	s_xor_b64 s[0:1], exec, s[0:1]
	s_cbranch_execz .LBB10_26
; %bb.23:
	s_waitcnt lgkmcnt(0)
	v_cmp_neq_f32_e32 vcc, 0, v16
	s_and_saveexec_b64 s[10:11], vcc
	s_cbranch_execz .LBB10_25
; %bb.24:
	v_add_f32_e32 v9, v1, v16
	v_div_scale_f32 v8, s[12:13], v9, v9, v16
	v_rcp_f32_e32 v17, v8
	v_pk_add_f32 v[4:5], v[6:7], v[2:3] neg_lo:[0,1] neg_hi:[0,1]
	v_pk_add_f32 v[6:7], v[2:3], v[6:7]
	v_mul_f32_e32 v2, v5, v5
	v_fma_f32 v4, -v8, v17, 1.0
	v_fmac_f32_e32 v17, v4, v17
	v_div_scale_f32 v4, vcc, v16, v9, v16
	v_mul_f32_e32 v18, v4, v17
	v_fma_f32 v19, -v8, v18, v4
	v_fmac_f32_e32 v18, v19, v17
	v_fma_f32 v4, -v8, v18, v4
	v_div_fmas_f32 v4, v4, v17, v18
	v_div_fixup_f32 v8, v4, v9, v16
	v_mul_f32_e32 v4, v1, v2
	v_mov_b32_e32 v7, v3
	v_pk_fma_f32 v[2:3], v[4:5], v[8:9], v[6:7] op_sel_hi:[1,0,1]
	v_pk_mov_b32 v[4:5], -1, -1
	v_mov_b32_e32 v1, v9
.LBB10_25:
	s_or_b64 exec, exec, s[10:11]
                                        ; implicit-def: $vgpr6_vgpr7
                                        ; implicit-def: $vgpr8
                                        ; implicit-def: $vgpr16
.LBB10_26:
	s_andn2_saveexec_b64 s[0:1], s[0:1]
	s_cbranch_execz .LBB10_28
; %bb.27:
	s_waitcnt lgkmcnt(0)
	v_mov_b32_e32 v1, v16
	v_pk_mov_b32 v[4:5], v[8:9], v[8:9] op_sel:[0,1]
	v_pk_mov_b32 v[2:3], v[6:7], v[6:7] op_sel:[0,1]
.LBB10_28:
	s_or_b64 exec, exec, s[0:1]
	v_cmp_gt_u32_e32 vcc, 62, v15
	s_waitcnt lgkmcnt(3)
	v_cndmask_b32_e64 v6, 0, 1, vcc
	v_lshlrev_b32_e32 v6, 1, v6
	s_waitcnt lgkmcnt(0)
	v_add_lshl_u32 v16, v6, v14, 2
	ds_bpermute_b32 v7, v16, v3
	ds_bpermute_b32 v6, v16, v2
	;; [unrolled: 1-line block ×5, first 2 shown]
	v_cmp_neq_f32_e32 vcc, 0, v1
	s_and_saveexec_b64 s[0:1], vcc
	s_xor_b64 s[0:1], exec, s[0:1]
	s_cbranch_execz .LBB10_32
; %bb.29:
	s_waitcnt lgkmcnt(0)
	v_cmp_neq_f32_e32 vcc, 0, v17
	s_and_saveexec_b64 s[10:11], vcc
	s_cbranch_execz .LBB10_31
; %bb.30:
	v_add_f32_e32 v9, v1, v17
	v_div_scale_f32 v8, s[12:13], v9, v9, v17
	v_rcp_f32_e32 v18, v8
	v_pk_add_f32 v[4:5], v[6:7], v[2:3] neg_lo:[0,1] neg_hi:[0,1]
	v_pk_add_f32 v[6:7], v[2:3], v[6:7]
	v_mul_f32_e32 v2, v5, v5
	v_fma_f32 v4, -v8, v18, 1.0
	v_fmac_f32_e32 v18, v4, v18
	v_div_scale_f32 v4, vcc, v17, v9, v17
	v_mul_f32_e32 v19, v4, v18
	v_fma_f32 v20, -v8, v19, v4
	v_fmac_f32_e32 v19, v20, v18
	v_fma_f32 v4, -v8, v19, v4
	v_div_fmas_f32 v4, v4, v18, v19
	v_div_fixup_f32 v8, v4, v9, v17
	v_mul_f32_e32 v4, v1, v2
	v_mov_b32_e32 v7, v3
	v_pk_fma_f32 v[2:3], v[4:5], v[8:9], v[6:7] op_sel_hi:[1,0,1]
	v_pk_mov_b32 v[4:5], -1, -1
	v_mov_b32_e32 v1, v9
.LBB10_31:
	s_or_b64 exec, exec, s[10:11]
                                        ; implicit-def: $vgpr6_vgpr7
                                        ; implicit-def: $vgpr8
                                        ; implicit-def: $vgpr17
.LBB10_32:
	s_andn2_saveexec_b64 s[0:1], s[0:1]
	s_cbranch_execz .LBB10_34
; %bb.33:
	s_waitcnt lgkmcnt(0)
	v_mov_b32_e32 v1, v17
	v_pk_mov_b32 v[4:5], v[8:9], v[8:9] op_sel:[0,1]
	v_pk_mov_b32 v[2:3], v[6:7], v[6:7] op_sel:[0,1]
.LBB10_34:
	s_or_b64 exec, exec, s[0:1]
	v_cmp_ne_u32_e32 vcc, 63, v15
	s_waitcnt lgkmcnt(3)
	v_addc_co_u32_e32 v6, vcc, 0, v14, vcc
	v_lshlrev_b32_e32 v14, 2, v6
	ds_bpermute_b32 v7, v14, v3
	ds_bpermute_b32 v6, v14, v2
	s_waitcnt lgkmcnt(4)
	ds_bpermute_b32 v8, v14, v4
	s_waitcnt lgkmcnt(4)
	ds_bpermute_b32 v9, v14, v5
	ds_bpermute_b32 v15, v14, v1
	v_cmp_neq_f32_e32 vcc, 0, v1
	s_and_saveexec_b64 s[0:1], vcc
	s_xor_b64 s[0:1], exec, s[0:1]
	s_cbranch_execz .LBB10_38
; %bb.35:
	s_waitcnt lgkmcnt(0)
	v_cmp_neq_f32_e32 vcc, 0, v15
	s_and_saveexec_b64 s[10:11], vcc
	s_cbranch_execz .LBB10_37
; %bb.36:
	v_add_f32_e32 v9, v1, v15
	v_div_scale_f32 v8, s[12:13], v9, v9, v15
	v_rcp_f32_e32 v17, v8
	v_pk_add_f32 v[4:5], v[6:7], v[2:3] neg_lo:[0,1] neg_hi:[0,1]
	v_pk_add_f32 v[6:7], v[2:3], v[6:7]
	v_mul_f32_e32 v2, v5, v5
	v_fma_f32 v4, -v8, v17, 1.0
	v_fmac_f32_e32 v17, v4, v17
	v_div_scale_f32 v4, vcc, v15, v9, v15
	v_mul_f32_e32 v18, v4, v17
	v_fma_f32 v19, -v8, v18, v4
	v_fmac_f32_e32 v18, v19, v17
	v_fma_f32 v4, -v8, v18, v4
	v_div_fmas_f32 v4, v4, v17, v18
	v_div_fixup_f32 v8, v4, v9, v15
	v_mul_f32_e32 v4, v1, v2
	v_mov_b32_e32 v7, v3
	v_pk_fma_f32 v[2:3], v[4:5], v[8:9], v[6:7] op_sel_hi:[1,0,1]
	v_pk_mov_b32 v[4:5], -1, -1
	v_mov_b32_e32 v1, v9
.LBB10_37:
	s_or_b64 exec, exec, s[10:11]
                                        ; implicit-def: $vgpr6_vgpr7
                                        ; implicit-def: $vgpr8
                                        ; implicit-def: $vgpr15
.LBB10_38:
	s_andn2_saveexec_b64 s[0:1], s[0:1]
	s_cbranch_execz .LBB10_40
; %bb.39:
	s_waitcnt lgkmcnt(0)
	v_mov_b32_e32 v1, v15
	v_pk_mov_b32 v[4:5], v[8:9], v[8:9] op_sel:[0,1]
	v_pk_mov_b32 v[2:3], v[6:7], v[6:7] op_sel:[0,1]
.LBB10_40:
	s_or_b64 exec, exec, s[0:1]
	s_waitcnt lgkmcnt(3)
	v_and_b32_e32 v6, 63, v0
	v_cmp_eq_u32_e32 vcc, 0, v6
	s_waitcnt lgkmcnt(0)
	s_barrier
	s_and_saveexec_b64 s[0:1], vcc
	s_cbranch_execz .LBB10_42
; %bb.41:
	v_lshrrev_b32_e32 v7, 6, v0
	v_mul_u32_u24_e32 v7, 24, v7
	v_mov_b32_e32 v8, v3
	v_mov_b32_e32 v9, v2
	ds_write2_b64 v7, v[8:9], v[4:5] offset1:1
	ds_write_b32 v7, v1 offset:16
.LBB10_42:
	s_or_b64 exec, exec, s[0:1]
	s_waitcnt lgkmcnt(0)
	s_barrier
	s_load_dword s0, s[4:5], 0x34
	v_mul_u32_u24_e32 v4, 24, v6
	v_mov_b32_e32 v2, 0
	v_mov_b32_e32 v1, 0
	s_waitcnt lgkmcnt(0)
	s_bfe_u32 s0, s0, 0xa0006
	v_cmp_gt_u32_e32 vcc, s0, v0
	s_and_saveexec_b64 s[0:1], vcc
	s_cbranch_execnz .LBB10_48
; %bb.43:
	s_or_b64 exec, exec, s[0:1]
	s_and_saveexec_b64 s[0:1], vcc
	s_cbranch_execnz .LBB10_49
.LBB10_44:
	s_or_b64 exec, exec, s[0:1]
	v_mov_b32_e32 v3, 0
	s_and_saveexec_b64 s[0:1], vcc
	s_cbranch_execnz .LBB10_50
.LBB10_45:
	s_or_b64 exec, exec, s[0:1]
	v_cmp_gt_u32_e32 vcc, 64, v0
	s_and_saveexec_b64 s[0:1], vcc
	s_cbranch_execnz .LBB10_51
.LBB10_46:
	s_or_b64 exec, exec, s[0:1]
	v_cmp_eq_u32_e32 vcc, 0, v0
	s_and_saveexec_b64 s[0:1], vcc
	s_cbranch_execnz .LBB10_76
.LBB10_47:
	s_endpgm
.LBB10_48:
	ds_read_b32 v1, v4
	s_or_b64 exec, exec, s[0:1]
	s_and_saveexec_b64 s[0:1], vcc
	s_cbranch_execz .LBB10_44
.LBB10_49:
	ds_read_b32 v2, v4 offset:4
	s_or_b64 exec, exec, s[0:1]
	v_mov_b32_e32 v3, 0
	s_and_saveexec_b64 s[0:1], vcc
	s_cbranch_execz .LBB10_45
.LBB10_50:
	ds_read_b32 v3, v4 offset:16
	s_or_b64 exec, exec, s[0:1]
	v_cmp_gt_u32_e32 vcc, 64, v0
	s_and_saveexec_b64 s[0:1], vcc
	s_cbranch_execz .LBB10_46
.LBB10_51:
	s_waitcnt lgkmcnt(0)
	ds_bpermute_b32 v6, v10, v1
	ds_bpermute_b32 v4, v10, v2
	;; [unrolled: 1-line block ×3, first 2 shown]
	v_cmp_neq_f32_e32 vcc, 0, v3
	s_and_saveexec_b64 s[10:11], vcc
	s_cbranch_execz .LBB10_55
; %bb.52:
	s_waitcnt lgkmcnt(0)
	v_cmp_neq_f32_e32 vcc, 0, v5
	s_and_saveexec_b64 s[12:13], vcc
	s_cbranch_execz .LBB10_54
; %bb.53:
	v_sub_f32_e32 v6, v6, v1
	v_mul_f32_e32 v7, v6, v6
	v_mul_f32_e32 v7, v3, v7
	v_add_f32_e32 v3, v3, v5
	v_div_scale_f32 v8, s[14:15], v3, v3, v5
	v_rcp_f32_e32 v9, v8
	v_add_f32_e32 v2, v2, v4
	v_fma_f32 v4, -v8, v9, 1.0
	v_fmac_f32_e32 v9, v4, v9
	v_div_scale_f32 v4, vcc, v5, v3, v5
	v_mul_f32_e32 v10, v4, v9
	v_fma_f32 v15, -v8, v10, v4
	v_fmac_f32_e32 v10, v15, v9
	v_fma_f32 v4, -v8, v10, v4
	v_div_fmas_f32 v4, v4, v9, v10
	v_div_fixup_f32 v4, v4, v3, v5
	v_fmac_f32_e32 v1, v6, v4
	v_fmac_f32_e32 v2, v7, v4
.LBB10_54:
	s_or_b64 exec, exec, s[12:13]
	v_mov_b32_e32 v6, v1
	v_pk_mov_b32 v[4:5], v[2:3], v[2:3] op_sel:[0,1]
.LBB10_55:
	s_or_b64 exec, exec, s[10:11]
	s_waitcnt lgkmcnt(2)
	ds_bpermute_b32 v1, v11, v6
	s_waitcnt lgkmcnt(2)
	ds_bpermute_b32 v2, v11, v4
	s_waitcnt lgkmcnt(2)
	ds_bpermute_b32 v3, v11, v5
	v_cmp_neq_f32_e32 vcc, 0, v5
	s_and_saveexec_b64 s[10:11], vcc
	s_cbranch_execz .LBB10_59
; %bb.56:
	s_waitcnt lgkmcnt(0)
	v_cmp_neq_f32_e32 vcc, 0, v3
	s_and_saveexec_b64 s[12:13], vcc
	s_cbranch_execz .LBB10_58
; %bb.57:
	v_pk_add_f32 v[8:9], v[4:5], v[2:3]
	v_div_scale_f32 v2, s[14:15], v9, v9, v3
	v_rcp_f32_e32 v4, v2
	v_sub_f32_e32 v1, v1, v6
	v_mul_f32_e32 v7, v1, v1
	v_mul_f32_e32 v5, v5, v7
	v_fma_f32 v7, -v2, v4, 1.0
	v_fmac_f32_e32 v4, v7, v4
	v_div_scale_f32 v7, vcc, v3, v9, v3
	v_mul_f32_e32 v10, v7, v4
	v_fma_f32 v11, -v2, v10, v7
	v_fmac_f32_e32 v10, v11, v4
	v_fma_f32 v2, -v2, v10, v7
	v_div_fmas_f32 v2, v2, v4, v10
	v_div_fixup_f32 v2, v2, v9, v3
	v_fma_f32 v8, v5, v2, v8
	v_fmac_f32_e32 v6, v1, v2
	v_pk_mov_b32 v[4:5], v[8:9], v[8:9] op_sel:[0,1]
.LBB10_58:
	s_or_b64 exec, exec, s[12:13]
	v_mov_b32_e32 v1, v6
	v_pk_mov_b32 v[2:3], v[4:5], v[4:5] op_sel:[0,1]
.LBB10_59:
	s_or_b64 exec, exec, s[10:11]
	s_waitcnt lgkmcnt(2)
	ds_bpermute_b32 v6, v12, v1
	s_waitcnt lgkmcnt(2)
	ds_bpermute_b32 v4, v12, v2
	s_waitcnt lgkmcnt(2)
	ds_bpermute_b32 v5, v12, v3
	v_cmp_neq_f32_e32 vcc, 0, v3
	s_and_saveexec_b64 s[10:11], vcc
	s_cbranch_execz .LBB10_63
; %bb.60:
	s_waitcnt lgkmcnt(0)
	v_cmp_neq_f32_e32 vcc, 0, v5
	s_and_saveexec_b64 s[12:13], vcc
	s_cbranch_execz .LBB10_62
; %bb.61:
	v_pk_add_f32 v[8:9], v[2:3], v[4:5]
	v_div_scale_f32 v2, s[14:15], v9, v9, v5
	v_rcp_f32_e32 v4, v2
	v_sub_f32_e32 v6, v6, v1
	v_mul_f32_e32 v7, v6, v6
	v_mul_f32_e32 v3, v3, v7
	v_fma_f32 v7, -v2, v4, 1.0
	v_fmac_f32_e32 v4, v7, v4
	v_div_scale_f32 v7, vcc, v5, v9, v5
	v_mul_f32_e32 v10, v7, v4
	v_fma_f32 v11, -v2, v10, v7
	v_fmac_f32_e32 v10, v11, v4
	v_fma_f32 v2, -v2, v10, v7
	v_div_fmas_f32 v2, v2, v4, v10
	v_div_fixup_f32 v2, v2, v9, v5
	v_fma_f32 v8, v3, v2, v8
	v_fmac_f32_e32 v1, v6, v2
	v_pk_mov_b32 v[2:3], v[8:9], v[8:9] op_sel:[0,1]
.LBB10_62:
	s_or_b64 exec, exec, s[12:13]
	v_mov_b32_e32 v6, v1
	v_pk_mov_b32 v[4:5], v[2:3], v[2:3] op_sel:[0,1]
.LBB10_63:
	;; [unrolled: 39-line block ×4, first 2 shown]
	s_or_b64 exec, exec, s[10:11]
	s_waitcnt lgkmcnt(2)
	ds_bpermute_b32 v1, v14, v6
	s_waitcnt lgkmcnt(2)
	ds_bpermute_b32 v2, v14, v4
	;; [unrolled: 2-line block ×3, first 2 shown]
	v_cmp_neq_f32_e32 vcc, 0, v5
	s_and_saveexec_b64 s[10:11], vcc
	s_cbranch_execz .LBB10_75
; %bb.72:
	s_waitcnt lgkmcnt(0)
	v_cmp_neq_f32_e32 vcc, 0, v3
	s_and_saveexec_b64 s[12:13], vcc
	s_cbranch_execz .LBB10_74
; %bb.73:
	v_pk_add_f32 v[8:9], v[4:5], v[2:3]
	v_div_scale_f32 v2, s[14:15], v9, v9, v3
	v_rcp_f32_e32 v4, v2
	v_sub_f32_e32 v1, v1, v6
	v_mul_f32_e32 v7, v1, v1
	v_mul_f32_e32 v5, v5, v7
	v_fma_f32 v7, -v2, v4, 1.0
	v_fmac_f32_e32 v4, v7, v4
	v_div_scale_f32 v7, vcc, v3, v9, v3
	v_mul_f32_e32 v10, v7, v4
	v_fma_f32 v11, -v2, v10, v7
	v_fmac_f32_e32 v10, v11, v4
	v_fma_f32 v2, -v2, v10, v7
	v_div_fmas_f32 v2, v2, v4, v10
	v_div_fixup_f32 v2, v2, v9, v3
	v_fma_f32 v8, v5, v2, v8
	v_fmac_f32_e32 v6, v1, v2
	v_pk_mov_b32 v[4:5], v[8:9], v[8:9] op_sel:[0,1]
.LBB10_74:
	s_or_b64 exec, exec, s[12:13]
	v_pk_mov_b32 v[2:3], v[4:5], v[4:5] op_sel:[0,1]
	v_mov_b32_e32 v1, v6
.LBB10_75:
	s_or_b64 exec, exec, s[10:11]
	s_or_b64 exec, exec, s[0:1]
	v_cmp_eq_u32_e32 vcc, 0, v0
	s_and_saveexec_b64 s[0:1], vcc
	s_cbranch_execz .LBB10_47
.LBB10_76:
	s_waitcnt lgkmcnt(0)
	v_max_f32_e32 v0, v3, v3
	v_max_f32_e32 v0, 0, v0
	v_div_scale_f32 v3, s[0:1], v0, v0, v2
	v_rcp_f32_e32 v4, v3
	s_load_dword s4, s[4:5], 0x8
	s_lshl_b64 s[0:1], s[6:7], 2
	s_add_u32 s2, s2, s0
	v_fma_f32 v5, -v3, v4, 1.0
	v_fmac_f32_e32 v4, v5, v4
	v_div_scale_f32 v5, vcc, v2, v0, v2
	v_mul_f32_e32 v6, v5, v4
	v_fma_f32 v7, -v3, v6, v5
	v_fmac_f32_e32 v6, v7, v4
	v_fma_f32 v3, -v3, v6, v5
	v_div_fmas_f32 v3, v3, v4, v6
	v_div_fixup_f32 v0, v3, v0, v2
	s_waitcnt lgkmcnt(0)
	v_add_f32_e32 v0, s4, v0
	s_mov_b32 s4, 0x800000
	v_mul_f32_e32 v2, 0x4b800000, v0
	v_cmp_gt_f32_e32 vcc, s4, v0
	v_cndmask_b32_e32 v0, v0, v2, vcc
	v_rsq_f32_e32 v0, v0
	s_addc_u32 s3, s3, s1
	v_mov_b32_e32 v2, 0
	global_store_dword v2, v1, s[2:3]
	v_mul_f32_e32 v1, 0x45800000, v0
	s_add_u32 s0, s8, s0
	v_cndmask_b32_e32 v0, v0, v1, vcc
	s_addc_u32 s1, s9, s1
	global_store_dword v2, v0, s[0:1]
	s_endpgm
	.section	.rodata,"a",@progbits
	.p2align	6, 0x0
	.amdhsa_kernel _ZN2at6native12_GLOBAL__N_124RowwiseMomentsCUDAKernelIN3c108BFloat16EfLb0EEEvlT0_PKT_PS5_S9_
		.amdhsa_group_segment_fixed_size 1536
		.amdhsa_private_segment_fixed_size 0
		.amdhsa_kernarg_size 296
		.amdhsa_user_sgpr_count 6
		.amdhsa_user_sgpr_private_segment_buffer 1
		.amdhsa_user_sgpr_dispatch_ptr 0
		.amdhsa_user_sgpr_queue_ptr 0
		.amdhsa_user_sgpr_kernarg_segment_ptr 1
		.amdhsa_user_sgpr_dispatch_id 0
		.amdhsa_user_sgpr_flat_scratch_init 0
		.amdhsa_user_sgpr_kernarg_preload_length 0
		.amdhsa_user_sgpr_kernarg_preload_offset 0
		.amdhsa_user_sgpr_private_segment_size 0
		.amdhsa_uses_dynamic_stack 0
		.amdhsa_system_sgpr_private_segment_wavefront_offset 0
		.amdhsa_system_sgpr_workgroup_id_x 1
		.amdhsa_system_sgpr_workgroup_id_y 0
		.amdhsa_system_sgpr_workgroup_id_z 0
		.amdhsa_system_sgpr_workgroup_info 0
		.amdhsa_system_vgpr_workitem_id 0
		.amdhsa_next_free_vgpr 21
		.amdhsa_next_free_sgpr 21
		.amdhsa_accum_offset 24
		.amdhsa_reserve_vcc 1
		.amdhsa_reserve_flat_scratch 0
		.amdhsa_float_round_mode_32 0
		.amdhsa_float_round_mode_16_64 0
		.amdhsa_float_denorm_mode_32 3
		.amdhsa_float_denorm_mode_16_64 3
		.amdhsa_dx10_clamp 1
		.amdhsa_ieee_mode 1
		.amdhsa_fp16_overflow 0
		.amdhsa_tg_split 0
		.amdhsa_exception_fp_ieee_invalid_op 0
		.amdhsa_exception_fp_denorm_src 0
		.amdhsa_exception_fp_ieee_div_zero 0
		.amdhsa_exception_fp_ieee_overflow 0
		.amdhsa_exception_fp_ieee_underflow 0
		.amdhsa_exception_fp_ieee_inexact 0
		.amdhsa_exception_int_div_zero 0
	.end_amdhsa_kernel
	.section	.text._ZN2at6native12_GLOBAL__N_124RowwiseMomentsCUDAKernelIN3c108BFloat16EfLb0EEEvlT0_PKT_PS5_S9_,"axG",@progbits,_ZN2at6native12_GLOBAL__N_124RowwiseMomentsCUDAKernelIN3c108BFloat16EfLb0EEEvlT0_PKT_PS5_S9_,comdat
.Lfunc_end10:
	.size	_ZN2at6native12_GLOBAL__N_124RowwiseMomentsCUDAKernelIN3c108BFloat16EfLb0EEEvlT0_PKT_PS5_S9_, .Lfunc_end10-_ZN2at6native12_GLOBAL__N_124RowwiseMomentsCUDAKernelIN3c108BFloat16EfLb0EEEvlT0_PKT_PS5_S9_
                                        ; -- End function
	.section	.AMDGPU.csdata,"",@progbits
; Kernel info:
; codeLenInByte = 3584
; NumSgprs: 25
; NumVgprs: 21
; NumAgprs: 0
; TotalNumVgprs: 21
; ScratchSize: 0
; MemoryBound: 0
; FloatMode: 240
; IeeeMode: 1
; LDSByteSize: 1536 bytes/workgroup (compile time only)
; SGPRBlocks: 3
; VGPRBlocks: 2
; NumSGPRsForWavesPerEU: 25
; NumVGPRsForWavesPerEU: 21
; AccumOffset: 24
; Occupancy: 8
; WaveLimiterHint : 0
; COMPUTE_PGM_RSRC2:SCRATCH_EN: 0
; COMPUTE_PGM_RSRC2:USER_SGPR: 6
; COMPUTE_PGM_RSRC2:TRAP_HANDLER: 0
; COMPUTE_PGM_RSRC2:TGID_X_EN: 1
; COMPUTE_PGM_RSRC2:TGID_Y_EN: 0
; COMPUTE_PGM_RSRC2:TGID_Z_EN: 0
; COMPUTE_PGM_RSRC2:TIDIG_COMP_CNT: 0
; COMPUTE_PGM_RSRC3_GFX90A:ACCUM_OFFSET: 5
; COMPUTE_PGM_RSRC3_GFX90A:TG_SPLIT: 0
	.section	.text._ZN2at6native12_GLOBAL__N_126LayerNormForwardCUDAKernelIN3c108BFloat16EfLb0EEEvlPKT_PKT0_SA_S7_S7_PS5_,"axG",@progbits,_ZN2at6native12_GLOBAL__N_126LayerNormForwardCUDAKernelIN3c108BFloat16EfLb0EEEvlPKT_PKT0_SA_S7_S7_PS5_,comdat
	.globl	_ZN2at6native12_GLOBAL__N_126LayerNormForwardCUDAKernelIN3c108BFloat16EfLb0EEEvlPKT_PKT0_SA_S7_S7_PS5_ ; -- Begin function _ZN2at6native12_GLOBAL__N_126LayerNormForwardCUDAKernelIN3c108BFloat16EfLb0EEEvlPKT_PKT0_SA_S7_S7_PS5_
	.p2align	8
	.type	_ZN2at6native12_GLOBAL__N_126LayerNormForwardCUDAKernelIN3c108BFloat16EfLb0EEEvlPKT_PKT0_SA_S7_S7_PS5_,@function
_ZN2at6native12_GLOBAL__N_126LayerNormForwardCUDAKernelIN3c108BFloat16EfLb0EEEvlPKT_PKT0_SA_S7_S7_PS5_: ; @_ZN2at6native12_GLOBAL__N_126LayerNormForwardCUDAKernelIN3c108BFloat16EfLb0EEEvlPKT_PKT0_SA_S7_S7_PS5_
; %bb.0:
	s_load_dwordx8 s[8:15], s[4:5], 0x0
	v_mov_b32_e32 v1, 0
	s_waitcnt lgkmcnt(0)
	v_cmp_gt_i64_e32 vcc, s[8:9], v[0:1]
	s_and_saveexec_b64 s[0:1], vcc
	s_cbranch_execz .LBB11_8
; %bb.1:
	s_load_dwordx8 s[16:23], s[4:5], 0x20
	s_mov_b32 s7, 0
	s_waitcnt lgkmcnt(0)
	s_mov_b64 s[22:23], 0
	v_lshlrev_b32_e32 v2, 1, v0
	v_mov_b32_e32 v3, v1
	s_cmp_lg_u64 s[16:17], 0
	s_cselect_b64 s[0:1], -1, 0
	s_cmp_lg_u64 s[18:19], 0
	s_cselect_b64 s[2:3], -1, 0
	s_lshl_b64 s[24:25], s[6:7], 2
	s_add_u32 s26, s12, s24
	s_addc_u32 s27, s13, s25
	s_load_dword s13, s[4:5], 0x44
	s_load_dword s12, s[26:27], 0x0
	s_add_u32 s4, s14, s24
	s_addc_u32 s5, s15, s25
	s_load_dword s4, s[4:5], 0x0
	s_waitcnt lgkmcnt(0)
	s_and_b32 s5, s13, 0xffff
	s_mul_i32 s13, s9, s6
	s_mul_hi_u32 s14, s8, s6
	s_add_i32 s15, s14, s13
	s_mul_i32 s14, s8, s6
	s_lshl_b64 s[14:15], s[14:15], 1
	s_add_u32 s6, s10, s14
	s_addc_u32 s13, s11, s15
	s_lshl_b32 s10, s5, 1
	s_add_u32 s11, s20, s14
	s_addc_u32 s14, s21, s15
	v_cndmask_b32_e64 v9, 0, 1, s[0:1]
	v_cndmask_b32_e64 v10, 0, 1, s[2:3]
	v_mov_b32_e32 v4, s13
	s_movk_i32 s13, 0x7fff
	v_mov_b32_e32 v5, 0x7fc0
	v_mov_b32_e32 v6, s14
	;; [unrolled: 1-line block ×4, first 2 shown]
	v_cmp_ne_u32_e64 s[0:1], 1, v9
	v_cmp_ne_u32_e64 s[2:3], 1, v10
	s_branch .LBB11_4
.LBB11_2:                               ;   in Loop: Header=BB11_4 Depth=1
	v_mov_b32_e32 v11, s19
	v_add_co_u32_e32 v10, vcc, s18, v2
	v_addc_co_u32_e32 v11, vcc, v11, v3, vcc
	global_load_ushort v10, v[10:11], off
	s_waitcnt vmcnt(0)
	v_lshlrev_b32_e32 v10, 16, v10
.LBB11_3:                               ;   in Loop: Header=BB11_4 Depth=1
	v_add_co_u32_e32 v12, vcc, s6, v2
	v_addc_co_u32_e32 v13, vcc, v4, v3, vcc
	global_load_ushort v11, v[12:13], off
	v_add_co_u32_e32 v12, vcc, s11, v2
	v_addc_co_u32_e32 v13, vcc, v6, v3, vcc
	v_add_co_u32_e32 v0, vcc, s5, v0
	v_addc_co_u32_e32 v1, vcc, v1, v7, vcc
	v_cmp_le_i64_e32 vcc, s[8:9], v[0:1]
	s_or_b64 s[22:23], vcc, s[22:23]
	s_waitcnt vmcnt(0)
	v_lshlrev_b32_e32 v11, 16, v11
	v_subrev_f32_e32 v11, s12, v11
	v_mul_f32_e32 v11, s4, v11
	v_fmac_f32_e32 v10, v9, v11
	v_bfe_u32 v9, v10, 16, 1
	v_add3_u32 v9, v10, v9, s13
	v_lshrrev_b32_e32 v9, 16, v9
	v_cmp_o_f32_e32 vcc, v10, v10
	v_cndmask_b32_e32 v9, v5, v9, vcc
	v_add_co_u32_e32 v2, vcc, s10, v2
	v_addc_co_u32_e32 v3, vcc, v3, v8, vcc
	global_store_short v[12:13], v9, off
	s_andn2_b64 exec, exec, s[22:23]
	s_cbranch_execz .LBB11_8
.LBB11_4:                               ; =>This Inner Loop Header: Depth=1
	s_and_b64 vcc, exec, s[0:1]
	s_cbranch_vccnz .LBB11_6
; %bb.5:                                ;   in Loop: Header=BB11_4 Depth=1
	v_mov_b32_e32 v9, s17
	v_add_co_u32_e32 v10, vcc, s16, v2
	v_addc_co_u32_e32 v11, vcc, v9, v3, vcc
	global_load_ushort v9, v[10:11], off
	s_waitcnt vmcnt(0)
	v_lshlrev_b32_e32 v9, 16, v9
	s_and_b64 vcc, exec, s[2:3]
	s_cbranch_vccz .LBB11_2
	s_branch .LBB11_7
.LBB11_6:                               ;   in Loop: Header=BB11_4 Depth=1
	v_mov_b32_e32 v9, 1.0
	s_and_b64 vcc, exec, s[2:3]
	s_cbranch_vccz .LBB11_2
.LBB11_7:                               ;   in Loop: Header=BB11_4 Depth=1
	v_mov_b32_e32 v10, 0
	s_branch .LBB11_3
.LBB11_8:
	s_endpgm
	.section	.rodata,"a",@progbits
	.p2align	6, 0x0
	.amdhsa_kernel _ZN2at6native12_GLOBAL__N_126LayerNormForwardCUDAKernelIN3c108BFloat16EfLb0EEEvlPKT_PKT0_SA_S7_S7_PS5_
		.amdhsa_group_segment_fixed_size 0
		.amdhsa_private_segment_fixed_size 0
		.amdhsa_kernarg_size 312
		.amdhsa_user_sgpr_count 6
		.amdhsa_user_sgpr_private_segment_buffer 1
		.amdhsa_user_sgpr_dispatch_ptr 0
		.amdhsa_user_sgpr_queue_ptr 0
		.amdhsa_user_sgpr_kernarg_segment_ptr 1
		.amdhsa_user_sgpr_dispatch_id 0
		.amdhsa_user_sgpr_flat_scratch_init 0
		.amdhsa_user_sgpr_kernarg_preload_length 0
		.amdhsa_user_sgpr_kernarg_preload_offset 0
		.amdhsa_user_sgpr_private_segment_size 0
		.amdhsa_uses_dynamic_stack 0
		.amdhsa_system_sgpr_private_segment_wavefront_offset 0
		.amdhsa_system_sgpr_workgroup_id_x 1
		.amdhsa_system_sgpr_workgroup_id_y 0
		.amdhsa_system_sgpr_workgroup_id_z 0
		.amdhsa_system_sgpr_workgroup_info 0
		.amdhsa_system_vgpr_workitem_id 0
		.amdhsa_next_free_vgpr 14
		.amdhsa_next_free_sgpr 28
		.amdhsa_accum_offset 16
		.amdhsa_reserve_vcc 1
		.amdhsa_reserve_flat_scratch 0
		.amdhsa_float_round_mode_32 0
		.amdhsa_float_round_mode_16_64 0
		.amdhsa_float_denorm_mode_32 3
		.amdhsa_float_denorm_mode_16_64 3
		.amdhsa_dx10_clamp 1
		.amdhsa_ieee_mode 1
		.amdhsa_fp16_overflow 0
		.amdhsa_tg_split 0
		.amdhsa_exception_fp_ieee_invalid_op 0
		.amdhsa_exception_fp_denorm_src 0
		.amdhsa_exception_fp_ieee_div_zero 0
		.amdhsa_exception_fp_ieee_overflow 0
		.amdhsa_exception_fp_ieee_underflow 0
		.amdhsa_exception_fp_ieee_inexact 0
		.amdhsa_exception_int_div_zero 0
	.end_amdhsa_kernel
	.section	.text._ZN2at6native12_GLOBAL__N_126LayerNormForwardCUDAKernelIN3c108BFloat16EfLb0EEEvlPKT_PKT0_SA_S7_S7_PS5_,"axG",@progbits,_ZN2at6native12_GLOBAL__N_126LayerNormForwardCUDAKernelIN3c108BFloat16EfLb0EEEvlPKT_PKT0_SA_S7_S7_PS5_,comdat
.Lfunc_end11:
	.size	_ZN2at6native12_GLOBAL__N_126LayerNormForwardCUDAKernelIN3c108BFloat16EfLb0EEEvlPKT_PKT0_SA_S7_S7_PS5_, .Lfunc_end11-_ZN2at6native12_GLOBAL__N_126LayerNormForwardCUDAKernelIN3c108BFloat16EfLb0EEEvlPKT_PKT0_SA_S7_S7_PS5_
                                        ; -- End function
	.section	.AMDGPU.csdata,"",@progbits
; Kernel info:
; codeLenInByte = 444
; NumSgprs: 32
; NumVgprs: 14
; NumAgprs: 0
; TotalNumVgprs: 14
; ScratchSize: 0
; MemoryBound: 0
; FloatMode: 240
; IeeeMode: 1
; LDSByteSize: 0 bytes/workgroup (compile time only)
; SGPRBlocks: 3
; VGPRBlocks: 1
; NumSGPRsForWavesPerEU: 32
; NumVGPRsForWavesPerEU: 14
; AccumOffset: 16
; Occupancy: 8
; WaveLimiterHint : 0
; COMPUTE_PGM_RSRC2:SCRATCH_EN: 0
; COMPUTE_PGM_RSRC2:USER_SGPR: 6
; COMPUTE_PGM_RSRC2:TRAP_HANDLER: 0
; COMPUTE_PGM_RSRC2:TGID_X_EN: 1
; COMPUTE_PGM_RSRC2:TGID_Y_EN: 0
; COMPUTE_PGM_RSRC2:TGID_Z_EN: 0
; COMPUTE_PGM_RSRC2:TIDIG_COMP_CNT: 0
; COMPUTE_PGM_RSRC3_GFX90A:ACCUM_OFFSET: 3
; COMPUTE_PGM_RSRC3_GFX90A:TG_SPLIT: 0
	.section	.text._ZN2at6native12_GLOBAL__N_128vectorized_layer_norm_kernelIddLb1EEEviT0_PKT_S6_S6_PS3_S7_PS4_,"axG",@progbits,_ZN2at6native12_GLOBAL__N_128vectorized_layer_norm_kernelIddLb1EEEviT0_PKT_S6_S6_PS3_S7_PS4_,comdat
	.globl	_ZN2at6native12_GLOBAL__N_128vectorized_layer_norm_kernelIddLb1EEEviT0_PKT_S6_S6_PS3_S7_PS4_ ; -- Begin function _ZN2at6native12_GLOBAL__N_128vectorized_layer_norm_kernelIddLb1EEEviT0_PKT_S6_S6_PS3_S7_PS4_
	.p2align	8
	.type	_ZN2at6native12_GLOBAL__N_128vectorized_layer_norm_kernelIddLb1EEEviT0_PKT_S6_S6_PS3_S7_PS4_,@function
_ZN2at6native12_GLOBAL__N_128vectorized_layer_norm_kernelIddLb1EEEviT0_PKT_S6_S6_PS3_S7_PS4_: ; @_ZN2at6native12_GLOBAL__N_128vectorized_layer_norm_kernelIddLb1EEEviT0_PKT_S6_S6_PS3_S7_PS4_
; %bb.0:
	s_trap 2
	.section	.rodata,"a",@progbits
	.p2align	6, 0x0
	.amdhsa_kernel _ZN2at6native12_GLOBAL__N_128vectorized_layer_norm_kernelIddLb1EEEviT0_PKT_S6_S6_PS3_S7_PS4_
		.amdhsa_group_segment_fixed_size 0
		.amdhsa_private_segment_fixed_size 0
		.amdhsa_kernarg_size 64
		.amdhsa_user_sgpr_count 6
		.amdhsa_user_sgpr_private_segment_buffer 1
		.amdhsa_user_sgpr_dispatch_ptr 0
		.amdhsa_user_sgpr_queue_ptr 0
		.amdhsa_user_sgpr_kernarg_segment_ptr 1
		.amdhsa_user_sgpr_dispatch_id 0
		.amdhsa_user_sgpr_flat_scratch_init 0
		.amdhsa_user_sgpr_kernarg_preload_length 0
		.amdhsa_user_sgpr_kernarg_preload_offset 0
		.amdhsa_user_sgpr_private_segment_size 0
		.amdhsa_uses_dynamic_stack 0
		.amdhsa_system_sgpr_private_segment_wavefront_offset 0
		.amdhsa_system_sgpr_workgroup_id_x 1
		.amdhsa_system_sgpr_workgroup_id_y 0
		.amdhsa_system_sgpr_workgroup_id_z 0
		.amdhsa_system_sgpr_workgroup_info 0
		.amdhsa_system_vgpr_workitem_id 0
		.amdhsa_next_free_vgpr 1
		.amdhsa_next_free_sgpr 0
		.amdhsa_accum_offset 4
		.amdhsa_reserve_vcc 0
		.amdhsa_reserve_flat_scratch 0
		.amdhsa_float_round_mode_32 0
		.amdhsa_float_round_mode_16_64 0
		.amdhsa_float_denorm_mode_32 3
		.amdhsa_float_denorm_mode_16_64 3
		.amdhsa_dx10_clamp 1
		.amdhsa_ieee_mode 1
		.amdhsa_fp16_overflow 0
		.amdhsa_tg_split 0
		.amdhsa_exception_fp_ieee_invalid_op 0
		.amdhsa_exception_fp_denorm_src 0
		.amdhsa_exception_fp_ieee_div_zero 0
		.amdhsa_exception_fp_ieee_overflow 0
		.amdhsa_exception_fp_ieee_underflow 0
		.amdhsa_exception_fp_ieee_inexact 0
		.amdhsa_exception_int_div_zero 0
	.end_amdhsa_kernel
	.section	.text._ZN2at6native12_GLOBAL__N_128vectorized_layer_norm_kernelIddLb1EEEviT0_PKT_S6_S6_PS3_S7_PS4_,"axG",@progbits,_ZN2at6native12_GLOBAL__N_128vectorized_layer_norm_kernelIddLb1EEEviT0_PKT_S6_S6_PS3_S7_PS4_,comdat
.Lfunc_end12:
	.size	_ZN2at6native12_GLOBAL__N_128vectorized_layer_norm_kernelIddLb1EEEviT0_PKT_S6_S6_PS3_S7_PS4_, .Lfunc_end12-_ZN2at6native12_GLOBAL__N_128vectorized_layer_norm_kernelIddLb1EEEviT0_PKT_S6_S6_PS3_S7_PS4_
                                        ; -- End function
	.section	.AMDGPU.csdata,"",@progbits
; Kernel info:
; codeLenInByte = 4
; NumSgprs: 4
; NumVgprs: 0
; NumAgprs: 0
; TotalNumVgprs: 0
; ScratchSize: 0
; MemoryBound: 0
; FloatMode: 240
; IeeeMode: 1
; LDSByteSize: 0 bytes/workgroup (compile time only)
; SGPRBlocks: 0
; VGPRBlocks: 0
; NumSGPRsForWavesPerEU: 4
; NumVGPRsForWavesPerEU: 1
; AccumOffset: 4
; Occupancy: 8
; WaveLimiterHint : 0
; COMPUTE_PGM_RSRC2:SCRATCH_EN: 0
; COMPUTE_PGM_RSRC2:USER_SGPR: 6
; COMPUTE_PGM_RSRC2:TRAP_HANDLER: 0
; COMPUTE_PGM_RSRC2:TGID_X_EN: 1
; COMPUTE_PGM_RSRC2:TGID_Y_EN: 0
; COMPUTE_PGM_RSRC2:TGID_Z_EN: 0
; COMPUTE_PGM_RSRC2:TIDIG_COMP_CNT: 0
; COMPUTE_PGM_RSRC3_GFX90A:ACCUM_OFFSET: 0
; COMPUTE_PGM_RSRC3_GFX90A:TG_SPLIT: 0
	.section	.text._ZN2at6native12_GLOBAL__N_124RowwiseMomentsCUDAKernelIddLb1EEEvlT0_PKT_PS3_S7_,"axG",@progbits,_ZN2at6native12_GLOBAL__N_124RowwiseMomentsCUDAKernelIddLb1EEEvlT0_PKT_PS3_S7_,comdat
	.globl	_ZN2at6native12_GLOBAL__N_124RowwiseMomentsCUDAKernelIddLb1EEEvlT0_PKT_PS3_S7_ ; -- Begin function _ZN2at6native12_GLOBAL__N_124RowwiseMomentsCUDAKernelIddLb1EEEvlT0_PKT_PS3_S7_
	.p2align	8
	.type	_ZN2at6native12_GLOBAL__N_124RowwiseMomentsCUDAKernelIddLb1EEEvlT0_PKT_PS3_S7_,@function
_ZN2at6native12_GLOBAL__N_124RowwiseMomentsCUDAKernelIddLb1EEEvlT0_PKT_PS3_S7_: ; @_ZN2at6native12_GLOBAL__N_124RowwiseMomentsCUDAKernelIddLb1EEEvlT0_PKT_PS3_S7_
; %bb.0:
	s_load_dwordx4 s[0:3], s[4:5], 0x0
	s_load_dwordx2 s[10:11], s[4:5], 0x10
	v_mov_b32_e32 v1, 0
	v_pk_mov_b32 v[10:11], 0, 0
	s_mov_b32 s7, 0
	s_waitcnt lgkmcnt(0)
	v_cmp_gt_i64_e32 vcc, s[0:1], v[0:1]
	v_pk_mov_b32 v[14:15], 0, 0
	v_pk_mov_b32 v[2:3], v[10:11], v[10:11] op_sel:[0,1]
	v_pk_mov_b32 v[4:5], v[10:11], v[10:11] op_sel:[0,1]
	s_and_saveexec_b64 s[8:9], vcc
	s_cbranch_execz .LBB13_4
; %bb.1:
	s_load_dword s12, s[4:5], 0x34
	s_mul_i32 s13, s1, s6
	s_mul_hi_u32 s14, s0, s6
	s_add_i32 s13, s14, s13
	v_lshlrev_b32_e32 v2, 3, v0
	s_waitcnt lgkmcnt(0)
	s_and_b32 s14, s12, 0xffff
	s_mul_i32 s12, s0, s6
	s_lshl_b64 s[12:13], s[12:13], 3
	s_add_u32 s10, s10, s12
	s_addc_u32 s11, s11, s13
	v_mov_b32_e32 v3, s11
	v_add_co_u32_e32 v6, vcc, s10, v2
	v_addc_co_u32_e32 v7, vcc, 0, v3, vcc
	v_pk_mov_b32 v[2:3], 0, 0
	s_lshl_b32 s15, s14, 3
	s_mov_b64 s[10:11], 0
	v_mov_b32_e32 v12, s7
	v_mov_b32_e32 v13, s7
	v_pk_mov_b32 v[8:9], v[0:1], v[0:1] op_sel:[0,1]
	s_mov_b64 s[12:13], 0
	v_pk_mov_b32 v[4:5], v[2:3], v[2:3] op_sel:[0,1]
.LBB13_2:                               ; =>This Inner Loop Header: Depth=1
	global_load_dwordx2 v[16:17], v[6:7], off
	s_add_u32 s12, s12, 1
	s_addc_u32 s13, s13, 0
	v_cvt_f64_u32_e32 v[18:19], s13
	v_cvt_f64_u32_e32 v[10:11], s12
	v_ldexp_f64 v[18:19], v[18:19], 32
	v_add_f64 v[10:11], v[18:19], v[10:11]
	v_add_co_u32_e32 v8, vcc, s14, v8
	v_addc_co_u32_e32 v9, vcc, v9, v12, vcc
	v_add_co_u32_e32 v6, vcc, s15, v6
	v_addc_co_u32_e32 v7, vcc, v7, v13, vcc
	v_cmp_le_i64_e32 vcc, s[0:1], v[8:9]
	s_or_b64 s[10:11], vcc, s[10:11]
	v_pk_mov_b32 v[14:15], s[12:13], s[12:13] op_sel:[0,1]
	s_waitcnt vmcnt(0)
	v_add_f64 v[18:19], v[16:17], -v[4:5]
	v_div_scale_f64 v[20:21], s[16:17], v[10:11], v[10:11], v[18:19]
	v_rcp_f64_e32 v[22:23], v[20:21]
	v_div_scale_f64 v[24:25], vcc, v[18:19], v[10:11], v[18:19]
	v_fma_f64 v[26:27], -v[20:21], v[22:23], 1.0
	v_fmac_f64_e32 v[22:23], v[22:23], v[26:27]
	v_fma_f64 v[26:27], -v[20:21], v[22:23], 1.0
	v_fmac_f64_e32 v[22:23], v[22:23], v[26:27]
	v_mul_f64 v[26:27], v[24:25], v[22:23]
	v_fma_f64 v[20:21], -v[20:21], v[26:27], v[24:25]
	v_div_fmas_f64 v[20:21], v[20:21], v[22:23], v[26:27]
	v_div_fixup_f64 v[20:21], v[20:21], v[10:11], v[18:19]
	v_add_f64 v[4:5], v[4:5], v[20:21]
	v_add_f64 v[16:17], v[16:17], -v[4:5]
	v_fmac_f64_e32 v[2:3], v[18:19], v[16:17]
	s_andn2_b64 exec, exec, s[10:11]
	s_cbranch_execnz .LBB13_2
; %bb.3:
	s_or_b64 exec, exec, s[10:11]
.LBB13_4:
	s_or_b64 exec, exec, s[8:9]
	v_mbcnt_lo_u32_b32 v1, -1, 0
	v_mbcnt_hi_u32_b32 v22, -1, v1
	v_and_b32_e32 v23, 63, v22
	v_cmp_gt_u32_e32 vcc, 32, v23
	v_cndmask_b32_e64 v1, 0, 1, vcc
	v_lshlrev_b32_e32 v1, 5, v1
	v_add_lshl_u32 v1, v1, v22, 2
	ds_bpermute_b32 v8, v1, v4
	ds_bpermute_b32 v9, v1, v5
	;; [unrolled: 1-line block ×8, first 2 shown]
	v_cmp_neq_f64_e32 vcc, 0, v[10:11]
	s_and_saveexec_b64 s[0:1], vcc
	s_cbranch_execz .LBB13_8
; %bb.5:
	s_waitcnt lgkmcnt(0)
	v_cmp_neq_f64_e32 vcc, 0, v[12:13]
	s_and_saveexec_b64 s[8:9], vcc
	s_cbranch_execz .LBB13_7
; %bb.6:
	v_add_f64 v[16:17], v[10:11], v[12:13]
	v_div_scale_f64 v[14:15], s[10:11], v[16:17], v[16:17], v[12:13]
	v_rcp_f64_e32 v[18:19], v[14:15]
	v_add_f64 v[8:9], v[8:9], -v[4:5]
	v_add_f64 v[2:3], v[2:3], v[6:7]
	v_mul_f64 v[6:7], v[8:9], v[8:9]
	v_fma_f64 v[20:21], -v[14:15], v[18:19], 1.0
	v_fmac_f64_e32 v[18:19], v[18:19], v[20:21]
	v_fma_f64 v[20:21], -v[14:15], v[18:19], 1.0
	v_fmac_f64_e32 v[18:19], v[18:19], v[20:21]
	v_div_scale_f64 v[20:21], vcc, v[12:13], v[16:17], v[12:13]
	v_mul_f64 v[24:25], v[20:21], v[18:19]
	v_fma_f64 v[14:15], -v[14:15], v[24:25], v[20:21]
	v_mul_f64 v[6:7], v[10:11], v[6:7]
	s_nop 0
	v_div_fmas_f64 v[14:15], v[14:15], v[18:19], v[24:25]
	v_div_fixup_f64 v[12:13], v[14:15], v[16:17], v[12:13]
	v_fmac_f64_e32 v[4:5], v[8:9], v[12:13]
	v_fmac_f64_e32 v[2:3], v[6:7], v[12:13]
	v_pk_mov_b32 v[14:15], -1, -1
	v_pk_mov_b32 v[10:11], v[16:17], v[16:17] op_sel:[0,1]
.LBB13_7:
	s_or_b64 exec, exec, s[8:9]
	v_pk_mov_b32 v[12:13], v[10:11], v[10:11] op_sel:[0,1]
	v_pk_mov_b32 v[16:17], v[14:15], v[14:15] op_sel:[0,1]
	v_pk_mov_b32 v[6:7], v[2:3], v[2:3] op_sel:[0,1]
	v_pk_mov_b32 v[8:9], v[4:5], v[4:5] op_sel:[0,1]
.LBB13_8:
	s_or_b64 exec, exec, s[0:1]
	v_cmp_gt_u32_e32 vcc, 48, v23
	v_cndmask_b32_e64 v2, 0, 1, vcc
	v_lshlrev_b32_e32 v2, 4, v2
	v_add_lshl_u32 v20, v2, v22, 2
	s_waitcnt lgkmcnt(7)
	ds_bpermute_b32 v10, v20, v8
	s_waitcnt lgkmcnt(7)
	ds_bpermute_b32 v11, v20, v9
	s_waitcnt lgkmcnt(7)
	ds_bpermute_b32 v2, v20, v6
	s_waitcnt lgkmcnt(7)
	ds_bpermute_b32 v3, v20, v7
	s_waitcnt lgkmcnt(7)
	ds_bpermute_b32 v18, v20, v16
	s_waitcnt lgkmcnt(7)
	ds_bpermute_b32 v19, v20, v17
	s_waitcnt lgkmcnt(7)
	ds_bpermute_b32 v14, v20, v12
	s_waitcnt lgkmcnt(7)
	ds_bpermute_b32 v15, v20, v13
	v_cmp_neq_f64_e32 vcc, 0, v[12:13]
	s_and_saveexec_b64 s[0:1], vcc
	s_cbranch_execz .LBB13_12
; %bb.9:
	s_waitcnt lgkmcnt(0)
	v_cmp_neq_f64_e32 vcc, 0, v[14:15]
	s_and_saveexec_b64 s[8:9], vcc
	s_cbranch_execz .LBB13_11
; %bb.10:
	v_add_f64 v[4:5], v[12:13], v[14:15]
	v_div_scale_f64 v[16:17], s[10:11], v[4:5], v[4:5], v[14:15]
	v_rcp_f64_e32 v[18:19], v[16:17]
	v_add_f64 v[10:11], v[10:11], -v[8:9]
	v_add_f64 v[6:7], v[6:7], v[2:3]
	v_mul_f64 v[2:3], v[10:11], v[10:11]
	v_fma_f64 v[24:25], -v[16:17], v[18:19], 1.0
	v_fmac_f64_e32 v[18:19], v[18:19], v[24:25]
	v_fma_f64 v[24:25], -v[16:17], v[18:19], 1.0
	v_fmac_f64_e32 v[18:19], v[18:19], v[24:25]
	v_div_scale_f64 v[24:25], vcc, v[14:15], v[4:5], v[14:15]
	v_mul_f64 v[26:27], v[24:25], v[18:19]
	v_fma_f64 v[16:17], -v[16:17], v[26:27], v[24:25]
	v_mul_f64 v[2:3], v[12:13], v[2:3]
	s_nop 0
	v_div_fmas_f64 v[16:17], v[16:17], v[18:19], v[26:27]
	v_div_fixup_f64 v[14:15], v[16:17], v[4:5], v[14:15]
	v_fmac_f64_e32 v[8:9], v[10:11], v[14:15]
	v_fmac_f64_e32 v[6:7], v[2:3], v[14:15]
	v_pk_mov_b32 v[16:17], -1, -1
	v_pk_mov_b32 v[12:13], v[4:5], v[4:5] op_sel:[0,1]
.LBB13_11:
	s_or_b64 exec, exec, s[8:9]
	v_pk_mov_b32 v[14:15], v[12:13], v[12:13] op_sel:[0,1]
	v_pk_mov_b32 v[18:19], v[16:17], v[16:17] op_sel:[0,1]
	v_pk_mov_b32 v[2:3], v[6:7], v[6:7] op_sel:[0,1]
	v_pk_mov_b32 v[10:11], v[8:9], v[8:9] op_sel:[0,1]
.LBB13_12:
	s_or_b64 exec, exec, s[0:1]
	v_cmp_gt_u32_e32 vcc, 56, v23
	v_cndmask_b32_e64 v4, 0, 1, vcc
	v_lshlrev_b32_e32 v4, 3, v4
	v_add_lshl_u32 v21, v4, v22, 2
	s_waitcnt lgkmcnt(7)
	ds_bpermute_b32 v6, v21, v10
	s_waitcnt lgkmcnt(7)
	ds_bpermute_b32 v7, v21, v11
	s_waitcnt lgkmcnt(7)
	ds_bpermute_b32 v4, v21, v2
	s_waitcnt lgkmcnt(7)
	ds_bpermute_b32 v5, v21, v3
	s_waitcnt lgkmcnt(7)
	ds_bpermute_b32 v16, v21, v18
	s_waitcnt lgkmcnt(7)
	ds_bpermute_b32 v17, v21, v19
	s_waitcnt lgkmcnt(7)
	ds_bpermute_b32 v12, v21, v14
	s_waitcnt lgkmcnt(7)
	ds_bpermute_b32 v13, v21, v15
	;; [unrolled: 58-line block ×4, first 2 shown]
	v_cmp_neq_f64_e32 vcc, 0, v[10:11]
	s_and_saveexec_b64 s[0:1], vcc
	s_cbranch_execz .LBB13_24
; %bb.21:
	s_waitcnt lgkmcnt(0)
	v_cmp_neq_f64_e32 vcc, 0, v[12:13]
	s_and_saveexec_b64 s[8:9], vcc
	s_cbranch_execz .LBB13_23
; %bb.22:
	v_add_f64 v[16:17], v[10:11], v[12:13]
	v_div_scale_f64 v[14:15], s[10:11], v[16:17], v[16:17], v[12:13]
	v_rcp_f64_e32 v[24:25], v[14:15]
	v_add_f64 v[6:7], v[6:7], -v[8:9]
	v_add_f64 v[2:3], v[2:3], v[4:5]
	v_mul_f64 v[4:5], v[6:7], v[6:7]
	v_fma_f64 v[26:27], -v[14:15], v[24:25], 1.0
	v_fmac_f64_e32 v[24:25], v[24:25], v[26:27]
	v_fma_f64 v[26:27], -v[14:15], v[24:25], 1.0
	v_fmac_f64_e32 v[24:25], v[24:25], v[26:27]
	v_div_scale_f64 v[26:27], vcc, v[12:13], v[16:17], v[12:13]
	v_mul_f64 v[28:29], v[26:27], v[24:25]
	v_fma_f64 v[14:15], -v[14:15], v[28:29], v[26:27]
	v_mul_f64 v[4:5], v[10:11], v[4:5]
	s_nop 0
	v_div_fmas_f64 v[14:15], v[14:15], v[24:25], v[28:29]
	v_div_fixup_f64 v[12:13], v[14:15], v[16:17], v[12:13]
	v_fmac_f64_e32 v[8:9], v[6:7], v[12:13]
	v_fmac_f64_e32 v[2:3], v[4:5], v[12:13]
	v_pk_mov_b32 v[14:15], -1, -1
	v_pk_mov_b32 v[10:11], v[16:17], v[16:17] op_sel:[0,1]
.LBB13_23:
	s_or_b64 exec, exec, s[8:9]
	v_pk_mov_b32 v[12:13], v[10:11], v[10:11] op_sel:[0,1]
	v_pk_mov_b32 v[16:17], v[14:15], v[14:15] op_sel:[0,1]
	;; [unrolled: 1-line block ×4, first 2 shown]
.LBB13_24:
	s_or_b64 exec, exec, s[0:1]
	v_cmp_ne_u32_e32 vcc, 63, v23
	v_addc_co_u32_e32 v2, vcc, 0, v22, vcc
	v_lshlrev_b32_e32 v22, 2, v2
	s_waitcnt lgkmcnt(7)
	ds_bpermute_b32 v10, v22, v6
	s_waitcnt lgkmcnt(7)
	ds_bpermute_b32 v11, v22, v7
	;; [unrolled: 2-line block ×8, first 2 shown]
	v_cmp_neq_f64_e32 vcc, 0, v[12:13]
	s_and_saveexec_b64 s[0:1], vcc
	s_cbranch_execz .LBB13_28
; %bb.25:
	s_waitcnt lgkmcnt(0)
	v_cmp_neq_f64_e32 vcc, 0, v[8:9]
	s_and_saveexec_b64 s[8:9], vcc
	s_cbranch_execz .LBB13_27
; %bb.26:
	v_add_f64 v[14:15], v[12:13], v[8:9]
	v_div_scale_f64 v[16:17], s[10:11], v[14:15], v[14:15], v[8:9]
	v_rcp_f64_e32 v[24:25], v[16:17]
	v_add_f64 v[10:11], v[10:11], -v[6:7]
	v_add_f64 v[4:5], v[4:5], v[2:3]
	v_mul_f64 v[2:3], v[10:11], v[10:11]
	v_fma_f64 v[26:27], -v[16:17], v[24:25], 1.0
	v_fmac_f64_e32 v[24:25], v[24:25], v[26:27]
	v_fma_f64 v[26:27], -v[16:17], v[24:25], 1.0
	v_fmac_f64_e32 v[24:25], v[24:25], v[26:27]
	v_div_scale_f64 v[26:27], vcc, v[8:9], v[14:15], v[8:9]
	v_mul_f64 v[28:29], v[26:27], v[24:25]
	v_fma_f64 v[16:17], -v[16:17], v[28:29], v[26:27]
	v_mul_f64 v[2:3], v[12:13], v[2:3]
	s_nop 0
	v_div_fmas_f64 v[16:17], v[16:17], v[24:25], v[28:29]
	v_div_fixup_f64 v[8:9], v[16:17], v[14:15], v[8:9]
	v_fmac_f64_e32 v[6:7], v[10:11], v[8:9]
	v_fmac_f64_e32 v[4:5], v[2:3], v[8:9]
	v_pk_mov_b32 v[16:17], -1, -1
	v_pk_mov_b32 v[12:13], v[14:15], v[14:15] op_sel:[0,1]
.LBB13_27:
	s_or_b64 exec, exec, s[8:9]
	v_pk_mov_b32 v[8:9], v[12:13], v[12:13] op_sel:[0,1]
	v_pk_mov_b32 v[14:15], v[16:17], v[16:17] op_sel:[0,1]
	;; [unrolled: 1-line block ×4, first 2 shown]
.LBB13_28:
	s_or_b64 exec, exec, s[0:1]
	v_and_b32_e32 v4, 63, v0
	v_cmp_eq_u32_e32 vcc, 0, v4
	s_waitcnt lgkmcnt(0)
	s_barrier
	s_and_saveexec_b64 s[0:1], vcc
	s_cbranch_execz .LBB13_30
; %bb.29:
	v_lshrrev_b32_e32 v5, 1, v0
	ds_write2_b64 v5, v[10:11], v[2:3] offset1:1
	ds_write2_b64 v5, v[14:15], v[8:9] offset0:2 offset1:3
.LBB13_30:
	s_or_b64 exec, exec, s[0:1]
	s_waitcnt lgkmcnt(0)
	s_barrier
	s_load_dword s0, s[4:5], 0x34
	v_pk_mov_b32 v[2:3], 0, 0
	v_lshlrev_b32_e32 v8, 5, v4
	v_pk_mov_b32 v[4:5], v[2:3], v[2:3] op_sel:[0,1]
	s_waitcnt lgkmcnt(0)
	s_bfe_u32 s0, s0, 0xa0006
	v_cmp_gt_u32_e32 vcc, s0, v0
	s_and_saveexec_b64 s[0:1], vcc
	s_cbranch_execnz .LBB13_36
; %bb.31:
	s_or_b64 exec, exec, s[0:1]
	s_and_saveexec_b64 s[0:1], vcc
	s_cbranch_execnz .LBB13_37
.LBB13_32:
	s_or_b64 exec, exec, s[0:1]
	v_pk_mov_b32 v[6:7], 0, 0
	s_and_saveexec_b64 s[0:1], vcc
	s_cbranch_execnz .LBB13_38
.LBB13_33:
	s_or_b64 exec, exec, s[0:1]
	v_cmp_gt_u32_e32 vcc, 64, v0
	s_and_saveexec_b64 s[0:1], vcc
	s_cbranch_execnz .LBB13_39
.LBB13_34:
	s_or_b64 exec, exec, s[0:1]
	v_cmp_eq_u32_e32 vcc, 0, v0
	s_and_saveexec_b64 s[0:1], vcc
	s_cbranch_execnz .LBB13_64
.LBB13_35:
	s_endpgm
.LBB13_36:
	ds_read_b64 v[4:5], v8
	s_or_b64 exec, exec, s[0:1]
	s_and_saveexec_b64 s[0:1], vcc
	s_cbranch_execz .LBB13_32
.LBB13_37:
	ds_read_b64 v[2:3], v8 offset:8
	s_or_b64 exec, exec, s[0:1]
	v_pk_mov_b32 v[6:7], 0, 0
	s_and_saveexec_b64 s[0:1], vcc
	s_cbranch_execz .LBB13_33
.LBB13_38:
	ds_read_b64 v[6:7], v8 offset:24
	s_or_b64 exec, exec, s[0:1]
	v_cmp_gt_u32_e32 vcc, 64, v0
	s_and_saveexec_b64 s[0:1], vcc
	s_cbranch_execz .LBB13_34
.LBB13_39:
	s_waitcnt lgkmcnt(0)
	ds_bpermute_b32 v10, v1, v4
	ds_bpermute_b32 v11, v1, v5
	ds_bpermute_b32 v8, v1, v2
	ds_bpermute_b32 v9, v1, v3
	ds_bpermute_b32 v12, v1, v6
	ds_bpermute_b32 v13, v1, v7
	v_cmp_neq_f64_e32 vcc, 0, v[6:7]
	s_and_saveexec_b64 s[8:9], vcc
	s_cbranch_execz .LBB13_43
; %bb.40:
	s_waitcnt lgkmcnt(0)
	v_cmp_neq_f64_e32 vcc, 0, v[12:13]
	s_and_saveexec_b64 s[10:11], vcc
	s_cbranch_execz .LBB13_42
; %bb.41:
	v_add_f64 v[14:15], v[6:7], v[12:13]
	v_div_scale_f64 v[16:17], s[12:13], v[14:15], v[14:15], v[12:13]
	v_rcp_f64_e32 v[24:25], v[16:17]
	v_add_f64 v[10:11], v[10:11], -v[4:5]
	v_add_f64 v[2:3], v[2:3], v[8:9]
	v_mul_f64 v[8:9], v[10:11], v[10:11]
	v_fma_f64 v[26:27], -v[16:17], v[24:25], 1.0
	v_fmac_f64_e32 v[24:25], v[24:25], v[26:27]
	v_fma_f64 v[26:27], -v[16:17], v[24:25], 1.0
	v_fmac_f64_e32 v[24:25], v[24:25], v[26:27]
	v_div_scale_f64 v[26:27], vcc, v[12:13], v[14:15], v[12:13]
	v_mul_f64 v[28:29], v[26:27], v[24:25]
	v_fma_f64 v[16:17], -v[16:17], v[28:29], v[26:27]
	v_mul_f64 v[6:7], v[6:7], v[8:9]
	s_nop 0
	v_div_fmas_f64 v[16:17], v[16:17], v[24:25], v[28:29]
	v_div_fixup_f64 v[12:13], v[16:17], v[14:15], v[12:13]
	v_fmac_f64_e32 v[4:5], v[10:11], v[12:13]
	v_fmac_f64_e32 v[2:3], v[6:7], v[12:13]
	v_pk_mov_b32 v[6:7], v[14:15], v[14:15] op_sel:[0,1]
.LBB13_42:
	s_or_b64 exec, exec, s[10:11]
	v_pk_mov_b32 v[12:13], v[6:7], v[6:7] op_sel:[0,1]
	v_pk_mov_b32 v[8:9], v[2:3], v[2:3] op_sel:[0,1]
	v_pk_mov_b32 v[10:11], v[4:5], v[4:5] op_sel:[0,1]
.LBB13_43:
	s_or_b64 exec, exec, s[8:9]
	s_waitcnt lgkmcnt(5)
	ds_bpermute_b32 v6, v20, v10
	s_waitcnt lgkmcnt(5)
	ds_bpermute_b32 v7, v20, v11
	s_waitcnt lgkmcnt(5)
	ds_bpermute_b32 v2, v20, v8
	s_waitcnt lgkmcnt(5)
	ds_bpermute_b32 v3, v20, v9
	s_waitcnt lgkmcnt(5)
	ds_bpermute_b32 v14, v20, v12
	s_waitcnt lgkmcnt(5)
	ds_bpermute_b32 v15, v20, v13
	v_cmp_neq_f64_e32 vcc, 0, v[12:13]
	s_and_saveexec_b64 s[8:9], vcc
	s_cbranch_execz .LBB13_47
; %bb.44:
	s_waitcnt lgkmcnt(0)
	v_cmp_neq_f64_e32 vcc, 0, v[14:15]
	s_and_saveexec_b64 s[10:11], vcc
	s_cbranch_execz .LBB13_46
; %bb.45:
	v_add_f64 v[4:5], v[12:13], v[14:15]
	v_div_scale_f64 v[16:17], s[12:13], v[4:5], v[4:5], v[14:15]
	v_rcp_f64_e32 v[24:25], v[16:17]
	v_add_f64 v[6:7], v[6:7], -v[10:11]
	v_add_f64 v[8:9], v[8:9], v[2:3]
	v_mul_f64 v[2:3], v[6:7], v[6:7]
	v_fma_f64 v[26:27], -v[16:17], v[24:25], 1.0
	v_fmac_f64_e32 v[24:25], v[24:25], v[26:27]
	v_fma_f64 v[26:27], -v[16:17], v[24:25], 1.0
	v_fmac_f64_e32 v[24:25], v[24:25], v[26:27]
	v_div_scale_f64 v[26:27], vcc, v[14:15], v[4:5], v[14:15]
	v_mul_f64 v[28:29], v[26:27], v[24:25]
	v_fma_f64 v[16:17], -v[16:17], v[28:29], v[26:27]
	v_mul_f64 v[2:3], v[12:13], v[2:3]
	s_nop 0
	v_div_fmas_f64 v[16:17], v[16:17], v[24:25], v[28:29]
	v_div_fixup_f64 v[14:15], v[16:17], v[4:5], v[14:15]
	v_fmac_f64_e32 v[10:11], v[6:7], v[14:15]
	v_fmac_f64_e32 v[8:9], v[2:3], v[14:15]
	v_pk_mov_b32 v[12:13], v[4:5], v[4:5] op_sel:[0,1]
.LBB13_46:
	s_or_b64 exec, exec, s[10:11]
	v_pk_mov_b32 v[14:15], v[12:13], v[12:13] op_sel:[0,1]
	v_pk_mov_b32 v[2:3], v[8:9], v[8:9] op_sel:[0,1]
	v_pk_mov_b32 v[6:7], v[10:11], v[10:11] op_sel:[0,1]
.LBB13_47:
	s_or_b64 exec, exec, s[8:9]
	s_waitcnt lgkmcnt(5)
	ds_bpermute_b32 v8, v21, v6
	s_waitcnt lgkmcnt(5)
	ds_bpermute_b32 v9, v21, v7
	s_waitcnt lgkmcnt(5)
	ds_bpermute_b32 v4, v21, v2
	s_waitcnt lgkmcnt(5)
	ds_bpermute_b32 v5, v21, v3
	s_waitcnt lgkmcnt(5)
	ds_bpermute_b32 v10, v21, v14
	s_waitcnt lgkmcnt(5)
	ds_bpermute_b32 v11, v21, v15
	;; [unrolled: 48-line block ×5, first 2 shown]
	v_cmp_neq_f64_e32 vcc, 0, v[12:13]
	s_and_saveexec_b64 s[8:9], vcc
	s_cbranch_execz .LBB13_63
; %bb.60:
	s_waitcnt lgkmcnt(0)
	v_cmp_neq_f64_e32 vcc, 0, v[6:7]
	s_and_saveexec_b64 s[10:11], vcc
	s_cbranch_execz .LBB13_62
; %bb.61:
	v_add_f64 v[14:15], v[12:13], v[6:7]
	v_div_scale_f64 v[16:17], s[12:13], v[14:15], v[14:15], v[6:7]
	v_rcp_f64_e32 v[18:19], v[16:17]
	v_add_f64 v[4:5], v[4:5], -v[10:11]
	v_add_f64 v[8:9], v[8:9], v[2:3]
	v_mul_f64 v[2:3], v[4:5], v[4:5]
	v_fma_f64 v[20:21], -v[16:17], v[18:19], 1.0
	v_fmac_f64_e32 v[18:19], v[18:19], v[20:21]
	v_fma_f64 v[20:21], -v[16:17], v[18:19], 1.0
	v_fmac_f64_e32 v[18:19], v[18:19], v[20:21]
	v_div_scale_f64 v[20:21], vcc, v[6:7], v[14:15], v[6:7]
	v_mul_f64 v[22:23], v[20:21], v[18:19]
	v_fma_f64 v[16:17], -v[16:17], v[22:23], v[20:21]
	v_mul_f64 v[2:3], v[12:13], v[2:3]
	s_nop 0
	v_div_fmas_f64 v[16:17], v[16:17], v[18:19], v[22:23]
	v_div_fixup_f64 v[6:7], v[16:17], v[14:15], v[6:7]
	v_fmac_f64_e32 v[10:11], v[4:5], v[6:7]
	v_fmac_f64_e32 v[8:9], v[2:3], v[6:7]
	v_pk_mov_b32 v[12:13], v[14:15], v[14:15] op_sel:[0,1]
.LBB13_62:
	s_or_b64 exec, exec, s[10:11]
	v_pk_mov_b32 v[6:7], v[12:13], v[12:13] op_sel:[0,1]
	v_pk_mov_b32 v[2:3], v[8:9], v[8:9] op_sel:[0,1]
	;; [unrolled: 1-line block ×3, first 2 shown]
.LBB13_63:
	s_or_b64 exec, exec, s[8:9]
	s_or_b64 exec, exec, s[0:1]
	v_cmp_eq_u32_e32 vcc, 0, v0
	s_and_saveexec_b64 s[0:1], vcc
	s_cbranch_execz .LBB13_35
.LBB13_64:
	s_waitcnt lgkmcnt(0)
	v_max_f64 v[0:1], v[6:7], v[6:7]
	v_max_f64 v[0:1], v[0:1], 0
	v_div_scale_f64 v[6:7], s[0:1], v[0:1], v[0:1], v[2:3]
	v_rcp_f64_e32 v[8:9], v[6:7]
	v_div_scale_f64 v[10:11], vcc, v[2:3], v[0:1], v[2:3]
	s_load_dwordx2 s[0:1], s[4:5], 0x20
	v_fma_f64 v[12:13], -v[6:7], v[8:9], 1.0
	v_fmac_f64_e32 v[8:9], v[8:9], v[12:13]
	v_fma_f64 v[12:13], -v[6:7], v[8:9], 1.0
	v_fmac_f64_e32 v[8:9], v[8:9], v[12:13]
	v_mul_f64 v[12:13], v[10:11], v[8:9]
	v_fma_f64 v[6:7], -v[6:7], v[12:13], v[10:11]
	v_div_fmas_f64 v[6:7], v[6:7], v[8:9], v[12:13]
	v_div_fixup_f64 v[0:1], v[6:7], v[0:1], v[2:3]
	v_fmac_f64_e32 v[0:1], v[4:5], v[4:5]
	v_add_f64 v[0:1], v[0:1], s[2:3]
	v_rsq_f64_e32 v[2:3], v[0:1]
	s_mov_b32 s2, 0
	s_mov_b32 s3, 0x3fd80000
	v_mul_f64 v[0:1], v[2:3], -v[0:1]
	v_fma_f64 v[0:1], v[0:1], v[2:3], 1.0
	v_mul_f64 v[4:5], v[2:3], v[0:1]
	v_fma_f64 v[0:1], v[0:1], s[2:3], 0.5
	v_fma_f64 v[0:1], v[4:5], v[0:1], v[2:3]
	v_mov_b32_e32 v4, 0x180
	s_lshl_b64 s[2:3], s[6:7], 3
	v_cmp_class_f64_e32 vcc, v[2:3], v4
	s_waitcnt lgkmcnt(0)
	s_add_u32 s0, s0, s2
	v_cndmask_b32_e32 v1, v3, v1, vcc
	v_cndmask_b32_e32 v0, v2, v0, vcc
	s_addc_u32 s1, s1, s3
	v_mov_b32_e32 v2, 0
	global_store_dwordx2 v2, v[0:1], s[0:1]
	s_endpgm
	.section	.rodata,"a",@progbits
	.p2align	6, 0x0
	.amdhsa_kernel _ZN2at6native12_GLOBAL__N_124RowwiseMomentsCUDAKernelIddLb1EEEvlT0_PKT_PS3_S7_
		.amdhsa_group_segment_fixed_size 2048
		.amdhsa_private_segment_fixed_size 0
		.amdhsa_kernarg_size 296
		.amdhsa_user_sgpr_count 6
		.amdhsa_user_sgpr_private_segment_buffer 1
		.amdhsa_user_sgpr_dispatch_ptr 0
		.amdhsa_user_sgpr_queue_ptr 0
		.amdhsa_user_sgpr_kernarg_segment_ptr 1
		.amdhsa_user_sgpr_dispatch_id 0
		.amdhsa_user_sgpr_flat_scratch_init 0
		.amdhsa_user_sgpr_kernarg_preload_length 0
		.amdhsa_user_sgpr_kernarg_preload_offset 0
		.amdhsa_user_sgpr_private_segment_size 0
		.amdhsa_uses_dynamic_stack 0
		.amdhsa_system_sgpr_private_segment_wavefront_offset 0
		.amdhsa_system_sgpr_workgroup_id_x 1
		.amdhsa_system_sgpr_workgroup_id_y 0
		.amdhsa_system_sgpr_workgroup_id_z 0
		.amdhsa_system_sgpr_workgroup_info 0
		.amdhsa_system_vgpr_workitem_id 0
		.amdhsa_next_free_vgpr 30
		.amdhsa_next_free_sgpr 18
		.amdhsa_accum_offset 32
		.amdhsa_reserve_vcc 1
		.amdhsa_reserve_flat_scratch 0
		.amdhsa_float_round_mode_32 0
		.amdhsa_float_round_mode_16_64 0
		.amdhsa_float_denorm_mode_32 3
		.amdhsa_float_denorm_mode_16_64 3
		.amdhsa_dx10_clamp 1
		.amdhsa_ieee_mode 1
		.amdhsa_fp16_overflow 0
		.amdhsa_tg_split 0
		.amdhsa_exception_fp_ieee_invalid_op 0
		.amdhsa_exception_fp_denorm_src 0
		.amdhsa_exception_fp_ieee_div_zero 0
		.amdhsa_exception_fp_ieee_overflow 0
		.amdhsa_exception_fp_ieee_underflow 0
		.amdhsa_exception_fp_ieee_inexact 0
		.amdhsa_exception_int_div_zero 0
	.end_amdhsa_kernel
	.section	.text._ZN2at6native12_GLOBAL__N_124RowwiseMomentsCUDAKernelIddLb1EEEvlT0_PKT_PS3_S7_,"axG",@progbits,_ZN2at6native12_GLOBAL__N_124RowwiseMomentsCUDAKernelIddLb1EEEvlT0_PKT_PS3_S7_,comdat
.Lfunc_end13:
	.size	_ZN2at6native12_GLOBAL__N_124RowwiseMomentsCUDAKernelIddLb1EEEvlT0_PKT_PS3_S7_, .Lfunc_end13-_ZN2at6native12_GLOBAL__N_124RowwiseMomentsCUDAKernelIddLb1EEEvlT0_PKT_PS3_S7_
                                        ; -- End function
	.section	.AMDGPU.csdata,"",@progbits
; Kernel info:
; codeLenInByte = 4420
; NumSgprs: 22
; NumVgprs: 30
; NumAgprs: 0
; TotalNumVgprs: 30
; ScratchSize: 0
; MemoryBound: 0
; FloatMode: 240
; IeeeMode: 1
; LDSByteSize: 2048 bytes/workgroup (compile time only)
; SGPRBlocks: 2
; VGPRBlocks: 3
; NumSGPRsForWavesPerEU: 22
; NumVGPRsForWavesPerEU: 30
; AccumOffset: 32
; Occupancy: 8
; WaveLimiterHint : 0
; COMPUTE_PGM_RSRC2:SCRATCH_EN: 0
; COMPUTE_PGM_RSRC2:USER_SGPR: 6
; COMPUTE_PGM_RSRC2:TRAP_HANDLER: 0
; COMPUTE_PGM_RSRC2:TGID_X_EN: 1
; COMPUTE_PGM_RSRC2:TGID_Y_EN: 0
; COMPUTE_PGM_RSRC2:TGID_Z_EN: 0
; COMPUTE_PGM_RSRC2:TIDIG_COMP_CNT: 0
; COMPUTE_PGM_RSRC3_GFX90A:ACCUM_OFFSET: 7
; COMPUTE_PGM_RSRC3_GFX90A:TG_SPLIT: 0
	.section	.text._ZN2at6native12_GLOBAL__N_126LayerNormForwardCUDAKernelIddLb1EEEvlPKT_PKT0_S8_S5_S5_PS3_,"axG",@progbits,_ZN2at6native12_GLOBAL__N_126LayerNormForwardCUDAKernelIddLb1EEEvlPKT_PKT0_S8_S5_S5_PS3_,comdat
	.globl	_ZN2at6native12_GLOBAL__N_126LayerNormForwardCUDAKernelIddLb1EEEvlPKT_PKT0_S8_S5_S5_PS3_ ; -- Begin function _ZN2at6native12_GLOBAL__N_126LayerNormForwardCUDAKernelIddLb1EEEvlPKT_PKT0_S8_S5_S5_PS3_
	.p2align	8
	.type	_ZN2at6native12_GLOBAL__N_126LayerNormForwardCUDAKernelIddLb1EEEvlPKT_PKT0_S8_S5_S5_PS3_,@function
_ZN2at6native12_GLOBAL__N_126LayerNormForwardCUDAKernelIddLb1EEEvlPKT_PKT0_S8_S5_S5_PS3_: ; @_ZN2at6native12_GLOBAL__N_126LayerNormForwardCUDAKernelIddLb1EEEvlPKT_PKT0_S8_S5_S5_PS3_
; %bb.0:
	s_load_dwordx4 s[8:11], s[4:5], 0x0
	v_mov_b32_e32 v1, 0
	s_waitcnt lgkmcnt(0)
	v_cmp_gt_i64_e32 vcc, s[8:9], v[0:1]
	s_and_saveexec_b64 s[0:1], vcc
	s_cbranch_execz .LBB14_6
; %bb.1:
	s_load_dwordx4 s[0:3], s[4:5], 0x18
	s_load_dwordx2 s[16:17], s[4:5], 0x30
	s_mov_b32 s7, 0
	s_load_dword s14, s[4:5], 0x44
	s_mov_b64 s[12:13], 0
	s_waitcnt lgkmcnt(0)
	s_cmp_lg_u64 s[2:3], 0
	s_cselect_b64 s[18:19], -1, 0
	s_lshl_b64 s[4:5], s[6:7], 3
	s_add_u32 s4, s0, s4
	s_addc_u32 s5, s1, s5
	s_mul_i32 s0, s9, s6
	s_mul_hi_u32 s1, s8, s6
	s_add_i32 s1, s1, s0
	s_mul_i32 s0, s8, s6
	s_and_b32 s14, s14, 0xffff
	s_lshl_b64 s[0:1], s[0:1], 3
	s_add_u32 s6, s10, s0
	s_addc_u32 s20, s11, s1
	s_lshl_b32 s10, s14, 3
	s_add_u32 s11, s16, s0
	s_addc_u32 s16, s17, s1
	v_cndmask_b32_e64 v4, 0, 1, s[18:19]
	v_lshlrev_b32_e32 v2, 3, v0
	v_mov_b32_e32 v3, v1
	v_cmp_ne_u32_e64 s[0:1], 1, v4
	v_mov_b32_e32 v8, s20
	v_mov_b32_e32 v9, s16
	;; [unrolled: 1-line block ×4, first 2 shown]
	v_pk_mov_b32 v[4:5], v[0:1], v[0:1] op_sel:[0,1]
	s_branch .LBB14_4
.LBB14_2:                               ;   in Loop: Header=BB14_4 Depth=1
	v_mov_b32_e32 v0, s3
	v_add_co_u32_e32 v6, vcc, s2, v2
	v_addc_co_u32_e32 v7, vcc, v0, v3, vcc
	global_load_dwordx2 v[6:7], v[6:7], off
.LBB14_3:                               ;   in Loop: Header=BB14_4 Depth=1
	v_add_co_u32_e32 v12, vcc, s6, v2
	v_addc_co_u32_e32 v13, vcc, v8, v3, vcc
	global_load_dwordx2 v[14:15], v1, s[4:5]
	global_load_dwordx2 v[16:17], v[12:13], off
	v_add_co_u32_e32 v12, vcc, s11, v2
	v_addc_co_u32_e32 v13, vcc, v9, v3, vcc
	v_add_co_u32_e32 v4, vcc, s14, v4
	v_addc_co_u32_e32 v5, vcc, v5, v10, vcc
	v_cmp_le_i64_e32 vcc, s[8:9], v[4:5]
	s_or_b64 s[12:13], vcc, s[12:13]
	v_add_co_u32_e32 v2, vcc, s10, v2
	v_addc_co_u32_e32 v3, vcc, v3, v11, vcc
	s_waitcnt vmcnt(0)
	v_mul_f64 v[14:15], v[16:17], v[14:15]
	v_mul_f64 v[6:7], v[6:7], v[14:15]
	global_store_dwordx2 v[12:13], v[6:7], off
	s_andn2_b64 exec, exec, s[12:13]
	s_cbranch_execz .LBB14_6
.LBB14_4:                               ; =>This Inner Loop Header: Depth=1
	s_and_b64 vcc, exec, s[0:1]
	s_cbranch_vccz .LBB14_2
; %bb.5:                                ;   in Loop: Header=BB14_4 Depth=1
	v_mov_b32_e32 v6, 0
	v_mov_b32_e32 v7, 0x3ff00000
	s_branch .LBB14_3
.LBB14_6:
	s_endpgm
	.section	.rodata,"a",@progbits
	.p2align	6, 0x0
	.amdhsa_kernel _ZN2at6native12_GLOBAL__N_126LayerNormForwardCUDAKernelIddLb1EEEvlPKT_PKT0_S8_S5_S5_PS3_
		.amdhsa_group_segment_fixed_size 0
		.amdhsa_private_segment_fixed_size 0
		.amdhsa_kernarg_size 312
		.amdhsa_user_sgpr_count 6
		.amdhsa_user_sgpr_private_segment_buffer 1
		.amdhsa_user_sgpr_dispatch_ptr 0
		.amdhsa_user_sgpr_queue_ptr 0
		.amdhsa_user_sgpr_kernarg_segment_ptr 1
		.amdhsa_user_sgpr_dispatch_id 0
		.amdhsa_user_sgpr_flat_scratch_init 0
		.amdhsa_user_sgpr_kernarg_preload_length 0
		.amdhsa_user_sgpr_kernarg_preload_offset 0
		.amdhsa_user_sgpr_private_segment_size 0
		.amdhsa_uses_dynamic_stack 0
		.amdhsa_system_sgpr_private_segment_wavefront_offset 0
		.amdhsa_system_sgpr_workgroup_id_x 1
		.amdhsa_system_sgpr_workgroup_id_y 0
		.amdhsa_system_sgpr_workgroup_id_z 0
		.amdhsa_system_sgpr_workgroup_info 0
		.amdhsa_system_vgpr_workitem_id 0
		.amdhsa_next_free_vgpr 18
		.amdhsa_next_free_sgpr 21
		.amdhsa_accum_offset 20
		.amdhsa_reserve_vcc 1
		.amdhsa_reserve_flat_scratch 0
		.amdhsa_float_round_mode_32 0
		.amdhsa_float_round_mode_16_64 0
		.amdhsa_float_denorm_mode_32 3
		.amdhsa_float_denorm_mode_16_64 3
		.amdhsa_dx10_clamp 1
		.amdhsa_ieee_mode 1
		.amdhsa_fp16_overflow 0
		.amdhsa_tg_split 0
		.amdhsa_exception_fp_ieee_invalid_op 0
		.amdhsa_exception_fp_denorm_src 0
		.amdhsa_exception_fp_ieee_div_zero 0
		.amdhsa_exception_fp_ieee_overflow 0
		.amdhsa_exception_fp_ieee_underflow 0
		.amdhsa_exception_fp_ieee_inexact 0
		.amdhsa_exception_int_div_zero 0
	.end_amdhsa_kernel
	.section	.text._ZN2at6native12_GLOBAL__N_126LayerNormForwardCUDAKernelIddLb1EEEvlPKT_PKT0_S8_S5_S5_PS3_,"axG",@progbits,_ZN2at6native12_GLOBAL__N_126LayerNormForwardCUDAKernelIddLb1EEEvlPKT_PKT0_S8_S5_S5_PS3_,comdat
.Lfunc_end14:
	.size	_ZN2at6native12_GLOBAL__N_126LayerNormForwardCUDAKernelIddLb1EEEvlPKT_PKT0_S8_S5_S5_PS3_, .Lfunc_end14-_ZN2at6native12_GLOBAL__N_126LayerNormForwardCUDAKernelIddLb1EEEvlPKT_PKT0_S8_S5_S5_PS3_
                                        ; -- End function
	.section	.AMDGPU.csdata,"",@progbits
; Kernel info:
; codeLenInByte = 324
; NumSgprs: 25
; NumVgprs: 18
; NumAgprs: 0
; TotalNumVgprs: 18
; ScratchSize: 0
; MemoryBound: 0
; FloatMode: 240
; IeeeMode: 1
; LDSByteSize: 0 bytes/workgroup (compile time only)
; SGPRBlocks: 3
; VGPRBlocks: 2
; NumSGPRsForWavesPerEU: 25
; NumVGPRsForWavesPerEU: 18
; AccumOffset: 20
; Occupancy: 8
; WaveLimiterHint : 0
; COMPUTE_PGM_RSRC2:SCRATCH_EN: 0
; COMPUTE_PGM_RSRC2:USER_SGPR: 6
; COMPUTE_PGM_RSRC2:TRAP_HANDLER: 0
; COMPUTE_PGM_RSRC2:TGID_X_EN: 1
; COMPUTE_PGM_RSRC2:TGID_Y_EN: 0
; COMPUTE_PGM_RSRC2:TGID_Z_EN: 0
; COMPUTE_PGM_RSRC2:TIDIG_COMP_CNT: 0
; COMPUTE_PGM_RSRC3_GFX90A:ACCUM_OFFSET: 4
; COMPUTE_PGM_RSRC3_GFX90A:TG_SPLIT: 0
	.section	.text._ZN2at6native12_GLOBAL__N_128vectorized_layer_norm_kernelIffLb1EEEviT0_PKT_S6_S6_PS3_S7_PS4_,"axG",@progbits,_ZN2at6native12_GLOBAL__N_128vectorized_layer_norm_kernelIffLb1EEEviT0_PKT_S6_S6_PS3_S7_PS4_,comdat
	.globl	_ZN2at6native12_GLOBAL__N_128vectorized_layer_norm_kernelIffLb1EEEviT0_PKT_S6_S6_PS3_S7_PS4_ ; -- Begin function _ZN2at6native12_GLOBAL__N_128vectorized_layer_norm_kernelIffLb1EEEviT0_PKT_S6_S6_PS3_S7_PS4_
	.p2align	8
	.type	_ZN2at6native12_GLOBAL__N_128vectorized_layer_norm_kernelIffLb1EEEviT0_PKT_S6_S6_PS3_S7_PS4_,@function
_ZN2at6native12_GLOBAL__N_128vectorized_layer_norm_kernelIffLb1EEEviT0_PKT_S6_S6_PS3_S7_PS4_: ; @_ZN2at6native12_GLOBAL__N_128vectorized_layer_norm_kernelIffLb1EEEviT0_PKT_S6_S6_PS3_S7_PS4_
; %bb.0:
	s_load_dwordx4 s[12:15], s[4:5], 0x0
	s_load_dword s0, s[4:5], 0x44
	v_and_b32_e32 v2, 0x3ff, v0
	v_bfe_u32 v3, v0, 10, 10
	s_mov_b32 s7, 0
	s_waitcnt lgkmcnt(0)
	s_ashr_i32 s1, s12, 31
	s_lshr_b32 s20, s0, 16
	s_and_b32 s0, s0, 0xffff
	s_mul_i32 s16, s20, s0
	v_mul_u32_u24_e32 v0, s0, v3
	v_mad_u32_u24 v14, v3, s0, v2
	s_lshr_b32 s0, s1, 30
	s_add_i32 s0, s12, s0
	s_mul_hi_u32 s2, s12, s6
	s_mul_i32 s3, s1, s6
	s_ashr_i32 s22, s0, 2
	s_add_i32 s19, s2, s3
	s_mul_i32 s18, s12, s6
	v_cmp_gt_i32_e64 s[0:1], s22, v14
	v_mov_b32_e32 v4, 0
	v_add_lshl_u32 v8, v0, v2, 4
	s_and_saveexec_b64 s[2:3], s[0:1]
	s_cbranch_execz .LBB15_4
; %bb.1:
	s_lshl_b64 s[8:9], s[18:19], 2
	s_add_u32 s8, s14, s8
	s_addc_u32 s9, s15, s9
	v_mov_b32_e32 v0, s9
	v_add_co_u32_e32 v1, vcc, s8, v8
	v_addc_co_u32_e32 v5, vcc, 0, v0, vcc
	s_ashr_i32 s17, s16, 31
	v_add_co_u32_e32 v0, vcc, 8, v1
	s_lshl_b64 s[10:11], s[16:17], 4
	v_mov_b32_e32 v4, 0
	v_addc_co_u32_e32 v1, vcc, 0, v5, vcc
	s_mov_b64 s[8:9], 0
	v_mov_b32_e32 v5, s11
	v_mov_b32_e32 v6, v14
.LBB15_2:                               ; =>This Inner Loop Header: Depth=1
	global_load_dwordx4 v[10:13], v[0:1], off offset:-8
	v_add_co_u32_e32 v0, vcc, s10, v0
	v_add_u32_e32 v6, s16, v6
	v_addc_co_u32_e32 v1, vcc, v1, v5, vcc
	v_cmp_le_i32_e32 vcc, s22, v6
	s_or_b64 s[8:9], vcc, s[8:9]
	s_waitcnt vmcnt(0)
	v_fmac_f32_e32 v4, v10, v10
	v_fmac_f32_e32 v4, v11, v11
	;; [unrolled: 1-line block ×4, first 2 shown]
	s_andn2_b64 exec, exec, s[8:9]
	s_cbranch_execnz .LBB15_2
; %bb.3:
	s_or_b64 exec, exec, s[8:9]
.LBB15_4:
	s_or_b64 exec, exec, s[2:3]
	v_mbcnt_lo_u32_b32 v0, -1, 0
	v_mbcnt_hi_u32_b32 v1, -1, v0
	v_and_b32_e32 v0, 63, v1
	v_cmp_gt_u32_e32 vcc, 32, v0
	v_cndmask_b32_e64 v5, 0, 1, vcc
	v_lshlrev_b32_e32 v5, 5, v5
	v_add_lshl_u32 v5, v5, v1, 2
	ds_bpermute_b32 v5, v5, v4
	v_cmp_gt_u32_e32 vcc, 48, v0
	v_cndmask_b32_e64 v6, 0, 1, vcc
	v_lshlrev_b32_e32 v6, 4, v6
	v_cmp_gt_u32_e32 vcc, 56, v0
	s_waitcnt lgkmcnt(0)
	v_add_f32_e32 v4, v4, v5
	v_add_lshl_u32 v5, v6, v1, 2
	ds_bpermute_b32 v5, v5, v4
	v_cndmask_b32_e64 v6, 0, 1, vcc
	v_lshlrev_b32_e32 v6, 3, v6
	v_cmp_gt_u32_e32 vcc, 60, v0
	s_cmp_lt_u32 s20, 2
	s_waitcnt lgkmcnt(0)
	v_add_f32_e32 v4, v4, v5
	v_add_lshl_u32 v5, v6, v1, 2
	ds_bpermute_b32 v5, v5, v4
	v_cndmask_b32_e64 v6, 0, 1, vcc
	v_lshlrev_b32_e32 v6, 2, v6
	v_cmp_gt_u32_e32 vcc, 62, v0
	s_waitcnt lgkmcnt(0)
	v_add_f32_e32 v4, v4, v5
	v_add_lshl_u32 v5, v6, v1, 2
	ds_bpermute_b32 v5, v5, v4
	v_cndmask_b32_e64 v6, 0, 1, vcc
	v_lshlrev_b32_e32 v6, 1, v6
	v_cmp_ne_u32_e32 vcc, 63, v0
	v_addc_co_u32_e32 v0, vcc, 0, v1, vcc
	s_waitcnt lgkmcnt(0)
	v_add_f32_e32 v4, v4, v5
	v_add_lshl_u32 v5, v6, v1, 2
	ds_bpermute_b32 v5, v5, v4
	v_lshlrev_b32_e32 v0, 2, v0
	s_waitcnt lgkmcnt(0)
	v_add_f32_e32 v4, v4, v5
	ds_bpermute_b32 v0, v0, v4
	s_waitcnt lgkmcnt(0)
	v_add_f32_e32 v0, v4, v0
	s_cbranch_scc0 .LBB15_6
; %bb.5:
	v_lshlrev_b32_e32 v1, 2, v1
	v_and_b32_e32 v1, 0x100, v1
	ds_bpermute_b32 v4, v1, v0
	v_cvt_f32_i32_e32 v5, s12
	v_mov_b32_e32 v6, 0
	ds_bpermute_b32 v10, v1, v6
	s_waitcnt lgkmcnt(1)
	v_div_scale_f32 v7, s[2:3], v5, v5, v4
	v_rcp_f32_e32 v9, v7
	v_div_scale_f32 v1, vcc, v4, v5, v4
	v_fma_f32 v6, -v7, v9, 1.0
	v_fmac_f32_e32 v9, v6, v9
	v_mul_f32_e32 v6, v1, v9
	v_fma_f32 v11, -v7, v6, v1
	v_fmac_f32_e32 v6, v11, v9
	v_fma_f32 v1, -v7, v6, v1
	v_div_fmas_f32 v1, v1, v9, v6
	v_div_fixup_f32 v11, v1, v5, v4
	s_cbranch_execz .LBB15_7
	s_branch .LBB15_17
.LBB15_6:
                                        ; implicit-def: $vgpr10_vgpr11
.LBB15_7:
	s_lshl_b32 s2, s20, 2
	s_add_i32 s10, s2, 0
	v_cmp_eq_u32_e32 vcc, 0, v2
	v_mov_b32_e32 v1, 0
	v_lshl_add_u32 v4, v3, 3, 0
.LBB15_8:                               ; =>This Inner Loop Header: Depth=1
	s_lshr_b32 s11, s20, 1
	s_and_b32 s8, s20, 0xfffe
	v_cmp_le_u32_e64 s[2:3], s11, v3
	v_cmp_gt_u32_e64 s[8:9], s8, v3
	s_and_b64 s[2:3], s[2:3], s[8:9]
	s_and_b64 s[8:9], vcc, s[2:3]
	s_and_saveexec_b64 s[2:3], s[8:9]
	s_cbranch_execz .LBB15_10
; %bb.9:                                ;   in Loop: Header=BB15_8 Depth=1
	v_subrev_u32_e32 v5, s11, v3
	v_lshl_add_u32 v6, v5, 3, 0
	v_lshl_add_u32 v5, v5, 2, s10
	ds_write2_b32 v6, v1, v0 offset1:1
	ds_write_b32 v5, v1
.LBB15_10:                              ;   in Loop: Header=BB15_8 Depth=1
	s_or_b64 exec, exec, s[2:3]
	v_cmp_gt_u32_e64 s[2:3], s11, v3
	s_and_b64 s[8:9], vcc, s[2:3]
	s_waitcnt lgkmcnt(0)
	s_barrier
	s_and_saveexec_b64 s[2:3], s[8:9]
	s_cbranch_execz .LBB15_12
; %bb.11:                               ;   in Loop: Header=BB15_8 Depth=1
	ds_read_b32 v5, v4 offset:4
	s_waitcnt lgkmcnt(0)
	v_add_f32_e32 v0, v0, v5
.LBB15_12:                              ;   in Loop: Header=BB15_8 Depth=1
	s_or_b64 exec, exec, s[2:3]
	s_cmp_lt_u32 s20, 4
	s_barrier
	s_cbranch_scc1 .LBB15_14
; %bb.13:                               ;   in Loop: Header=BB15_8 Depth=1
	s_mov_b32 s20, s11
	s_branch .LBB15_8
.LBB15_14:
	v_or_b32_e32 v1, v2, v3
	v_cmp_eq_u32_e32 vcc, 0, v1
	s_and_saveexec_b64 s[2:3], vcc
	s_cbranch_execz .LBB15_16
; %bb.15:
	v_cvt_f32_i32_e32 v1, s12
	v_div_scale_f32 v2, s[8:9], v1, v1, v0
	v_rcp_f32_e32 v3, v2
	v_div_scale_f32 v4, vcc, v0, v1, v0
	v_fma_f32 v5, -v2, v3, 1.0
	v_fmac_f32_e32 v3, v5, v3
	v_mul_f32_e32 v5, v4, v3
	v_fma_f32 v6, -v2, v5, v4
	v_fmac_f32_e32 v5, v6, v3
	v_fma_f32 v2, -v2, v5, v4
	v_div_fmas_f32 v2, v2, v3, v5
	v_div_fixup_f32 v0, v2, v1, v0
	v_mov_b32_e32 v1, 0
	ds_write2_b32 v1, v1, v0 offset1:1
.LBB15_16:
	s_or_b64 exec, exec, s[2:3]
	v_mov_b32_e32 v0, 0
	s_waitcnt lgkmcnt(0)
	s_barrier
	ds_read2_b32 v[10:11], v0 offset1:1
.LBB15_17:
	s_waitcnt lgkmcnt(0)
	v_add_f32_e32 v0, s13, v11
	s_mov_b32 s2, 0x800000
	v_mul_f32_e32 v1, 0x4b800000, v0
	v_cmp_gt_f32_e32 vcc, s2, v0
	v_cndmask_b32_e32 v0, v0, v1, vcc
	v_rsq_f32_e32 v0, v0
	s_load_dwordx4 s[8:11], s[4:5], 0x28
	v_mul_f32_e32 v1, 0x45800000, v0
	v_cndmask_b32_e32 v12, v0, v1, vcc
	s_and_saveexec_b64 s[12:13], s[0:1]
	s_cbranch_execz .LBB15_32
; %bb.18:
	s_load_dwordx4 s[0:3], s[4:5], 0x10
	s_mov_b64 s[4:5], 0
	v_mov_b32_e32 v13, v12
	v_mov_b32_e32 v11, v10
	;; [unrolled: 1-line block ×3, first 2 shown]
	s_waitcnt lgkmcnt(0)
	s_cmp_eq_u64 s[0:1], 0
	s_cselect_b64 s[20:21], -1, 0
	s_cmp_eq_u64 s[2:3], 0
	s_cselect_b64 s[26:27], -1, 0
	s_lshl_b64 s[28:29], s[18:19], 2
	s_add_u32 s23, s10, s28
	s_addc_u32 s24, s11, s29
	s_ashr_i32 s17, s16, 31
	s_or_b64 s[10:11], s[20:21], s[26:27]
	s_lshl_b64 s[18:19], s[16:17], 4
	s_add_u32 s14, s28, s14
	s_addc_u32 s15, s29, s15
	s_add_u32 s17, s14, 8
	s_addc_u32 s14, s15, 0
	v_cndmask_b32_e64 v0, 0, 1, s[26:27]
	s_add_u32 s25, s0, 8
	s_addc_u32 s26, s1, 0
	v_mov_b32_e32 v15, s14
	v_cmp_ne_u32_e64 s[0:1], 1, v0
	v_mov_b32_e32 v16, v14
	s_branch .LBB15_20
.LBB15_19:                              ;   in Loop: Header=BB15_20 Depth=1
	s_waitcnt vmcnt(0)
	v_mov_b32_e32 v1, s24
	v_add_co_u32_e32 v0, vcc, s23, v8
	v_addc_co_u32_e32 v1, vcc, v1, v9, vcc
	v_add_u32_e32 v16, s16, v16
	v_cmp_le_i32_e32 vcc, s22, v16
	global_store_dwordx4 v[0:1], v[4:7], off
	v_mov_b32_e32 v0, s19
	s_or_b64 s[4:5], vcc, s[4:5]
	v_add_co_u32_e32 v8, vcc, s18, v8
	v_addc_co_u32_e32 v9, vcc, v9, v0, vcc
	s_andn2_b64 exec, exec, s[4:5]
	s_cbranch_execz .LBB15_32
.LBB15_20:                              ; =>This Inner Loop Header: Depth=1
	v_add_co_u32_e32 v0, vcc, s17, v8
	v_addc_co_u32_e32 v1, vcc, v15, v9, vcc
	global_load_dwordx4 v[0:3], v[0:1], off offset:-8
	s_and_b64 vcc, exec, s[10:11]
	s_cbranch_vccz .LBB15_24
; %bb.21:                               ;   in Loop: Header=BB15_20 Depth=1
	s_and_b64 vcc, exec, s[20:21]
	s_cbranch_vccz .LBB15_25
; %bb.22:                               ;   in Loop: Header=BB15_20 Depth=1
	s_and_b64 vcc, exec, s[0:1]
	s_cbranch_vccnz .LBB15_26
; %bb.23:                               ;   in Loop: Header=BB15_20 Depth=1
	s_waitcnt vmcnt(0)
	v_pk_mul_f32 v[4:5], v[12:13], v[0:1]
	v_pk_mul_f32 v[6:7], v[12:13], v[2:3]
	s_cbranch_execz .LBB15_27
	s_branch .LBB15_28
.LBB15_24:                              ;   in Loop: Header=BB15_20 Depth=1
                                        ; implicit-def: $vgpr6_vgpr7
	s_branch .LBB15_31
.LBB15_25:                              ;   in Loop: Header=BB15_20 Depth=1
                                        ; implicit-def: $vgpr6_vgpr7
	s_branch .LBB15_29
.LBB15_26:                              ;   in Loop: Header=BB15_20 Depth=1
                                        ; implicit-def: $vgpr6_vgpr7
.LBB15_27:                              ;   in Loop: Header=BB15_20 Depth=1
	v_mov_b32_e32 v5, s3
	v_add_co_u32_e32 v4, vcc, s2, v8
	v_addc_co_u32_e32 v5, vcc, v5, v9, vcc
	global_load_dwordx4 v[4:7], v[4:5], off
	s_waitcnt vmcnt(1)
	v_pk_add_f32 v[18:19], v[0:1], v[10:11] neg_lo:[0,1] neg_hi:[0,1]
	v_pk_add_f32 v[20:21], v[2:3], v[10:11] neg_lo:[0,1] neg_hi:[0,1]
	s_waitcnt vmcnt(0)
	v_pk_fma_f32 v[4:5], v[12:13], v[18:19], v[4:5]
	v_pk_fma_f32 v[6:7], v[12:13], v[20:21], v[6:7]
.LBB15_28:                              ;   in Loop: Header=BB15_20 Depth=1
	s_cbranch_execnz .LBB15_30
.LBB15_29:                              ;   in Loop: Header=BB15_20 Depth=1
	v_mov_b32_e32 v5, s26
	v_add_co_u32_e32 v4, vcc, s25, v8
	v_addc_co_u32_e32 v5, vcc, v5, v9, vcc
	global_load_dwordx4 v[4:7], v[4:5], off offset:-8
	s_waitcnt vmcnt(1)
	v_pk_mul_f32 v[18:19], v[12:13], v[0:1]
	v_pk_mul_f32 v[20:21], v[12:13], v[2:3]
	s_waitcnt vmcnt(0)
	v_pk_mul_f32 v[4:5], v[18:19], v[4:5]
	v_pk_mul_f32 v[6:7], v[20:21], v[6:7]
.LBB15_30:                              ;   in Loop: Header=BB15_20 Depth=1
	s_cbranch_execnz .LBB15_19
.LBB15_31:                              ;   in Loop: Header=BB15_20 Depth=1
	v_mov_b32_e32 v5, s26
	v_add_co_u32_e32 v4, vcc, s25, v8
	v_addc_co_u32_e32 v5, vcc, v5, v9, vcc
	global_load_dwordx4 v[4:7], v[4:5], off offset:-8
	s_waitcnt vmcnt(1)
	v_pk_mul_f32 v[0:1], v[12:13], v[0:1]
	v_pk_mul_f32 v[2:3], v[12:13], v[2:3]
	s_waitcnt vmcnt(0)
	v_pk_mul_f32 v[4:5], v[0:1], v[4:5]
	v_pk_mul_f32 v[6:7], v[2:3], v[6:7]
	s_branch .LBB15_19
.LBB15_32:
	s_or_b64 exec, exec, s[12:13]
	v_cmp_eq_u32_e32 vcc, 0, v14
	s_and_saveexec_b64 s[0:1], vcc
	s_cbranch_execz .LBB15_34
; %bb.33:
	s_lshl_b64 s[0:1], s[6:7], 2
	s_waitcnt lgkmcnt(0)
	s_add_u32 s0, s8, s0
	s_addc_u32 s1, s9, s1
	v_mov_b32_e32 v0, 0
	global_store_dword v0, v12, s[0:1]
.LBB15_34:
	s_endpgm
	.section	.rodata,"a",@progbits
	.p2align	6, 0x0
	.amdhsa_kernel _ZN2at6native12_GLOBAL__N_128vectorized_layer_norm_kernelIffLb1EEEviT0_PKT_S6_S6_PS3_S7_PS4_
		.amdhsa_group_segment_fixed_size 0
		.amdhsa_private_segment_fixed_size 0
		.amdhsa_kernarg_size 312
		.amdhsa_user_sgpr_count 6
		.amdhsa_user_sgpr_private_segment_buffer 1
		.amdhsa_user_sgpr_dispatch_ptr 0
		.amdhsa_user_sgpr_queue_ptr 0
		.amdhsa_user_sgpr_kernarg_segment_ptr 1
		.amdhsa_user_sgpr_dispatch_id 0
		.amdhsa_user_sgpr_flat_scratch_init 0
		.amdhsa_user_sgpr_kernarg_preload_length 0
		.amdhsa_user_sgpr_kernarg_preload_offset 0
		.amdhsa_user_sgpr_private_segment_size 0
		.amdhsa_uses_dynamic_stack 0
		.amdhsa_system_sgpr_private_segment_wavefront_offset 0
		.amdhsa_system_sgpr_workgroup_id_x 1
		.amdhsa_system_sgpr_workgroup_id_y 0
		.amdhsa_system_sgpr_workgroup_id_z 0
		.amdhsa_system_sgpr_workgroup_info 0
		.amdhsa_system_vgpr_workitem_id 1
		.amdhsa_next_free_vgpr 22
		.amdhsa_next_free_sgpr 30
		.amdhsa_accum_offset 24
		.amdhsa_reserve_vcc 1
		.amdhsa_reserve_flat_scratch 0
		.amdhsa_float_round_mode_32 0
		.amdhsa_float_round_mode_16_64 0
		.amdhsa_float_denorm_mode_32 3
		.amdhsa_float_denorm_mode_16_64 3
		.amdhsa_dx10_clamp 1
		.amdhsa_ieee_mode 1
		.amdhsa_fp16_overflow 0
		.amdhsa_tg_split 0
		.amdhsa_exception_fp_ieee_invalid_op 0
		.amdhsa_exception_fp_denorm_src 0
		.amdhsa_exception_fp_ieee_div_zero 0
		.amdhsa_exception_fp_ieee_overflow 0
		.amdhsa_exception_fp_ieee_underflow 0
		.amdhsa_exception_fp_ieee_inexact 0
		.amdhsa_exception_int_div_zero 0
	.end_amdhsa_kernel
	.section	.text._ZN2at6native12_GLOBAL__N_128vectorized_layer_norm_kernelIffLb1EEEviT0_PKT_S6_S6_PS3_S7_PS4_,"axG",@progbits,_ZN2at6native12_GLOBAL__N_128vectorized_layer_norm_kernelIffLb1EEEviT0_PKT_S6_S6_PS3_S7_PS4_,comdat
.Lfunc_end15:
	.size	_ZN2at6native12_GLOBAL__N_128vectorized_layer_norm_kernelIffLb1EEEviT0_PKT_S6_S6_PS3_S7_PS4_, .Lfunc_end15-_ZN2at6native12_GLOBAL__N_128vectorized_layer_norm_kernelIffLb1EEEviT0_PKT_S6_S6_PS3_S7_PS4_
                                        ; -- End function
	.section	.AMDGPU.csdata,"",@progbits
; Kernel info:
; codeLenInByte = 1484
; NumSgprs: 34
; NumVgprs: 22
; NumAgprs: 0
; TotalNumVgprs: 22
; ScratchSize: 0
; MemoryBound: 0
; FloatMode: 240
; IeeeMode: 1
; LDSByteSize: 0 bytes/workgroup (compile time only)
; SGPRBlocks: 4
; VGPRBlocks: 2
; NumSGPRsForWavesPerEU: 34
; NumVGPRsForWavesPerEU: 22
; AccumOffset: 24
; Occupancy: 8
; WaveLimiterHint : 0
; COMPUTE_PGM_RSRC2:SCRATCH_EN: 0
; COMPUTE_PGM_RSRC2:USER_SGPR: 6
; COMPUTE_PGM_RSRC2:TRAP_HANDLER: 0
; COMPUTE_PGM_RSRC2:TGID_X_EN: 1
; COMPUTE_PGM_RSRC2:TGID_Y_EN: 0
; COMPUTE_PGM_RSRC2:TGID_Z_EN: 0
; COMPUTE_PGM_RSRC2:TIDIG_COMP_CNT: 1
; COMPUTE_PGM_RSRC3_GFX90A:ACCUM_OFFSET: 5
; COMPUTE_PGM_RSRC3_GFX90A:TG_SPLIT: 0
	.section	.text._ZN2at6native12_GLOBAL__N_124RowwiseMomentsCUDAKernelIffLb1EEEvlT0_PKT_PS3_S7_,"axG",@progbits,_ZN2at6native12_GLOBAL__N_124RowwiseMomentsCUDAKernelIffLb1EEEvlT0_PKT_PS3_S7_,comdat
	.globl	_ZN2at6native12_GLOBAL__N_124RowwiseMomentsCUDAKernelIffLb1EEEvlT0_PKT_PS3_S7_ ; -- Begin function _ZN2at6native12_GLOBAL__N_124RowwiseMomentsCUDAKernelIffLb1EEEvlT0_PKT_PS3_S7_
	.p2align	8
	.type	_ZN2at6native12_GLOBAL__N_124RowwiseMomentsCUDAKernelIffLb1EEEvlT0_PKT_PS3_S7_,@function
_ZN2at6native12_GLOBAL__N_124RowwiseMomentsCUDAKernelIffLb1EEEvlT0_PKT_PS3_S7_: ; @_ZN2at6native12_GLOBAL__N_124RowwiseMomentsCUDAKernelIffLb1EEEvlT0_PKT_PS3_S7_
; %bb.0:
	s_load_dwordx2 s[0:1], s[4:5], 0x0
	s_mov_b32 s7, 0
	v_mov_b32_e32 v1, 0
	s_mov_b32 s2, s7
	s_mov_b32 s3, s7
	s_waitcnt lgkmcnt(0)
	v_cmp_gt_i64_e32 vcc, s[0:1], v[0:1]
	v_pk_mov_b32 v[2:3], s[2:3], s[2:3] op_sel:[0,1]
	v_pk_mov_b32 v[4:5], 0, 0
	s_and_saveexec_b64 s[2:3], vcc
	s_cbranch_execz .LBB16_4
; %bb.1:
	s_load_dword s10, s[4:5], 0x34
	s_load_dwordx2 s[8:9], s[4:5], 0x10
	s_mul_i32 s11, s1, s6
	s_mul_hi_u32 s13, s0, s6
	s_add_i32 s11, s13, s11
	s_waitcnt lgkmcnt(0)
	s_and_b32 s12, s10, 0xffff
	s_mul_i32 s10, s0, s6
	s_lshl_b64 s[10:11], s[10:11], 2
	s_add_u32 s8, s8, s10
	v_lshlrev_b32_e32 v2, 2, v0
	s_addc_u32 s9, s9, s11
	v_mov_b32_e32 v3, s9
	v_add_co_u32_e32 v6, vcc, s8, v2
	v_addc_co_u32_e32 v7, vcc, 0, v3, vcc
	s_lshl_b32 s13, s12, 2
	s_mov_b64 s[8:9], 0
	v_mov_b32_e32 v2, 0
	v_mov_b32_e32 v10, s7
	;; [unrolled: 1-line block ×3, first 2 shown]
	v_pk_mov_b32 v[8:9], v[0:1], v[0:1] op_sel:[0,1]
	s_mov_b64 s[10:11], 0
	v_mov_b32_e32 v3, 0
.LBB16_2:                               ; =>This Inner Loop Header: Depth=1
	global_load_dword v12, v[6:7], off
	s_add_u32 s10, s10, 1
	s_addc_u32 s11, s11, 0
	s_flbit_i32_b32 s14, s11
	s_min_u32 s16, s14, 32
	s_lshl_b64 s[14:15], s[10:11], s16
	s_min_u32 s14, s14, 1
	s_or_b32 s14, s15, s14
	v_cvt_f32_u32_e32 v1, s14
	s_sub_i32 s16, 32, s16
	v_add_co_u32_e32 v8, vcc, s12, v8
	v_ldexp_f32 v1, v1, s16
	v_addc_co_u32_e32 v9, vcc, v9, v10, vcc
	v_add_co_u32_e32 v6, vcc, s13, v6
	v_addc_co_u32_e32 v7, vcc, v7, v11, vcc
	v_cmp_le_i64_e32 vcc, s[0:1], v[8:9]
	s_or_b64 s[8:9], vcc, s[8:9]
	v_pk_mov_b32 v[4:5], s[10:11], s[10:11] op_sel:[0,1]
	s_waitcnt vmcnt(0)
	v_sub_f32_e32 v13, v12, v3
	v_div_scale_f32 v14, s[14:15], v1, v1, v13
	v_rcp_f32_e32 v15, v14
	v_div_scale_f32 v16, vcc, v13, v1, v13
	v_fma_f32 v17, -v14, v15, 1.0
	v_fmac_f32_e32 v15, v17, v15
	v_mul_f32_e32 v17, v16, v15
	v_fma_f32 v18, -v14, v17, v16
	v_fmac_f32_e32 v17, v18, v15
	v_fma_f32 v14, -v14, v17, v16
	v_div_fmas_f32 v14, v14, v15, v17
	v_div_fixup_f32 v14, v14, v1, v13
	v_add_f32_e32 v3, v3, v14
	v_sub_f32_e32 v12, v12, v3
	v_fmac_f32_e32 v2, v13, v12
	s_andn2_b64 exec, exec, s[8:9]
	s_cbranch_execnz .LBB16_2
; %bb.3:
	s_or_b64 exec, exec, s[8:9]
.LBB16_4:
	s_or_b64 exec, exec, s[2:3]
	v_mbcnt_lo_u32_b32 v6, -1, 0
	v_mbcnt_hi_u32_b32 v14, -1, v6
	v_and_b32_e32 v15, 63, v14
	v_cmp_gt_u32_e32 vcc, 32, v15
	v_cndmask_b32_e64 v6, 0, 1, vcc
	v_lshlrev_b32_e32 v6, 5, v6
	v_add_lshl_u32 v10, v6, v14, 2
	ds_bpermute_b32 v7, v10, v3
	ds_bpermute_b32 v6, v10, v2
	;; [unrolled: 1-line block ×5, first 2 shown]
	v_cmp_neq_f32_e32 vcc, 0, v1
	s_and_saveexec_b64 s[0:1], vcc
	s_xor_b64 s[0:1], exec, s[0:1]
	s_cbranch_execz .LBB16_8
; %bb.5:
	s_waitcnt lgkmcnt(0)
	v_cmp_neq_f32_e32 vcc, 0, v11
	s_and_saveexec_b64 s[2:3], vcc
	s_cbranch_execz .LBB16_7
; %bb.6:
	v_add_f32_e32 v9, v1, v11
	v_div_scale_f32 v8, s[8:9], v9, v9, v11
	v_rcp_f32_e32 v12, v8
	v_pk_add_f32 v[4:5], v[6:7], v[2:3] neg_lo:[0,1] neg_hi:[0,1]
	v_pk_add_f32 v[6:7], v[2:3], v[6:7]
	v_mul_f32_e32 v2, v5, v5
	v_fma_f32 v4, -v8, v12, 1.0
	v_fmac_f32_e32 v12, v4, v12
	v_div_scale_f32 v4, vcc, v11, v9, v11
	v_mul_f32_e32 v13, v4, v12
	v_fma_f32 v16, -v8, v13, v4
	v_fmac_f32_e32 v13, v16, v12
	v_fma_f32 v4, -v8, v13, v4
	v_div_fmas_f32 v4, v4, v12, v13
	v_div_fixup_f32 v8, v4, v9, v11
	v_mul_f32_e32 v4, v1, v2
	v_mov_b32_e32 v7, v3
	v_pk_fma_f32 v[2:3], v[4:5], v[8:9], v[6:7] op_sel_hi:[1,0,1]
	v_pk_mov_b32 v[4:5], -1, -1
	v_mov_b32_e32 v1, v9
.LBB16_7:
	s_or_b64 exec, exec, s[2:3]
                                        ; implicit-def: $vgpr6_vgpr7
                                        ; implicit-def: $vgpr8
                                        ; implicit-def: $vgpr11
.LBB16_8:
	s_andn2_saveexec_b64 s[0:1], s[0:1]
	s_cbranch_execz .LBB16_10
; %bb.9:
	s_waitcnt lgkmcnt(0)
	v_mov_b32_e32 v1, v11
	v_pk_mov_b32 v[4:5], v[8:9], v[8:9] op_sel:[0,1]
	v_pk_mov_b32 v[2:3], v[6:7], v[6:7] op_sel:[0,1]
.LBB16_10:
	s_or_b64 exec, exec, s[0:1]
	v_cmp_gt_u32_e32 vcc, 48, v15
	s_waitcnt lgkmcnt(3)
	v_cndmask_b32_e64 v6, 0, 1, vcc
	v_lshlrev_b32_e32 v6, 4, v6
	s_waitcnt lgkmcnt(0)
	v_add_lshl_u32 v11, v6, v14, 2
	ds_bpermute_b32 v7, v11, v3
	ds_bpermute_b32 v6, v11, v2
	ds_bpermute_b32 v8, v11, v4
	ds_bpermute_b32 v9, v11, v5
	ds_bpermute_b32 v12, v11, v1
	v_cmp_neq_f32_e32 vcc, 0, v1
	s_and_saveexec_b64 s[0:1], vcc
	s_xor_b64 s[0:1], exec, s[0:1]
	s_cbranch_execz .LBB16_14
; %bb.11:
	s_waitcnt lgkmcnt(0)
	v_cmp_neq_f32_e32 vcc, 0, v12
	s_and_saveexec_b64 s[2:3], vcc
	s_cbranch_execz .LBB16_13
; %bb.12:
	v_add_f32_e32 v9, v1, v12
	v_div_scale_f32 v8, s[8:9], v9, v9, v12
	v_rcp_f32_e32 v13, v8
	v_pk_add_f32 v[4:5], v[6:7], v[2:3] neg_lo:[0,1] neg_hi:[0,1]
	v_pk_add_f32 v[6:7], v[2:3], v[6:7]
	v_mul_f32_e32 v2, v5, v5
	v_fma_f32 v4, -v8, v13, 1.0
	v_fmac_f32_e32 v13, v4, v13
	v_div_scale_f32 v4, vcc, v12, v9, v12
	v_mul_f32_e32 v16, v4, v13
	v_fma_f32 v17, -v8, v16, v4
	v_fmac_f32_e32 v16, v17, v13
	v_fma_f32 v4, -v8, v16, v4
	v_div_fmas_f32 v4, v4, v13, v16
	v_div_fixup_f32 v8, v4, v9, v12
	v_mul_f32_e32 v4, v1, v2
	v_mov_b32_e32 v7, v3
	v_pk_fma_f32 v[2:3], v[4:5], v[8:9], v[6:7] op_sel_hi:[1,0,1]
	v_pk_mov_b32 v[4:5], -1, -1
	v_mov_b32_e32 v1, v9
.LBB16_13:
	s_or_b64 exec, exec, s[2:3]
                                        ; implicit-def: $vgpr6_vgpr7
                                        ; implicit-def: $vgpr8
                                        ; implicit-def: $vgpr12
.LBB16_14:
	s_andn2_saveexec_b64 s[0:1], s[0:1]
	s_cbranch_execz .LBB16_16
; %bb.15:
	s_waitcnt lgkmcnt(0)
	v_mov_b32_e32 v1, v12
	v_pk_mov_b32 v[4:5], v[8:9], v[8:9] op_sel:[0,1]
	v_pk_mov_b32 v[2:3], v[6:7], v[6:7] op_sel:[0,1]
.LBB16_16:
	s_or_b64 exec, exec, s[0:1]
	v_cmp_gt_u32_e32 vcc, 56, v15
	s_waitcnt lgkmcnt(3)
	v_cndmask_b32_e64 v6, 0, 1, vcc
	v_lshlrev_b32_e32 v6, 3, v6
	s_waitcnt lgkmcnt(0)
	v_add_lshl_u32 v12, v6, v14, 2
	ds_bpermute_b32 v7, v12, v3
	ds_bpermute_b32 v6, v12, v2
	;; [unrolled: 1-line block ×5, first 2 shown]
	v_cmp_neq_f32_e32 vcc, 0, v1
	s_and_saveexec_b64 s[0:1], vcc
	s_xor_b64 s[0:1], exec, s[0:1]
	s_cbranch_execz .LBB16_20
; %bb.17:
	s_waitcnt lgkmcnt(0)
	v_cmp_neq_f32_e32 vcc, 0, v13
	s_and_saveexec_b64 s[2:3], vcc
	s_cbranch_execz .LBB16_19
; %bb.18:
	v_add_f32_e32 v9, v1, v13
	v_div_scale_f32 v8, s[8:9], v9, v9, v13
	v_rcp_f32_e32 v16, v8
	v_pk_add_f32 v[4:5], v[6:7], v[2:3] neg_lo:[0,1] neg_hi:[0,1]
	v_pk_add_f32 v[6:7], v[2:3], v[6:7]
	v_mul_f32_e32 v2, v5, v5
	v_fma_f32 v4, -v8, v16, 1.0
	v_fmac_f32_e32 v16, v4, v16
	v_div_scale_f32 v4, vcc, v13, v9, v13
	v_mul_f32_e32 v17, v4, v16
	v_fma_f32 v18, -v8, v17, v4
	v_fmac_f32_e32 v17, v18, v16
	v_fma_f32 v4, -v8, v17, v4
	v_div_fmas_f32 v4, v4, v16, v17
	v_div_fixup_f32 v8, v4, v9, v13
	v_mul_f32_e32 v4, v1, v2
	v_mov_b32_e32 v7, v3
	v_pk_fma_f32 v[2:3], v[4:5], v[8:9], v[6:7] op_sel_hi:[1,0,1]
	v_pk_mov_b32 v[4:5], -1, -1
	v_mov_b32_e32 v1, v9
.LBB16_19:
	s_or_b64 exec, exec, s[2:3]
                                        ; implicit-def: $vgpr6_vgpr7
                                        ; implicit-def: $vgpr8
                                        ; implicit-def: $vgpr13
.LBB16_20:
	s_andn2_saveexec_b64 s[0:1], s[0:1]
	s_cbranch_execz .LBB16_22
; %bb.21:
	s_waitcnt lgkmcnt(0)
	v_mov_b32_e32 v1, v13
	v_pk_mov_b32 v[4:5], v[8:9], v[8:9] op_sel:[0,1]
	v_pk_mov_b32 v[2:3], v[6:7], v[6:7] op_sel:[0,1]
.LBB16_22:
	s_or_b64 exec, exec, s[0:1]
	v_cmp_gt_u32_e32 vcc, 60, v15
	s_waitcnt lgkmcnt(3)
	v_cndmask_b32_e64 v6, 0, 1, vcc
	v_lshlrev_b32_e32 v6, 2, v6
	s_waitcnt lgkmcnt(0)
	v_add_lshl_u32 v13, v6, v14, 2
	ds_bpermute_b32 v7, v13, v3
	ds_bpermute_b32 v6, v13, v2
	;; [unrolled: 1-line block ×5, first 2 shown]
	v_cmp_neq_f32_e32 vcc, 0, v1
	s_and_saveexec_b64 s[0:1], vcc
	s_xor_b64 s[0:1], exec, s[0:1]
	s_cbranch_execz .LBB16_26
; %bb.23:
	s_waitcnt lgkmcnt(0)
	v_cmp_neq_f32_e32 vcc, 0, v16
	s_and_saveexec_b64 s[2:3], vcc
	s_cbranch_execz .LBB16_25
; %bb.24:
	v_add_f32_e32 v9, v1, v16
	v_div_scale_f32 v8, s[8:9], v9, v9, v16
	v_rcp_f32_e32 v17, v8
	v_pk_add_f32 v[4:5], v[6:7], v[2:3] neg_lo:[0,1] neg_hi:[0,1]
	v_pk_add_f32 v[6:7], v[2:3], v[6:7]
	v_mul_f32_e32 v2, v5, v5
	v_fma_f32 v4, -v8, v17, 1.0
	v_fmac_f32_e32 v17, v4, v17
	v_div_scale_f32 v4, vcc, v16, v9, v16
	v_mul_f32_e32 v18, v4, v17
	v_fma_f32 v19, -v8, v18, v4
	v_fmac_f32_e32 v18, v19, v17
	v_fma_f32 v4, -v8, v18, v4
	v_div_fmas_f32 v4, v4, v17, v18
	v_div_fixup_f32 v8, v4, v9, v16
	v_mul_f32_e32 v4, v1, v2
	v_mov_b32_e32 v7, v3
	v_pk_fma_f32 v[2:3], v[4:5], v[8:9], v[6:7] op_sel_hi:[1,0,1]
	v_pk_mov_b32 v[4:5], -1, -1
	v_mov_b32_e32 v1, v9
.LBB16_25:
	s_or_b64 exec, exec, s[2:3]
                                        ; implicit-def: $vgpr6_vgpr7
                                        ; implicit-def: $vgpr8
                                        ; implicit-def: $vgpr16
.LBB16_26:
	s_andn2_saveexec_b64 s[0:1], s[0:1]
	s_cbranch_execz .LBB16_28
; %bb.27:
	s_waitcnt lgkmcnt(0)
	v_mov_b32_e32 v1, v16
	v_pk_mov_b32 v[4:5], v[8:9], v[8:9] op_sel:[0,1]
	v_pk_mov_b32 v[2:3], v[6:7], v[6:7] op_sel:[0,1]
.LBB16_28:
	s_or_b64 exec, exec, s[0:1]
	v_cmp_gt_u32_e32 vcc, 62, v15
	s_waitcnt lgkmcnt(3)
	v_cndmask_b32_e64 v6, 0, 1, vcc
	v_lshlrev_b32_e32 v6, 1, v6
	s_waitcnt lgkmcnt(0)
	v_add_lshl_u32 v16, v6, v14, 2
	ds_bpermute_b32 v7, v16, v3
	ds_bpermute_b32 v6, v16, v2
	;; [unrolled: 1-line block ×5, first 2 shown]
	v_cmp_neq_f32_e32 vcc, 0, v1
	s_and_saveexec_b64 s[0:1], vcc
	s_xor_b64 s[0:1], exec, s[0:1]
	s_cbranch_execz .LBB16_32
; %bb.29:
	s_waitcnt lgkmcnt(0)
	v_cmp_neq_f32_e32 vcc, 0, v17
	s_and_saveexec_b64 s[2:3], vcc
	s_cbranch_execz .LBB16_31
; %bb.30:
	v_add_f32_e32 v9, v1, v17
	v_div_scale_f32 v8, s[8:9], v9, v9, v17
	v_rcp_f32_e32 v18, v8
	v_pk_add_f32 v[4:5], v[6:7], v[2:3] neg_lo:[0,1] neg_hi:[0,1]
	v_pk_add_f32 v[6:7], v[2:3], v[6:7]
	v_mul_f32_e32 v2, v5, v5
	v_fma_f32 v4, -v8, v18, 1.0
	v_fmac_f32_e32 v18, v4, v18
	v_div_scale_f32 v4, vcc, v17, v9, v17
	v_mul_f32_e32 v19, v4, v18
	v_fma_f32 v20, -v8, v19, v4
	v_fmac_f32_e32 v19, v20, v18
	v_fma_f32 v4, -v8, v19, v4
	v_div_fmas_f32 v4, v4, v18, v19
	v_div_fixup_f32 v8, v4, v9, v17
	v_mul_f32_e32 v4, v1, v2
	v_mov_b32_e32 v7, v3
	v_pk_fma_f32 v[2:3], v[4:5], v[8:9], v[6:7] op_sel_hi:[1,0,1]
	v_pk_mov_b32 v[4:5], -1, -1
	v_mov_b32_e32 v1, v9
.LBB16_31:
	s_or_b64 exec, exec, s[2:3]
                                        ; implicit-def: $vgpr6_vgpr7
                                        ; implicit-def: $vgpr8
                                        ; implicit-def: $vgpr17
.LBB16_32:
	s_andn2_saveexec_b64 s[0:1], s[0:1]
	s_cbranch_execz .LBB16_34
; %bb.33:
	s_waitcnt lgkmcnt(0)
	v_mov_b32_e32 v1, v17
	v_pk_mov_b32 v[4:5], v[8:9], v[8:9] op_sel:[0,1]
	v_pk_mov_b32 v[2:3], v[6:7], v[6:7] op_sel:[0,1]
.LBB16_34:
	s_or_b64 exec, exec, s[0:1]
	v_cmp_ne_u32_e32 vcc, 63, v15
	s_waitcnt lgkmcnt(3)
	v_addc_co_u32_e32 v6, vcc, 0, v14, vcc
	v_lshlrev_b32_e32 v14, 2, v6
	ds_bpermute_b32 v7, v14, v3
	ds_bpermute_b32 v6, v14, v2
	s_waitcnt lgkmcnt(4)
	ds_bpermute_b32 v8, v14, v4
	s_waitcnt lgkmcnt(4)
	ds_bpermute_b32 v9, v14, v5
	ds_bpermute_b32 v15, v14, v1
	v_cmp_neq_f32_e32 vcc, 0, v1
	s_and_saveexec_b64 s[0:1], vcc
	s_xor_b64 s[0:1], exec, s[0:1]
	s_cbranch_execz .LBB16_38
; %bb.35:
	s_waitcnt lgkmcnt(0)
	v_cmp_neq_f32_e32 vcc, 0, v15
	s_and_saveexec_b64 s[2:3], vcc
	s_cbranch_execz .LBB16_37
; %bb.36:
	v_add_f32_e32 v9, v1, v15
	v_div_scale_f32 v8, s[8:9], v9, v9, v15
	v_rcp_f32_e32 v17, v8
	v_pk_add_f32 v[4:5], v[6:7], v[2:3] neg_lo:[0,1] neg_hi:[0,1]
	v_pk_add_f32 v[6:7], v[2:3], v[6:7]
	v_mul_f32_e32 v2, v5, v5
	v_fma_f32 v4, -v8, v17, 1.0
	v_fmac_f32_e32 v17, v4, v17
	v_div_scale_f32 v4, vcc, v15, v9, v15
	v_mul_f32_e32 v18, v4, v17
	v_fma_f32 v19, -v8, v18, v4
	v_fmac_f32_e32 v18, v19, v17
	v_fma_f32 v4, -v8, v18, v4
	v_div_fmas_f32 v4, v4, v17, v18
	v_div_fixup_f32 v8, v4, v9, v15
	v_mul_f32_e32 v4, v1, v2
	v_mov_b32_e32 v7, v3
	v_pk_fma_f32 v[2:3], v[4:5], v[8:9], v[6:7] op_sel_hi:[1,0,1]
	v_pk_mov_b32 v[4:5], -1, -1
	v_mov_b32_e32 v1, v9
.LBB16_37:
	s_or_b64 exec, exec, s[2:3]
                                        ; implicit-def: $vgpr6_vgpr7
                                        ; implicit-def: $vgpr8
                                        ; implicit-def: $vgpr15
.LBB16_38:
	s_andn2_saveexec_b64 s[0:1], s[0:1]
	s_cbranch_execz .LBB16_40
; %bb.39:
	s_waitcnt lgkmcnt(0)
	v_mov_b32_e32 v1, v15
	v_pk_mov_b32 v[4:5], v[8:9], v[8:9] op_sel:[0,1]
	v_pk_mov_b32 v[2:3], v[6:7], v[6:7] op_sel:[0,1]
.LBB16_40:
	s_or_b64 exec, exec, s[0:1]
	s_waitcnt lgkmcnt(3)
	v_and_b32_e32 v6, 63, v0
	v_cmp_eq_u32_e32 vcc, 0, v6
	s_waitcnt lgkmcnt(0)
	s_barrier
	s_and_saveexec_b64 s[0:1], vcc
	s_cbranch_execz .LBB16_42
; %bb.41:
	v_lshrrev_b32_e32 v7, 6, v0
	v_mul_u32_u24_e32 v7, 24, v7
	v_mov_b32_e32 v8, v3
	v_mov_b32_e32 v9, v2
	ds_write2_b64 v7, v[8:9], v[4:5] offset1:1
	ds_write_b32 v7, v1 offset:16
.LBB16_42:
	s_or_b64 exec, exec, s[0:1]
	s_waitcnt lgkmcnt(0)
	s_barrier
	s_load_dword s0, s[4:5], 0x34
	v_mul_u32_u24_e32 v4, 24, v6
	v_mov_b32_e32 v2, 0
	v_mov_b32_e32 v1, 0
	s_waitcnt lgkmcnt(0)
	s_bfe_u32 s0, s0, 0xa0006
	v_cmp_gt_u32_e32 vcc, s0, v0
	s_and_saveexec_b64 s[0:1], vcc
	s_cbranch_execnz .LBB16_48
; %bb.43:
	s_or_b64 exec, exec, s[0:1]
	s_and_saveexec_b64 s[0:1], vcc
	s_cbranch_execnz .LBB16_49
.LBB16_44:
	s_or_b64 exec, exec, s[0:1]
	v_mov_b32_e32 v3, 0
	s_and_saveexec_b64 s[0:1], vcc
	s_cbranch_execnz .LBB16_50
.LBB16_45:
	s_or_b64 exec, exec, s[0:1]
	v_cmp_gt_u32_e32 vcc, 64, v0
	s_and_saveexec_b64 s[0:1], vcc
	s_cbranch_execnz .LBB16_51
.LBB16_46:
	s_or_b64 exec, exec, s[0:1]
	v_cmp_eq_u32_e32 vcc, 0, v0
	s_and_saveexec_b64 s[0:1], vcc
	s_cbranch_execnz .LBB16_76
.LBB16_47:
	s_endpgm
.LBB16_48:
	ds_read_b32 v1, v4
	s_or_b64 exec, exec, s[0:1]
	s_and_saveexec_b64 s[0:1], vcc
	s_cbranch_execz .LBB16_44
.LBB16_49:
	ds_read_b32 v2, v4 offset:4
	s_or_b64 exec, exec, s[0:1]
	v_mov_b32_e32 v3, 0
	s_and_saveexec_b64 s[0:1], vcc
	s_cbranch_execz .LBB16_45
.LBB16_50:
	ds_read_b32 v3, v4 offset:16
	s_or_b64 exec, exec, s[0:1]
	v_cmp_gt_u32_e32 vcc, 64, v0
	s_and_saveexec_b64 s[0:1], vcc
	s_cbranch_execz .LBB16_46
.LBB16_51:
	s_waitcnt lgkmcnt(0)
	ds_bpermute_b32 v6, v10, v1
	ds_bpermute_b32 v4, v10, v2
	;; [unrolled: 1-line block ×3, first 2 shown]
	v_cmp_neq_f32_e32 vcc, 0, v3
	s_and_saveexec_b64 s[2:3], vcc
	s_cbranch_execz .LBB16_55
; %bb.52:
	s_waitcnt lgkmcnt(0)
	v_cmp_neq_f32_e32 vcc, 0, v5
	s_and_saveexec_b64 s[8:9], vcc
	s_cbranch_execz .LBB16_54
; %bb.53:
	v_sub_f32_e32 v6, v6, v1
	v_mul_f32_e32 v7, v6, v6
	v_mul_f32_e32 v7, v3, v7
	v_add_f32_e32 v3, v3, v5
	v_div_scale_f32 v8, s[10:11], v3, v3, v5
	v_rcp_f32_e32 v9, v8
	v_add_f32_e32 v2, v2, v4
	v_fma_f32 v4, -v8, v9, 1.0
	v_fmac_f32_e32 v9, v4, v9
	v_div_scale_f32 v4, vcc, v5, v3, v5
	v_mul_f32_e32 v10, v4, v9
	v_fma_f32 v15, -v8, v10, v4
	v_fmac_f32_e32 v10, v15, v9
	v_fma_f32 v4, -v8, v10, v4
	v_div_fmas_f32 v4, v4, v9, v10
	v_div_fixup_f32 v4, v4, v3, v5
	v_fmac_f32_e32 v1, v6, v4
	v_fmac_f32_e32 v2, v7, v4
.LBB16_54:
	s_or_b64 exec, exec, s[8:9]
	v_mov_b32_e32 v6, v1
	v_pk_mov_b32 v[4:5], v[2:3], v[2:3] op_sel:[0,1]
.LBB16_55:
	s_or_b64 exec, exec, s[2:3]
	s_waitcnt lgkmcnt(2)
	ds_bpermute_b32 v1, v11, v6
	s_waitcnt lgkmcnt(2)
	ds_bpermute_b32 v2, v11, v4
	s_waitcnt lgkmcnt(2)
	ds_bpermute_b32 v3, v11, v5
	v_cmp_neq_f32_e32 vcc, 0, v5
	s_and_saveexec_b64 s[2:3], vcc
	s_cbranch_execz .LBB16_59
; %bb.56:
	s_waitcnt lgkmcnt(0)
	v_cmp_neq_f32_e32 vcc, 0, v3
	s_and_saveexec_b64 s[8:9], vcc
	s_cbranch_execz .LBB16_58
; %bb.57:
	v_pk_add_f32 v[8:9], v[4:5], v[2:3]
	v_div_scale_f32 v2, s[10:11], v9, v9, v3
	v_rcp_f32_e32 v4, v2
	v_sub_f32_e32 v1, v1, v6
	v_mul_f32_e32 v7, v1, v1
	v_mul_f32_e32 v5, v5, v7
	v_fma_f32 v7, -v2, v4, 1.0
	v_fmac_f32_e32 v4, v7, v4
	v_div_scale_f32 v7, vcc, v3, v9, v3
	v_mul_f32_e32 v10, v7, v4
	v_fma_f32 v11, -v2, v10, v7
	v_fmac_f32_e32 v10, v11, v4
	v_fma_f32 v2, -v2, v10, v7
	v_div_fmas_f32 v2, v2, v4, v10
	v_div_fixup_f32 v2, v2, v9, v3
	v_fma_f32 v8, v5, v2, v8
	v_fmac_f32_e32 v6, v1, v2
	v_pk_mov_b32 v[4:5], v[8:9], v[8:9] op_sel:[0,1]
.LBB16_58:
	s_or_b64 exec, exec, s[8:9]
	v_mov_b32_e32 v1, v6
	v_pk_mov_b32 v[2:3], v[4:5], v[4:5] op_sel:[0,1]
.LBB16_59:
	s_or_b64 exec, exec, s[2:3]
	s_waitcnt lgkmcnt(2)
	ds_bpermute_b32 v6, v12, v1
	s_waitcnt lgkmcnt(2)
	ds_bpermute_b32 v4, v12, v2
	s_waitcnt lgkmcnt(2)
	ds_bpermute_b32 v5, v12, v3
	v_cmp_neq_f32_e32 vcc, 0, v3
	s_and_saveexec_b64 s[2:3], vcc
	s_cbranch_execz .LBB16_63
; %bb.60:
	s_waitcnt lgkmcnt(0)
	v_cmp_neq_f32_e32 vcc, 0, v5
	s_and_saveexec_b64 s[8:9], vcc
	s_cbranch_execz .LBB16_62
; %bb.61:
	v_pk_add_f32 v[8:9], v[2:3], v[4:5]
	v_div_scale_f32 v2, s[10:11], v9, v9, v5
	v_rcp_f32_e32 v4, v2
	v_sub_f32_e32 v6, v6, v1
	v_mul_f32_e32 v7, v6, v6
	v_mul_f32_e32 v3, v3, v7
	v_fma_f32 v7, -v2, v4, 1.0
	v_fmac_f32_e32 v4, v7, v4
	v_div_scale_f32 v7, vcc, v5, v9, v5
	v_mul_f32_e32 v10, v7, v4
	v_fma_f32 v11, -v2, v10, v7
	v_fmac_f32_e32 v10, v11, v4
	v_fma_f32 v2, -v2, v10, v7
	v_div_fmas_f32 v2, v2, v4, v10
	v_div_fixup_f32 v2, v2, v9, v5
	v_fma_f32 v8, v3, v2, v8
	v_fmac_f32_e32 v1, v6, v2
	v_pk_mov_b32 v[2:3], v[8:9], v[8:9] op_sel:[0,1]
.LBB16_62:
	s_or_b64 exec, exec, s[8:9]
	v_mov_b32_e32 v6, v1
	v_pk_mov_b32 v[4:5], v[2:3], v[2:3] op_sel:[0,1]
.LBB16_63:
	;; [unrolled: 39-line block ×4, first 2 shown]
	s_or_b64 exec, exec, s[2:3]
	s_waitcnt lgkmcnt(2)
	ds_bpermute_b32 v1, v14, v6
	s_waitcnt lgkmcnt(2)
	ds_bpermute_b32 v2, v14, v4
	;; [unrolled: 2-line block ×3, first 2 shown]
	v_cmp_neq_f32_e32 vcc, 0, v5
	s_and_saveexec_b64 s[2:3], vcc
	s_cbranch_execz .LBB16_75
; %bb.72:
	s_waitcnt lgkmcnt(0)
	v_cmp_neq_f32_e32 vcc, 0, v3
	s_and_saveexec_b64 s[8:9], vcc
	s_cbranch_execz .LBB16_74
; %bb.73:
	v_pk_add_f32 v[8:9], v[4:5], v[2:3]
	v_div_scale_f32 v2, s[10:11], v9, v9, v3
	v_rcp_f32_e32 v4, v2
	v_sub_f32_e32 v1, v1, v6
	v_mul_f32_e32 v7, v1, v1
	v_mul_f32_e32 v5, v5, v7
	v_fma_f32 v7, -v2, v4, 1.0
	v_fmac_f32_e32 v4, v7, v4
	v_div_scale_f32 v7, vcc, v3, v9, v3
	v_mul_f32_e32 v10, v7, v4
	v_fma_f32 v11, -v2, v10, v7
	v_fmac_f32_e32 v10, v11, v4
	v_fma_f32 v2, -v2, v10, v7
	v_div_fmas_f32 v2, v2, v4, v10
	v_div_fixup_f32 v2, v2, v9, v3
	v_fma_f32 v8, v5, v2, v8
	v_fmac_f32_e32 v6, v1, v2
	v_pk_mov_b32 v[4:5], v[8:9], v[8:9] op_sel:[0,1]
.LBB16_74:
	s_or_b64 exec, exec, s[8:9]
	v_pk_mov_b32 v[2:3], v[4:5], v[4:5] op_sel:[0,1]
	v_mov_b32_e32 v1, v6
.LBB16_75:
	s_or_b64 exec, exec, s[2:3]
	s_or_b64 exec, exec, s[0:1]
	v_cmp_eq_u32_e32 vcc, 0, v0
	s_and_saveexec_b64 s[0:1], vcc
	s_cbranch_execz .LBB16_47
.LBB16_76:
	s_waitcnt lgkmcnt(0)
	v_max_f32_e32 v0, v3, v3
	v_max_f32_e32 v0, 0, v0
	v_div_scale_f32 v3, s[0:1], v0, v0, v2
	v_rcp_f32_e32 v4, v3
	s_load_dword s2, s[4:5], 0x8
	s_load_dwordx2 s[0:1], s[4:5], 0x20
	v_fma_f32 v5, -v3, v4, 1.0
	v_fmac_f32_e32 v4, v5, v4
	v_div_scale_f32 v5, vcc, v2, v0, v2
	v_mul_f32_e32 v6, v5, v4
	v_fma_f32 v7, -v3, v6, v5
	v_fmac_f32_e32 v6, v7, v4
	v_fma_f32 v3, -v3, v6, v5
	v_div_fmas_f32 v3, v3, v4, v6
	v_div_fixup_f32 v0, v3, v0, v2
	v_fmac_f32_e32 v0, v1, v1
	s_waitcnt lgkmcnt(0)
	v_add_f32_e32 v0, s2, v0
	s_mov_b32 s2, 0x800000
	v_mul_f32_e32 v1, 0x4b800000, v0
	v_cmp_gt_f32_e32 vcc, s2, v0
	v_cndmask_b32_e32 v0, v0, v1, vcc
	v_rsq_f32_e32 v0, v0
	s_lshl_b64 s[2:3], s[6:7], 2
	s_add_u32 s0, s0, s2
	s_addc_u32 s1, s1, s3
	v_mul_f32_e32 v1, 0x45800000, v0
	v_cndmask_b32_e32 v0, v0, v1, vcc
	v_mov_b32_e32 v1, 0
	global_store_dword v1, v0, s[0:1]
	s_endpgm
	.section	.rodata,"a",@progbits
	.p2align	6, 0x0
	.amdhsa_kernel _ZN2at6native12_GLOBAL__N_124RowwiseMomentsCUDAKernelIffLb1EEEvlT0_PKT_PS3_S7_
		.amdhsa_group_segment_fixed_size 1536
		.amdhsa_private_segment_fixed_size 0
		.amdhsa_kernarg_size 296
		.amdhsa_user_sgpr_count 6
		.amdhsa_user_sgpr_private_segment_buffer 1
		.amdhsa_user_sgpr_dispatch_ptr 0
		.amdhsa_user_sgpr_queue_ptr 0
		.amdhsa_user_sgpr_kernarg_segment_ptr 1
		.amdhsa_user_sgpr_dispatch_id 0
		.amdhsa_user_sgpr_flat_scratch_init 0
		.amdhsa_user_sgpr_kernarg_preload_length 0
		.amdhsa_user_sgpr_kernarg_preload_offset 0
		.amdhsa_user_sgpr_private_segment_size 0
		.amdhsa_uses_dynamic_stack 0
		.amdhsa_system_sgpr_private_segment_wavefront_offset 0
		.amdhsa_system_sgpr_workgroup_id_x 1
		.amdhsa_system_sgpr_workgroup_id_y 0
		.amdhsa_system_sgpr_workgroup_id_z 0
		.amdhsa_system_sgpr_workgroup_info 0
		.amdhsa_system_vgpr_workitem_id 0
		.amdhsa_next_free_vgpr 21
		.amdhsa_next_free_sgpr 17
		.amdhsa_accum_offset 24
		.amdhsa_reserve_vcc 1
		.amdhsa_reserve_flat_scratch 0
		.amdhsa_float_round_mode_32 0
		.amdhsa_float_round_mode_16_64 0
		.amdhsa_float_denorm_mode_32 3
		.amdhsa_float_denorm_mode_16_64 3
		.amdhsa_dx10_clamp 1
		.amdhsa_ieee_mode 1
		.amdhsa_fp16_overflow 0
		.amdhsa_tg_split 0
		.amdhsa_exception_fp_ieee_invalid_op 0
		.amdhsa_exception_fp_denorm_src 0
		.amdhsa_exception_fp_ieee_div_zero 0
		.amdhsa_exception_fp_ieee_overflow 0
		.amdhsa_exception_fp_ieee_underflow 0
		.amdhsa_exception_fp_ieee_inexact 0
		.amdhsa_exception_int_div_zero 0
	.end_amdhsa_kernel
	.section	.text._ZN2at6native12_GLOBAL__N_124RowwiseMomentsCUDAKernelIffLb1EEEvlT0_PKT_PS3_S7_,"axG",@progbits,_ZN2at6native12_GLOBAL__N_124RowwiseMomentsCUDAKernelIffLb1EEEvlT0_PKT_PS3_S7_,comdat
.Lfunc_end16:
	.size	_ZN2at6native12_GLOBAL__N_124RowwiseMomentsCUDAKernelIffLb1EEEvlT0_PKT_PS3_S7_, .Lfunc_end16-_ZN2at6native12_GLOBAL__N_124RowwiseMomentsCUDAKernelIffLb1EEEvlT0_PKT_PS3_S7_
                                        ; -- End function
	.section	.AMDGPU.csdata,"",@progbits
; Kernel info:
; codeLenInByte = 3568
; NumSgprs: 21
; NumVgprs: 21
; NumAgprs: 0
; TotalNumVgprs: 21
; ScratchSize: 0
; MemoryBound: 0
; FloatMode: 240
; IeeeMode: 1
; LDSByteSize: 1536 bytes/workgroup (compile time only)
; SGPRBlocks: 2
; VGPRBlocks: 2
; NumSGPRsForWavesPerEU: 21
; NumVGPRsForWavesPerEU: 21
; AccumOffset: 24
; Occupancy: 8
; WaveLimiterHint : 0
; COMPUTE_PGM_RSRC2:SCRATCH_EN: 0
; COMPUTE_PGM_RSRC2:USER_SGPR: 6
; COMPUTE_PGM_RSRC2:TRAP_HANDLER: 0
; COMPUTE_PGM_RSRC2:TGID_X_EN: 1
; COMPUTE_PGM_RSRC2:TGID_Y_EN: 0
; COMPUTE_PGM_RSRC2:TGID_Z_EN: 0
; COMPUTE_PGM_RSRC2:TIDIG_COMP_CNT: 0
; COMPUTE_PGM_RSRC3_GFX90A:ACCUM_OFFSET: 5
; COMPUTE_PGM_RSRC3_GFX90A:TG_SPLIT: 0
	.section	.text._ZN2at6native12_GLOBAL__N_126LayerNormForwardCUDAKernelIffLb1EEEvlPKT_PKT0_S8_S5_S5_PS3_,"axG",@progbits,_ZN2at6native12_GLOBAL__N_126LayerNormForwardCUDAKernelIffLb1EEEvlPKT_PKT0_S8_S5_S5_PS3_,comdat
	.globl	_ZN2at6native12_GLOBAL__N_126LayerNormForwardCUDAKernelIffLb1EEEvlPKT_PKT0_S8_S5_S5_PS3_ ; -- Begin function _ZN2at6native12_GLOBAL__N_126LayerNormForwardCUDAKernelIffLb1EEEvlPKT_PKT0_S8_S5_S5_PS3_
	.p2align	8
	.type	_ZN2at6native12_GLOBAL__N_126LayerNormForwardCUDAKernelIffLb1EEEvlPKT_PKT0_S8_S5_S5_PS3_,@function
_ZN2at6native12_GLOBAL__N_126LayerNormForwardCUDAKernelIffLb1EEEvlPKT_PKT0_S8_S5_S5_PS3_: ; @_ZN2at6native12_GLOBAL__N_126LayerNormForwardCUDAKernelIffLb1EEEvlPKT_PKT0_S8_S5_S5_PS3_
; %bb.0:
	s_load_dwordx4 s[8:11], s[4:5], 0x0
	v_mov_b32_e32 v1, 0
	s_waitcnt lgkmcnt(0)
	v_cmp_gt_i64_e32 vcc, s[8:9], v[0:1]
	s_and_saveexec_b64 s[0:1], vcc
	s_cbranch_execz .LBB17_6
; %bb.1:
	s_load_dwordx4 s[0:3], s[4:5], 0x18
	s_load_dwordx2 s[16:17], s[4:5], 0x30
	s_mov_b32 s7, 0
	s_load_dword s14, s[4:5], 0x44
	s_mov_b64 s[12:13], 0
	s_waitcnt lgkmcnt(0)
	s_cmp_lg_u64 s[2:3], 0
	s_cselect_b64 s[18:19], -1, 0
	s_lshl_b64 s[4:5], s[6:7], 2
	s_add_u32 s4, s0, s4
	s_addc_u32 s5, s1, s5
	s_mul_i32 s0, s9, s6
	s_mul_hi_u32 s1, s8, s6
	s_add_i32 s1, s1, s0
	s_mul_i32 s0, s8, s6
	s_and_b32 s14, s14, 0xffff
	s_lshl_b64 s[0:1], s[0:1], 2
	s_add_u32 s6, s10, s0
	s_addc_u32 s20, s11, s1
	s_lshl_b32 s10, s14, 2
	s_add_u32 s11, s16, s0
	s_addc_u32 s16, s17, s1
	v_cndmask_b32_e64 v4, 0, 1, s[18:19]
	v_lshlrev_b32_e32 v2, 2, v0
	v_mov_b32_e32 v3, v1
	v_cmp_ne_u32_e64 s[0:1], 1, v4
	v_mov_b32_e32 v6, s20
	v_mov_b32_e32 v7, s16
	;; [unrolled: 1-line block ×4, first 2 shown]
	v_pk_mov_b32 v[4:5], v[0:1], v[0:1] op_sel:[0,1]
	s_branch .LBB17_4
.LBB17_2:                               ;   in Loop: Header=BB17_4 Depth=1
	v_mov_b32_e32 v0, s3
	v_add_co_u32_e32 v10, vcc, s2, v2
	v_addc_co_u32_e32 v11, vcc, v0, v3, vcc
	global_load_dword v0, v[10:11], off
.LBB17_3:                               ;   in Loop: Header=BB17_4 Depth=1
	v_add_co_u32_e32 v10, vcc, s6, v2
	v_addc_co_u32_e32 v11, vcc, v6, v3, vcc
	global_load_dword v12, v1, s[4:5]
	global_load_dword v13, v[10:11], off
	v_add_co_u32_e32 v10, vcc, s11, v2
	v_addc_co_u32_e32 v11, vcc, v7, v3, vcc
	v_add_co_u32_e32 v4, vcc, s14, v4
	v_addc_co_u32_e32 v5, vcc, v5, v8, vcc
	v_cmp_le_i64_e32 vcc, s[8:9], v[4:5]
	s_or_b64 s[12:13], vcc, s[12:13]
	v_add_co_u32_e32 v2, vcc, s10, v2
	v_addc_co_u32_e32 v3, vcc, v3, v9, vcc
	s_waitcnt vmcnt(0)
	v_mul_f32_e32 v12, v13, v12
	v_mul_f32_e32 v0, v0, v12
	global_store_dword v[10:11], v0, off
	s_andn2_b64 exec, exec, s[12:13]
	s_cbranch_execz .LBB17_6
.LBB17_4:                               ; =>This Inner Loop Header: Depth=1
	s_and_b64 vcc, exec, s[0:1]
	s_cbranch_vccz .LBB17_2
; %bb.5:                                ;   in Loop: Header=BB17_4 Depth=1
	v_mov_b32_e32 v0, 1.0
	s_branch .LBB17_3
.LBB17_6:
	s_endpgm
	.section	.rodata,"a",@progbits
	.p2align	6, 0x0
	.amdhsa_kernel _ZN2at6native12_GLOBAL__N_126LayerNormForwardCUDAKernelIffLb1EEEvlPKT_PKT0_S8_S5_S5_PS3_
		.amdhsa_group_segment_fixed_size 0
		.amdhsa_private_segment_fixed_size 0
		.amdhsa_kernarg_size 312
		.amdhsa_user_sgpr_count 6
		.amdhsa_user_sgpr_private_segment_buffer 1
		.amdhsa_user_sgpr_dispatch_ptr 0
		.amdhsa_user_sgpr_queue_ptr 0
		.amdhsa_user_sgpr_kernarg_segment_ptr 1
		.amdhsa_user_sgpr_dispatch_id 0
		.amdhsa_user_sgpr_flat_scratch_init 0
		.amdhsa_user_sgpr_kernarg_preload_length 0
		.amdhsa_user_sgpr_kernarg_preload_offset 0
		.amdhsa_user_sgpr_private_segment_size 0
		.amdhsa_uses_dynamic_stack 0
		.amdhsa_system_sgpr_private_segment_wavefront_offset 0
		.amdhsa_system_sgpr_workgroup_id_x 1
		.amdhsa_system_sgpr_workgroup_id_y 0
		.amdhsa_system_sgpr_workgroup_id_z 0
		.amdhsa_system_sgpr_workgroup_info 0
		.amdhsa_system_vgpr_workitem_id 0
		.amdhsa_next_free_vgpr 14
		.amdhsa_next_free_sgpr 21
		.amdhsa_accum_offset 16
		.amdhsa_reserve_vcc 1
		.amdhsa_reserve_flat_scratch 0
		.amdhsa_float_round_mode_32 0
		.amdhsa_float_round_mode_16_64 0
		.amdhsa_float_denorm_mode_32 3
		.amdhsa_float_denorm_mode_16_64 3
		.amdhsa_dx10_clamp 1
		.amdhsa_ieee_mode 1
		.amdhsa_fp16_overflow 0
		.amdhsa_tg_split 0
		.amdhsa_exception_fp_ieee_invalid_op 0
		.amdhsa_exception_fp_denorm_src 0
		.amdhsa_exception_fp_ieee_div_zero 0
		.amdhsa_exception_fp_ieee_overflow 0
		.amdhsa_exception_fp_ieee_underflow 0
		.amdhsa_exception_fp_ieee_inexact 0
		.amdhsa_exception_int_div_zero 0
	.end_amdhsa_kernel
	.section	.text._ZN2at6native12_GLOBAL__N_126LayerNormForwardCUDAKernelIffLb1EEEvlPKT_PKT0_S8_S5_S5_PS3_,"axG",@progbits,_ZN2at6native12_GLOBAL__N_126LayerNormForwardCUDAKernelIffLb1EEEvlPKT_PKT0_S8_S5_S5_PS3_,comdat
.Lfunc_end17:
	.size	_ZN2at6native12_GLOBAL__N_126LayerNormForwardCUDAKernelIffLb1EEEvlPKT_PKT0_S8_S5_S5_PS3_, .Lfunc_end17-_ZN2at6native12_GLOBAL__N_126LayerNormForwardCUDAKernelIffLb1EEEvlPKT_PKT0_S8_S5_S5_PS3_
                                        ; -- End function
	.section	.AMDGPU.csdata,"",@progbits
; Kernel info:
; codeLenInByte = 308
; NumSgprs: 25
; NumVgprs: 14
; NumAgprs: 0
; TotalNumVgprs: 14
; ScratchSize: 0
; MemoryBound: 0
; FloatMode: 240
; IeeeMode: 1
; LDSByteSize: 0 bytes/workgroup (compile time only)
; SGPRBlocks: 3
; VGPRBlocks: 1
; NumSGPRsForWavesPerEU: 25
; NumVGPRsForWavesPerEU: 14
; AccumOffset: 16
; Occupancy: 8
; WaveLimiterHint : 0
; COMPUTE_PGM_RSRC2:SCRATCH_EN: 0
; COMPUTE_PGM_RSRC2:USER_SGPR: 6
; COMPUTE_PGM_RSRC2:TRAP_HANDLER: 0
; COMPUTE_PGM_RSRC2:TGID_X_EN: 1
; COMPUTE_PGM_RSRC2:TGID_Y_EN: 0
; COMPUTE_PGM_RSRC2:TGID_Z_EN: 0
; COMPUTE_PGM_RSRC2:TIDIG_COMP_CNT: 0
; COMPUTE_PGM_RSRC3_GFX90A:ACCUM_OFFSET: 3
; COMPUTE_PGM_RSRC3_GFX90A:TG_SPLIT: 0
	.section	.text._ZN2at6native12_GLOBAL__N_128vectorized_layer_norm_kernelIN3c104HalfEfLb1EEEviT0_PKT_S8_S8_PS5_S9_PS6_,"axG",@progbits,_ZN2at6native12_GLOBAL__N_128vectorized_layer_norm_kernelIN3c104HalfEfLb1EEEviT0_PKT_S8_S8_PS5_S9_PS6_,comdat
	.globl	_ZN2at6native12_GLOBAL__N_128vectorized_layer_norm_kernelIN3c104HalfEfLb1EEEviT0_PKT_S8_S8_PS5_S9_PS6_ ; -- Begin function _ZN2at6native12_GLOBAL__N_128vectorized_layer_norm_kernelIN3c104HalfEfLb1EEEviT0_PKT_S8_S8_PS5_S9_PS6_
	.p2align	8
	.type	_ZN2at6native12_GLOBAL__N_128vectorized_layer_norm_kernelIN3c104HalfEfLb1EEEviT0_PKT_S8_S8_PS5_S9_PS6_,@function
_ZN2at6native12_GLOBAL__N_128vectorized_layer_norm_kernelIN3c104HalfEfLb1EEEviT0_PKT_S8_S8_PS5_S9_PS6_: ; @_ZN2at6native12_GLOBAL__N_128vectorized_layer_norm_kernelIN3c104HalfEfLb1EEEviT0_PKT_S8_S8_PS5_S9_PS6_
; %bb.0:
	s_load_dwordx4 s[12:15], s[4:5], 0x0
	s_load_dword s0, s[4:5], 0x44
	v_and_b32_e32 v1, 0x3ff, v0
	v_bfe_u32 v4, v0, 10, 10
	s_mov_b32 s7, 0
	s_waitcnt lgkmcnt(0)
	s_ashr_i32 s1, s12, 31
	s_lshr_b32 s16, s0, 16
	s_and_b32 s0, s0, 0xffff
	s_mul_i32 s20, s16, s0
	v_mul_u32_u24_e32 v0, s0, v4
	v_mad_u32_u24 v16, v4, s0, v1
	s_lshr_b32 s0, s1, 30
	s_add_i32 s0, s12, s0
	s_mul_hi_u32 s2, s12, s6
	s_mul_i32 s3, s1, s6
	s_ashr_i32 s24, s0, 2
	s_add_i32 s23, s2, s3
	s_mul_i32 s22, s12, s6
	v_cmp_gt_i32_e64 s[0:1], s24, v16
	v_mov_b32_e32 v5, 0
	v_add_lshl_u32 v0, v0, v1, 3
	s_and_saveexec_b64 s[2:3], s[0:1]
	s_cbranch_execz .LBB18_4
; %bb.1:
	s_lshl_b64 s[8:9], s[22:23], 1
	s_add_u32 s8, s14, s8
	s_addc_u32 s9, s15, s9
	v_mov_b32_e32 v2, s9
	v_add_co_u32_e32 v3, vcc, s8, v0
	v_addc_co_u32_e32 v6, vcc, 0, v2, vcc
	s_ashr_i32 s21, s20, 31
	v_add_co_u32_e32 v2, vcc, 4, v3
	s_lshl_b64 s[10:11], s[20:21], 3
	v_mov_b32_e32 v5, 0
	v_addc_co_u32_e32 v3, vcc, 0, v6, vcc
	s_mov_b64 s[8:9], 0
	v_mov_b32_e32 v6, s11
	v_mov_b32_e32 v7, v16
.LBB18_2:                               ; =>This Inner Loop Header: Depth=1
	global_load_dwordx2 v[8:9], v[2:3], off offset:-4
	v_add_co_u32_e32 v2, vcc, s10, v2
	v_add_u32_e32 v7, s20, v7
	v_addc_co_u32_e32 v3, vcc, v3, v6, vcc
	v_cmp_le_i32_e32 vcc, s24, v7
	s_or_b64 s[8:9], vcc, s[8:9]
	s_waitcnt vmcnt(0)
	v_fma_mix_f32 v5, v8, v8, v5 op_sel_hi:[1,1,0]
	v_fma_mix_f32 v5, v8, v8, v5 op_sel:[1,1,0] op_sel_hi:[1,1,0]
	v_fma_mix_f32 v5, v9, v9, v5 op_sel_hi:[1,1,0]
	v_fma_mix_f32 v5, v9, v9, v5 op_sel:[1,1,0] op_sel_hi:[1,1,0]
	s_andn2_b64 exec, exec, s[8:9]
	s_cbranch_execnz .LBB18_2
; %bb.3:
	s_or_b64 exec, exec, s[8:9]
.LBB18_4:
	s_or_b64 exec, exec, s[2:3]
	v_mbcnt_lo_u32_b32 v2, -1, 0
	v_mbcnt_hi_u32_b32 v3, -1, v2
	v_and_b32_e32 v2, 63, v3
	v_cmp_gt_u32_e32 vcc, 32, v2
	v_cndmask_b32_e64 v6, 0, 1, vcc
	v_lshlrev_b32_e32 v6, 5, v6
	v_add_lshl_u32 v6, v6, v3, 2
	ds_bpermute_b32 v6, v6, v5
	v_cmp_gt_u32_e32 vcc, 48, v2
	v_cndmask_b32_e64 v7, 0, 1, vcc
	v_lshlrev_b32_e32 v7, 4, v7
	v_cmp_gt_u32_e32 vcc, 56, v2
	s_waitcnt lgkmcnt(0)
	v_add_f32_e32 v5, v5, v6
	v_add_lshl_u32 v6, v7, v3, 2
	ds_bpermute_b32 v6, v6, v5
	v_cndmask_b32_e64 v7, 0, 1, vcc
	v_lshlrev_b32_e32 v7, 3, v7
	v_cmp_gt_u32_e32 vcc, 60, v2
	s_cmp_lt_u32 s16, 2
	s_waitcnt lgkmcnt(0)
	v_add_f32_e32 v5, v5, v6
	v_add_lshl_u32 v6, v7, v3, 2
	ds_bpermute_b32 v6, v6, v5
	v_cndmask_b32_e64 v7, 0, 1, vcc
	v_lshlrev_b32_e32 v7, 2, v7
	v_cmp_gt_u32_e32 vcc, 62, v2
	s_waitcnt lgkmcnt(0)
	v_add_f32_e32 v5, v5, v6
	v_add_lshl_u32 v6, v7, v3, 2
	ds_bpermute_b32 v6, v6, v5
	v_cndmask_b32_e64 v7, 0, 1, vcc
	v_lshlrev_b32_e32 v7, 1, v7
	v_cmp_ne_u32_e32 vcc, 63, v2
	v_addc_co_u32_e32 v2, vcc, 0, v3, vcc
	s_waitcnt lgkmcnt(0)
	v_add_f32_e32 v5, v5, v6
	v_add_lshl_u32 v6, v7, v3, 2
	ds_bpermute_b32 v6, v6, v5
	v_lshlrev_b32_e32 v2, 2, v2
	s_waitcnt lgkmcnt(0)
	v_add_f32_e32 v5, v5, v6
	ds_bpermute_b32 v2, v2, v5
	s_waitcnt lgkmcnt(0)
	v_add_f32_e32 v2, v5, v2
	s_cbranch_scc0 .LBB18_6
; %bb.5:
	v_lshlrev_b32_e32 v3, 2, v3
	v_and_b32_e32 v3, 0x100, v3
	ds_bpermute_b32 v5, v3, v2
	v_cvt_f32_i32_e32 v6, s12
	v_mov_b32_e32 v7, 0
	ds_bpermute_b32 v8, v3, v7
	s_waitcnt lgkmcnt(1)
	v_div_scale_f32 v9, s[2:3], v6, v6, v5
	v_rcp_f32_e32 v10, v9
	v_div_scale_f32 v3, vcc, v5, v6, v5
	v_fma_f32 v7, -v9, v10, 1.0
	v_fmac_f32_e32 v10, v7, v10
	v_mul_f32_e32 v7, v3, v10
	v_fma_f32 v11, -v9, v7, v3
	v_fmac_f32_e32 v7, v11, v10
	v_fma_f32 v3, -v9, v7, v3
	v_div_fmas_f32 v3, v3, v10, v7
	v_div_fixup_f32 v9, v3, v6, v5
	s_cbranch_execz .LBB18_7
	s_branch .LBB18_17
.LBB18_6:
                                        ; implicit-def: $vgpr8_vgpr9
.LBB18_7:
	s_lshl_b32 s2, s16, 2
	s_add_i32 s10, s2, 0
	v_cmp_eq_u32_e32 vcc, 0, v1
	v_mov_b32_e32 v3, 0
	v_lshl_add_u32 v5, v4, 3, 0
.LBB18_8:                               ; =>This Inner Loop Header: Depth=1
	s_lshr_b32 s11, s16, 1
	s_and_b32 s8, s16, 0xfffe
	v_cmp_le_u32_e64 s[2:3], s11, v4
	v_cmp_gt_u32_e64 s[8:9], s8, v4
	s_and_b64 s[2:3], s[2:3], s[8:9]
	s_and_b64 s[8:9], vcc, s[2:3]
	s_and_saveexec_b64 s[2:3], s[8:9]
	s_cbranch_execz .LBB18_10
; %bb.9:                                ;   in Loop: Header=BB18_8 Depth=1
	v_subrev_u32_e32 v6, s11, v4
	v_lshl_add_u32 v7, v6, 3, 0
	v_lshl_add_u32 v6, v6, 2, s10
	ds_write2_b32 v7, v3, v2 offset1:1
	ds_write_b32 v6, v3
.LBB18_10:                              ;   in Loop: Header=BB18_8 Depth=1
	s_or_b64 exec, exec, s[2:3]
	v_cmp_gt_u32_e64 s[2:3], s11, v4
	s_and_b64 s[8:9], vcc, s[2:3]
	s_waitcnt lgkmcnt(0)
	s_barrier
	s_and_saveexec_b64 s[2:3], s[8:9]
	s_cbranch_execz .LBB18_12
; %bb.11:                               ;   in Loop: Header=BB18_8 Depth=1
	ds_read_b32 v6, v5 offset:4
	s_waitcnt lgkmcnt(0)
	v_add_f32_e32 v2, v2, v6
.LBB18_12:                              ;   in Loop: Header=BB18_8 Depth=1
	s_or_b64 exec, exec, s[2:3]
	s_cmp_lt_u32 s16, 4
	s_barrier
	s_cbranch_scc1 .LBB18_14
; %bb.13:                               ;   in Loop: Header=BB18_8 Depth=1
	s_mov_b32 s16, s11
	s_branch .LBB18_8
.LBB18_14:
	v_or_b32_e32 v1, v1, v4
	v_cmp_eq_u32_e32 vcc, 0, v1
	s_and_saveexec_b64 s[2:3], vcc
	s_cbranch_execz .LBB18_16
; %bb.15:
	v_cvt_f32_i32_e32 v1, s12
	v_div_scale_f32 v3, s[8:9], v1, v1, v2
	v_rcp_f32_e32 v4, v3
	v_div_scale_f32 v5, vcc, v2, v1, v2
	v_fma_f32 v6, -v3, v4, 1.0
	v_fmac_f32_e32 v4, v6, v4
	v_mul_f32_e32 v6, v5, v4
	v_fma_f32 v7, -v3, v6, v5
	v_fmac_f32_e32 v6, v7, v4
	v_fma_f32 v3, -v3, v6, v5
	v_div_fmas_f32 v3, v3, v4, v6
	v_div_fixup_f32 v1, v3, v1, v2
	v_mov_b32_e32 v2, 0
	ds_write2_b32 v2, v2, v1 offset1:1
.LBB18_16:
	s_or_b64 exec, exec, s[2:3]
	v_mov_b32_e32 v1, 0
	s_waitcnt lgkmcnt(0)
	s_barrier
	ds_read2_b32 v[8:9], v1 offset1:1
.LBB18_17:
	s_waitcnt lgkmcnt(0)
	v_add_f32_e32 v1, s13, v9
	s_mov_b32 s2, 0x800000
	v_mul_f32_e32 v2, 0x4b800000, v1
	v_cmp_gt_f32_e32 vcc, s2, v1
	v_cndmask_b32_e32 v1, v1, v2, vcc
	v_rsq_f32_e32 v1, v1
	s_load_dwordx4 s[8:11], s[4:5], 0x28
	v_mul_f32_e32 v2, 0x45800000, v1
	v_cndmask_b32_e32 v10, v1, v2, vcc
	s_and_saveexec_b64 s[2:3], s[0:1]
	s_cbranch_execz .LBB18_32
; %bb.18:
	s_load_dwordx4 s[16:19], s[4:5], 0x10
	s_mov_b64 s[4:5], 0
	v_mov_b32_e32 v11, v10
	v_mov_b32_e32 v12, v10
	;; [unrolled: 1-line block ×3, first 2 shown]
	s_waitcnt lgkmcnt(0)
	s_cmp_eq_u64 s[16:17], 0
	s_cselect_b64 s[12:13], -1, 0
	s_cmp_eq_u64 s[18:19], 0
	s_cselect_b64 s[0:1], -1, 0
	s_lshl_b64 s[22:23], s[22:23], 1
	s_add_u32 s25, s10, s22
	s_addc_u32 s26, s11, s23
	s_add_u32 s27, s14, s22
	v_cndmask_b32_e64 v4, 0, 1, s[0:1]
	s_addc_u32 s22, s15, s23
	s_ashr_i32 s21, s20, 31
	s_or_b64 s[10:11], s[12:13], s[0:1]
	v_mov_b32_e32 v1, v8
	v_mov_b32_e32 v2, v8
	;; [unrolled: 1-line block ×4, first 2 shown]
	s_lshl_b64 s[14:15], s[20:21], 3
	v_mov_b32_e32 v17, s22
	v_cmp_ne_u32_e64 s[0:1], 1, v4
	v_mov_b32_e32 v18, v16
	s_branch .LBB18_20
.LBB18_19:                              ;   in Loop: Header=BB18_20 Depth=1
	v_cvt_f16_f32_e32 v7, v7
	v_cvt_f16_f32_e32 v6, v6
	s_waitcnt vmcnt(0)
	v_cvt_f16_f32_e32 v14, v5
	v_cvt_f16_f32_e32 v4, v4
	v_add_u32_e32 v18, s20, v18
	v_pack_b32_f16 v5, v6, v7
	v_mov_b32_e32 v7, s26
	v_add_co_u32_e32 v6, vcc, s25, v0
	v_addc_co_u32_e32 v7, vcc, v7, v9, vcc
	v_pack_b32_f16 v4, v4, v14
	v_cmp_le_i32_e32 vcc, s24, v18
	global_store_dwordx2 v[6:7], v[4:5], off
	v_mov_b32_e32 v4, s15
	s_or_b64 s[4:5], vcc, s[4:5]
	v_add_co_u32_e32 v0, vcc, s14, v0
	v_addc_co_u32_e32 v9, vcc, v9, v4, vcc
	s_andn2_b64 exec, exec, s[4:5]
	s_cbranch_execz .LBB18_32
.LBB18_20:                              ; =>This Inner Loop Header: Depth=1
	v_add_co_u32_e32 v4, vcc, s27, v0
	v_addc_co_u32_e32 v5, vcc, v17, v9, vcc
	global_load_dwordx2 v[14:15], v[4:5], off
	s_and_b64 vcc, exec, s[10:11]
	s_cbranch_vccz .LBB18_24
; %bb.21:                               ;   in Loop: Header=BB18_20 Depth=1
	s_and_b64 vcc, exec, s[12:13]
	s_cbranch_vccz .LBB18_25
; %bb.22:                               ;   in Loop: Header=BB18_20 Depth=1
	s_and_b64 vcc, exec, s[0:1]
	s_cbranch_vccnz .LBB18_26
; %bb.23:                               ;   in Loop: Header=BB18_20 Depth=1
	s_waitcnt vmcnt(0)
	v_cvt_f32_f16_sdwa v5, v14 dst_sel:DWORD dst_unused:UNUSED_PAD src0_sel:WORD_1
	v_cvt_f32_f16_sdwa v7, v15 dst_sel:DWORD dst_unused:UNUSED_PAD src0_sel:WORD_1
	v_cvt_f32_f16_e32 v6, v15
	v_cvt_f32_f16_e32 v4, v14
	v_pk_mul_f32 v[6:7], v[12:13], v[6:7]
	v_pk_mul_f32 v[4:5], v[10:11], v[4:5]
	s_cbranch_execz .LBB18_27
	s_branch .LBB18_28
.LBB18_24:                              ;   in Loop: Header=BB18_20 Depth=1
                                        ; implicit-def: $vgpr4_vgpr5_vgpr6_vgpr7
	s_branch .LBB18_31
.LBB18_25:                              ;   in Loop: Header=BB18_20 Depth=1
                                        ; implicit-def: $vgpr4_vgpr5_vgpr6_vgpr7
	s_branch .LBB18_29
.LBB18_26:                              ;   in Loop: Header=BB18_20 Depth=1
                                        ; implicit-def: $vgpr4_vgpr5_vgpr6_vgpr7
.LBB18_27:                              ;   in Loop: Header=BB18_20 Depth=1
	v_mov_b32_e32 v5, s19
	v_add_co_u32_e32 v4, vcc, s18, v0
	v_addc_co_u32_e32 v5, vcc, v5, v9, vcc
	global_load_dwordx2 v[4:5], v[4:5], off
	s_waitcnt vmcnt(1)
	v_cvt_f32_f16_e32 v6, v14
	v_cvt_f32_f16_sdwa v7, v14 dst_sel:DWORD dst_unused:UNUSED_PAD src0_sel:WORD_1
	v_cvt_f32_f16_sdwa v19, v15 dst_sel:DWORD dst_unused:UNUSED_PAD src0_sel:WORD_1
	v_cvt_f32_f16_e32 v24, v15
	v_sub_f32_e32 v20, v6, v8
	v_sub_f32_e32 v21, v7, v1
	s_waitcnt vmcnt(0)
	v_cvt_f32_f16_e32 v22, v4
	v_cvt_f32_f16_e32 v6, v5
	v_cvt_f32_f16_sdwa v7, v5 dst_sel:DWORD dst_unused:UNUSED_PAD src0_sel:WORD_1
	v_cvt_f32_f16_sdwa v23, v4 dst_sel:DWORD dst_unused:UNUSED_PAD src0_sel:WORD_1
	v_sub_f32_e32 v4, v24, v2
	v_sub_f32_e32 v5, v19, v3
	v_pk_fma_f32 v[6:7], v[12:13], v[4:5], v[6:7]
	v_pk_fma_f32 v[4:5], v[10:11], v[20:21], v[22:23]
.LBB18_28:                              ;   in Loop: Header=BB18_20 Depth=1
	s_cbranch_execnz .LBB18_30
.LBB18_29:                              ;   in Loop: Header=BB18_20 Depth=1
	v_mov_b32_e32 v5, s17
	v_add_co_u32_e32 v4, vcc, s16, v0
	v_addc_co_u32_e32 v5, vcc, v5, v9, vcc
	global_load_dwordx2 v[4:5], v[4:5], off
	s_waitcnt vmcnt(1)
	v_cvt_f32_f16_sdwa v7, v14 dst_sel:DWORD dst_unused:UNUSED_PAD src0_sel:WORD_1
	v_cvt_f32_f16_sdwa v21, v15 dst_sel:DWORD dst_unused:UNUSED_PAD src0_sel:WORD_1
	v_cvt_f32_f16_e32 v6, v14
	v_cvt_f32_f16_e32 v20, v15
	s_waitcnt vmcnt(0)
	v_cvt_f32_f16_e32 v22, v4
	v_cvt_f32_f16_e32 v24, v5
	v_cvt_f32_f16_sdwa v25, v5 dst_sel:DWORD dst_unused:UNUSED_PAD src0_sel:WORD_1
	v_cvt_f32_f16_sdwa v23, v4 dst_sel:DWORD dst_unused:UNUSED_PAD src0_sel:WORD_1
	v_pk_mul_f32 v[4:5], v[12:13], v[20:21]
	v_pk_mul_f32 v[20:21], v[10:11], v[6:7]
	;; [unrolled: 1-line block ×4, first 2 shown]
.LBB18_30:                              ;   in Loop: Header=BB18_20 Depth=1
	s_cbranch_execnz .LBB18_19
.LBB18_31:                              ;   in Loop: Header=BB18_20 Depth=1
	v_mov_b32_e32 v5, s17
	v_add_co_u32_e32 v4, vcc, s16, v0
	v_addc_co_u32_e32 v5, vcc, v5, v9, vcc
	global_load_dwordx2 v[4:5], v[4:5], off
	s_waitcnt vmcnt(1)
	v_cvt_f32_f16_sdwa v7, v14 dst_sel:DWORD dst_unused:UNUSED_PAD src0_sel:WORD_1
	v_cvt_f32_f16_sdwa v21, v15 dst_sel:DWORD dst_unused:UNUSED_PAD src0_sel:WORD_1
	v_cvt_f32_f16_e32 v6, v14
	v_cvt_f32_f16_e32 v20, v15
	s_waitcnt vmcnt(0)
	v_cvt_f32_f16_e32 v14, v4
	v_cvt_f32_f16_e32 v22, v5
	v_cvt_f32_f16_sdwa v23, v5 dst_sel:DWORD dst_unused:UNUSED_PAD src0_sel:WORD_1
	v_cvt_f32_f16_sdwa v15, v4 dst_sel:DWORD dst_unused:UNUSED_PAD src0_sel:WORD_1
	v_pk_mul_f32 v[4:5], v[12:13], v[20:21]
	v_pk_mul_f32 v[20:21], v[10:11], v[6:7]
	;; [unrolled: 1-line block ×4, first 2 shown]
	s_branch .LBB18_19
.LBB18_32:
	s_or_b64 exec, exec, s[2:3]
	v_cmp_eq_u32_e32 vcc, 0, v16
	s_and_saveexec_b64 s[0:1], vcc
	s_cbranch_execz .LBB18_34
; %bb.33:
	s_lshl_b64 s[0:1], s[6:7], 2
	s_waitcnt lgkmcnt(0)
	s_add_u32 s0, s8, s0
	s_addc_u32 s1, s9, s1
	v_mov_b32_e32 v0, 0
	global_store_dword v0, v10, s[0:1]
.LBB18_34:
	s_endpgm
	.section	.rodata,"a",@progbits
	.p2align	6, 0x0
	.amdhsa_kernel _ZN2at6native12_GLOBAL__N_128vectorized_layer_norm_kernelIN3c104HalfEfLb1EEEviT0_PKT_S8_S8_PS5_S9_PS6_
		.amdhsa_group_segment_fixed_size 0
		.amdhsa_private_segment_fixed_size 0
		.amdhsa_kernarg_size 312
		.amdhsa_user_sgpr_count 6
		.amdhsa_user_sgpr_private_segment_buffer 1
		.amdhsa_user_sgpr_dispatch_ptr 0
		.amdhsa_user_sgpr_queue_ptr 0
		.amdhsa_user_sgpr_kernarg_segment_ptr 1
		.amdhsa_user_sgpr_dispatch_id 0
		.amdhsa_user_sgpr_flat_scratch_init 0
		.amdhsa_user_sgpr_kernarg_preload_length 0
		.amdhsa_user_sgpr_kernarg_preload_offset 0
		.amdhsa_user_sgpr_private_segment_size 0
		.amdhsa_uses_dynamic_stack 0
		.amdhsa_system_sgpr_private_segment_wavefront_offset 0
		.amdhsa_system_sgpr_workgroup_id_x 1
		.amdhsa_system_sgpr_workgroup_id_y 0
		.amdhsa_system_sgpr_workgroup_id_z 0
		.amdhsa_system_sgpr_workgroup_info 0
		.amdhsa_system_vgpr_workitem_id 1
		.amdhsa_next_free_vgpr 26
		.amdhsa_next_free_sgpr 28
		.amdhsa_accum_offset 28
		.amdhsa_reserve_vcc 1
		.amdhsa_reserve_flat_scratch 0
		.amdhsa_float_round_mode_32 0
		.amdhsa_float_round_mode_16_64 0
		.amdhsa_float_denorm_mode_32 3
		.amdhsa_float_denorm_mode_16_64 3
		.amdhsa_dx10_clamp 1
		.amdhsa_ieee_mode 1
		.amdhsa_fp16_overflow 0
		.amdhsa_tg_split 0
		.amdhsa_exception_fp_ieee_invalid_op 0
		.amdhsa_exception_fp_denorm_src 0
		.amdhsa_exception_fp_ieee_div_zero 0
		.amdhsa_exception_fp_ieee_overflow 0
		.amdhsa_exception_fp_ieee_underflow 0
		.amdhsa_exception_fp_ieee_inexact 0
		.amdhsa_exception_int_div_zero 0
	.end_amdhsa_kernel
	.section	.text._ZN2at6native12_GLOBAL__N_128vectorized_layer_norm_kernelIN3c104HalfEfLb1EEEviT0_PKT_S8_S8_PS5_S9_PS6_,"axG",@progbits,_ZN2at6native12_GLOBAL__N_128vectorized_layer_norm_kernelIN3c104HalfEfLb1EEEviT0_PKT_S8_S8_PS5_S9_PS6_,comdat
.Lfunc_end18:
	.size	_ZN2at6native12_GLOBAL__N_128vectorized_layer_norm_kernelIN3c104HalfEfLb1EEEviT0_PKT_S8_S8_PS5_S9_PS6_, .Lfunc_end18-_ZN2at6native12_GLOBAL__N_128vectorized_layer_norm_kernelIN3c104HalfEfLb1EEEviT0_PKT_S8_S8_PS5_S9_PS6_
                                        ; -- End function
	.section	.AMDGPU.csdata,"",@progbits
; Kernel info:
; codeLenInByte = 1700
; NumSgprs: 32
; NumVgprs: 26
; NumAgprs: 0
; TotalNumVgprs: 26
; ScratchSize: 0
; MemoryBound: 0
; FloatMode: 240
; IeeeMode: 1
; LDSByteSize: 0 bytes/workgroup (compile time only)
; SGPRBlocks: 3
; VGPRBlocks: 3
; NumSGPRsForWavesPerEU: 32
; NumVGPRsForWavesPerEU: 26
; AccumOffset: 28
; Occupancy: 8
; WaveLimiterHint : 0
; COMPUTE_PGM_RSRC2:SCRATCH_EN: 0
; COMPUTE_PGM_RSRC2:USER_SGPR: 6
; COMPUTE_PGM_RSRC2:TRAP_HANDLER: 0
; COMPUTE_PGM_RSRC2:TGID_X_EN: 1
; COMPUTE_PGM_RSRC2:TGID_Y_EN: 0
; COMPUTE_PGM_RSRC2:TGID_Z_EN: 0
; COMPUTE_PGM_RSRC2:TIDIG_COMP_CNT: 1
; COMPUTE_PGM_RSRC3_GFX90A:ACCUM_OFFSET: 6
; COMPUTE_PGM_RSRC3_GFX90A:TG_SPLIT: 0
	.section	.text._ZN2at6native12_GLOBAL__N_124RowwiseMomentsCUDAKernelIN3c104HalfEfLb1EEEvlT0_PKT_PS5_S9_,"axG",@progbits,_ZN2at6native12_GLOBAL__N_124RowwiseMomentsCUDAKernelIN3c104HalfEfLb1EEEvlT0_PKT_PS5_S9_,comdat
	.globl	_ZN2at6native12_GLOBAL__N_124RowwiseMomentsCUDAKernelIN3c104HalfEfLb1EEEvlT0_PKT_PS5_S9_ ; -- Begin function _ZN2at6native12_GLOBAL__N_124RowwiseMomentsCUDAKernelIN3c104HalfEfLb1EEEvlT0_PKT_PS5_S9_
	.p2align	8
	.type	_ZN2at6native12_GLOBAL__N_124RowwiseMomentsCUDAKernelIN3c104HalfEfLb1EEEvlT0_PKT_PS5_S9_,@function
_ZN2at6native12_GLOBAL__N_124RowwiseMomentsCUDAKernelIN3c104HalfEfLb1EEEvlT0_PKT_PS5_S9_: ; @_ZN2at6native12_GLOBAL__N_124RowwiseMomentsCUDAKernelIN3c104HalfEfLb1EEEvlT0_PKT_PS5_S9_
; %bb.0:
	s_load_dwordx2 s[0:1], s[4:5], 0x0
	s_mov_b32 s7, 0
	v_mov_b32_e32 v1, 0
	s_mov_b32 s2, s7
	s_mov_b32 s3, s7
	s_waitcnt lgkmcnt(0)
	v_cmp_gt_i64_e32 vcc, s[0:1], v[0:1]
	v_pk_mov_b32 v[2:3], s[2:3], s[2:3] op_sel:[0,1]
	v_pk_mov_b32 v[4:5], 0, 0
	s_and_saveexec_b64 s[2:3], vcc
	s_cbranch_execz .LBB19_4
; %bb.1:
	s_load_dword s10, s[4:5], 0x34
	s_load_dwordx2 s[8:9], s[4:5], 0x10
	s_mul_i32 s11, s1, s6
	s_mul_hi_u32 s13, s0, s6
	s_add_i32 s11, s13, s11
	s_waitcnt lgkmcnt(0)
	s_and_b32 s12, s10, 0xffff
	s_mul_i32 s10, s0, s6
	s_lshl_b64 s[10:11], s[10:11], 1
	s_add_u32 s8, s8, s10
	v_lshlrev_b32_e32 v2, 1, v0
	s_addc_u32 s9, s9, s11
	v_mov_b32_e32 v3, s9
	v_add_co_u32_e32 v6, vcc, s8, v2
	v_addc_co_u32_e32 v7, vcc, 0, v3, vcc
	s_lshl_b32 s13, s12, 1
	s_mov_b64 s[8:9], 0
	v_mov_b32_e32 v2, 0
	v_mov_b32_e32 v10, s7
	;; [unrolled: 1-line block ×3, first 2 shown]
	v_pk_mov_b32 v[8:9], v[0:1], v[0:1] op_sel:[0,1]
	s_mov_b64 s[10:11], 0
	v_mov_b32_e32 v3, 0
.LBB19_2:                               ; =>This Inner Loop Header: Depth=1
	global_load_ushort v1, v[6:7], off
	s_add_u32 s10, s10, 1
	s_addc_u32 s11, s11, 0
	s_flbit_i32_b32 s14, s11
	s_min_u32 s16, s14, 32
	s_lshl_b64 s[14:15], s[10:11], s16
	s_min_u32 s14, s14, 1
	s_or_b32 s14, s15, s14
	v_cvt_f32_u32_e32 v12, s14
	s_sub_i32 s16, 32, s16
	v_add_co_u32_e32 v8, vcc, s12, v8
	v_addc_co_u32_e32 v9, vcc, v9, v10, vcc
	v_add_co_u32_e32 v6, vcc, s13, v6
	v_addc_co_u32_e32 v7, vcc, v7, v11, vcc
	v_cmp_le_i64_e32 vcc, s[0:1], v[8:9]
	s_or_b64 s[8:9], vcc, s[8:9]
	v_pk_mov_b32 v[4:5], s[10:11], s[10:11] op_sel:[0,1]
	s_waitcnt vmcnt(0)
	v_cvt_f32_f16_e32 v13, v1
	v_ldexp_f32 v1, v12, s16
	v_sub_f32_e32 v12, v13, v3
	v_div_scale_f32 v14, s[14:15], v1, v1, v12
	v_rcp_f32_e32 v15, v14
	v_div_scale_f32 v16, vcc, v12, v1, v12
	v_fma_f32 v17, -v14, v15, 1.0
	v_fmac_f32_e32 v15, v17, v15
	v_mul_f32_e32 v17, v16, v15
	v_fma_f32 v18, -v14, v17, v16
	v_fmac_f32_e32 v17, v18, v15
	v_fma_f32 v14, -v14, v17, v16
	v_div_fmas_f32 v14, v14, v15, v17
	v_div_fixup_f32 v14, v14, v1, v12
	v_add_f32_e32 v3, v3, v14
	v_sub_f32_e32 v13, v13, v3
	v_fmac_f32_e32 v2, v12, v13
	s_andn2_b64 exec, exec, s[8:9]
	s_cbranch_execnz .LBB19_2
; %bb.3:
	s_or_b64 exec, exec, s[8:9]
.LBB19_4:
	s_or_b64 exec, exec, s[2:3]
	v_mbcnt_lo_u32_b32 v6, -1, 0
	v_mbcnt_hi_u32_b32 v14, -1, v6
	v_and_b32_e32 v15, 63, v14
	v_cmp_gt_u32_e32 vcc, 32, v15
	v_cndmask_b32_e64 v6, 0, 1, vcc
	v_lshlrev_b32_e32 v6, 5, v6
	v_add_lshl_u32 v10, v6, v14, 2
	ds_bpermute_b32 v7, v10, v3
	ds_bpermute_b32 v6, v10, v2
	;; [unrolled: 1-line block ×5, first 2 shown]
	v_cmp_neq_f32_e32 vcc, 0, v1
	s_and_saveexec_b64 s[0:1], vcc
	s_xor_b64 s[0:1], exec, s[0:1]
	s_cbranch_execz .LBB19_8
; %bb.5:
	s_waitcnt lgkmcnt(0)
	v_cmp_neq_f32_e32 vcc, 0, v11
	s_and_saveexec_b64 s[2:3], vcc
	s_cbranch_execz .LBB19_7
; %bb.6:
	v_add_f32_e32 v9, v1, v11
	v_div_scale_f32 v8, s[8:9], v9, v9, v11
	v_rcp_f32_e32 v12, v8
	v_pk_add_f32 v[4:5], v[6:7], v[2:3] neg_lo:[0,1] neg_hi:[0,1]
	v_pk_add_f32 v[6:7], v[2:3], v[6:7]
	v_mul_f32_e32 v2, v5, v5
	v_fma_f32 v4, -v8, v12, 1.0
	v_fmac_f32_e32 v12, v4, v12
	v_div_scale_f32 v4, vcc, v11, v9, v11
	v_mul_f32_e32 v13, v4, v12
	v_fma_f32 v16, -v8, v13, v4
	v_fmac_f32_e32 v13, v16, v12
	v_fma_f32 v4, -v8, v13, v4
	v_div_fmas_f32 v4, v4, v12, v13
	v_div_fixup_f32 v8, v4, v9, v11
	v_mul_f32_e32 v4, v1, v2
	v_mov_b32_e32 v7, v3
	v_pk_fma_f32 v[2:3], v[4:5], v[8:9], v[6:7] op_sel_hi:[1,0,1]
	v_pk_mov_b32 v[4:5], -1, -1
	v_mov_b32_e32 v1, v9
.LBB19_7:
	s_or_b64 exec, exec, s[2:3]
                                        ; implicit-def: $vgpr6_vgpr7
                                        ; implicit-def: $vgpr8
                                        ; implicit-def: $vgpr11
.LBB19_8:
	s_andn2_saveexec_b64 s[0:1], s[0:1]
	s_cbranch_execz .LBB19_10
; %bb.9:
	s_waitcnt lgkmcnt(0)
	v_mov_b32_e32 v1, v11
	v_pk_mov_b32 v[4:5], v[8:9], v[8:9] op_sel:[0,1]
	v_pk_mov_b32 v[2:3], v[6:7], v[6:7] op_sel:[0,1]
.LBB19_10:
	s_or_b64 exec, exec, s[0:1]
	v_cmp_gt_u32_e32 vcc, 48, v15
	s_waitcnt lgkmcnt(3)
	v_cndmask_b32_e64 v6, 0, 1, vcc
	v_lshlrev_b32_e32 v6, 4, v6
	s_waitcnt lgkmcnt(0)
	v_add_lshl_u32 v11, v6, v14, 2
	ds_bpermute_b32 v7, v11, v3
	ds_bpermute_b32 v6, v11, v2
	;; [unrolled: 1-line block ×5, first 2 shown]
	v_cmp_neq_f32_e32 vcc, 0, v1
	s_and_saveexec_b64 s[0:1], vcc
	s_xor_b64 s[0:1], exec, s[0:1]
	s_cbranch_execz .LBB19_14
; %bb.11:
	s_waitcnt lgkmcnt(0)
	v_cmp_neq_f32_e32 vcc, 0, v12
	s_and_saveexec_b64 s[2:3], vcc
	s_cbranch_execz .LBB19_13
; %bb.12:
	v_add_f32_e32 v9, v1, v12
	v_div_scale_f32 v8, s[8:9], v9, v9, v12
	v_rcp_f32_e32 v13, v8
	v_pk_add_f32 v[4:5], v[6:7], v[2:3] neg_lo:[0,1] neg_hi:[0,1]
	v_pk_add_f32 v[6:7], v[2:3], v[6:7]
	v_mul_f32_e32 v2, v5, v5
	v_fma_f32 v4, -v8, v13, 1.0
	v_fmac_f32_e32 v13, v4, v13
	v_div_scale_f32 v4, vcc, v12, v9, v12
	v_mul_f32_e32 v16, v4, v13
	v_fma_f32 v17, -v8, v16, v4
	v_fmac_f32_e32 v16, v17, v13
	v_fma_f32 v4, -v8, v16, v4
	v_div_fmas_f32 v4, v4, v13, v16
	v_div_fixup_f32 v8, v4, v9, v12
	v_mul_f32_e32 v4, v1, v2
	v_mov_b32_e32 v7, v3
	v_pk_fma_f32 v[2:3], v[4:5], v[8:9], v[6:7] op_sel_hi:[1,0,1]
	v_pk_mov_b32 v[4:5], -1, -1
	v_mov_b32_e32 v1, v9
.LBB19_13:
	s_or_b64 exec, exec, s[2:3]
                                        ; implicit-def: $vgpr6_vgpr7
                                        ; implicit-def: $vgpr8
                                        ; implicit-def: $vgpr12
.LBB19_14:
	s_andn2_saveexec_b64 s[0:1], s[0:1]
	s_cbranch_execz .LBB19_16
; %bb.15:
	s_waitcnt lgkmcnt(0)
	v_mov_b32_e32 v1, v12
	v_pk_mov_b32 v[4:5], v[8:9], v[8:9] op_sel:[0,1]
	v_pk_mov_b32 v[2:3], v[6:7], v[6:7] op_sel:[0,1]
.LBB19_16:
	s_or_b64 exec, exec, s[0:1]
	v_cmp_gt_u32_e32 vcc, 56, v15
	s_waitcnt lgkmcnt(3)
	v_cndmask_b32_e64 v6, 0, 1, vcc
	v_lshlrev_b32_e32 v6, 3, v6
	s_waitcnt lgkmcnt(0)
	v_add_lshl_u32 v12, v6, v14, 2
	ds_bpermute_b32 v7, v12, v3
	ds_bpermute_b32 v6, v12, v2
	;; [unrolled: 1-line block ×5, first 2 shown]
	v_cmp_neq_f32_e32 vcc, 0, v1
	s_and_saveexec_b64 s[0:1], vcc
	s_xor_b64 s[0:1], exec, s[0:1]
	s_cbranch_execz .LBB19_20
; %bb.17:
	s_waitcnt lgkmcnt(0)
	v_cmp_neq_f32_e32 vcc, 0, v13
	s_and_saveexec_b64 s[2:3], vcc
	s_cbranch_execz .LBB19_19
; %bb.18:
	v_add_f32_e32 v9, v1, v13
	v_div_scale_f32 v8, s[8:9], v9, v9, v13
	v_rcp_f32_e32 v16, v8
	v_pk_add_f32 v[4:5], v[6:7], v[2:3] neg_lo:[0,1] neg_hi:[0,1]
	v_pk_add_f32 v[6:7], v[2:3], v[6:7]
	v_mul_f32_e32 v2, v5, v5
	v_fma_f32 v4, -v8, v16, 1.0
	v_fmac_f32_e32 v16, v4, v16
	v_div_scale_f32 v4, vcc, v13, v9, v13
	v_mul_f32_e32 v17, v4, v16
	v_fma_f32 v18, -v8, v17, v4
	v_fmac_f32_e32 v17, v18, v16
	v_fma_f32 v4, -v8, v17, v4
	v_div_fmas_f32 v4, v4, v16, v17
	v_div_fixup_f32 v8, v4, v9, v13
	v_mul_f32_e32 v4, v1, v2
	v_mov_b32_e32 v7, v3
	v_pk_fma_f32 v[2:3], v[4:5], v[8:9], v[6:7] op_sel_hi:[1,0,1]
	v_pk_mov_b32 v[4:5], -1, -1
	v_mov_b32_e32 v1, v9
.LBB19_19:
	s_or_b64 exec, exec, s[2:3]
                                        ; implicit-def: $vgpr6_vgpr7
                                        ; implicit-def: $vgpr8
                                        ; implicit-def: $vgpr13
.LBB19_20:
	s_andn2_saveexec_b64 s[0:1], s[0:1]
	s_cbranch_execz .LBB19_22
; %bb.21:
	s_waitcnt lgkmcnt(0)
	v_mov_b32_e32 v1, v13
	v_pk_mov_b32 v[4:5], v[8:9], v[8:9] op_sel:[0,1]
	v_pk_mov_b32 v[2:3], v[6:7], v[6:7] op_sel:[0,1]
.LBB19_22:
	s_or_b64 exec, exec, s[0:1]
	v_cmp_gt_u32_e32 vcc, 60, v15
	s_waitcnt lgkmcnt(3)
	v_cndmask_b32_e64 v6, 0, 1, vcc
	v_lshlrev_b32_e32 v6, 2, v6
	s_waitcnt lgkmcnt(0)
	v_add_lshl_u32 v13, v6, v14, 2
	ds_bpermute_b32 v7, v13, v3
	ds_bpermute_b32 v6, v13, v2
	;; [unrolled: 1-line block ×5, first 2 shown]
	v_cmp_neq_f32_e32 vcc, 0, v1
	s_and_saveexec_b64 s[0:1], vcc
	s_xor_b64 s[0:1], exec, s[0:1]
	s_cbranch_execz .LBB19_26
; %bb.23:
	s_waitcnt lgkmcnt(0)
	v_cmp_neq_f32_e32 vcc, 0, v16
	s_and_saveexec_b64 s[2:3], vcc
	s_cbranch_execz .LBB19_25
; %bb.24:
	v_add_f32_e32 v9, v1, v16
	v_div_scale_f32 v8, s[8:9], v9, v9, v16
	v_rcp_f32_e32 v17, v8
	v_pk_add_f32 v[4:5], v[6:7], v[2:3] neg_lo:[0,1] neg_hi:[0,1]
	v_pk_add_f32 v[6:7], v[2:3], v[6:7]
	v_mul_f32_e32 v2, v5, v5
	v_fma_f32 v4, -v8, v17, 1.0
	v_fmac_f32_e32 v17, v4, v17
	v_div_scale_f32 v4, vcc, v16, v9, v16
	v_mul_f32_e32 v18, v4, v17
	v_fma_f32 v19, -v8, v18, v4
	v_fmac_f32_e32 v18, v19, v17
	v_fma_f32 v4, -v8, v18, v4
	v_div_fmas_f32 v4, v4, v17, v18
	v_div_fixup_f32 v8, v4, v9, v16
	v_mul_f32_e32 v4, v1, v2
	v_mov_b32_e32 v7, v3
	v_pk_fma_f32 v[2:3], v[4:5], v[8:9], v[6:7] op_sel_hi:[1,0,1]
	v_pk_mov_b32 v[4:5], -1, -1
	v_mov_b32_e32 v1, v9
.LBB19_25:
	s_or_b64 exec, exec, s[2:3]
                                        ; implicit-def: $vgpr6_vgpr7
                                        ; implicit-def: $vgpr8
                                        ; implicit-def: $vgpr16
.LBB19_26:
	s_andn2_saveexec_b64 s[0:1], s[0:1]
	s_cbranch_execz .LBB19_28
; %bb.27:
	s_waitcnt lgkmcnt(0)
	v_mov_b32_e32 v1, v16
	v_pk_mov_b32 v[4:5], v[8:9], v[8:9] op_sel:[0,1]
	v_pk_mov_b32 v[2:3], v[6:7], v[6:7] op_sel:[0,1]
.LBB19_28:
	s_or_b64 exec, exec, s[0:1]
	v_cmp_gt_u32_e32 vcc, 62, v15
	s_waitcnt lgkmcnt(3)
	v_cndmask_b32_e64 v6, 0, 1, vcc
	v_lshlrev_b32_e32 v6, 1, v6
	s_waitcnt lgkmcnt(0)
	v_add_lshl_u32 v16, v6, v14, 2
	ds_bpermute_b32 v7, v16, v3
	ds_bpermute_b32 v6, v16, v2
	;; [unrolled: 1-line block ×5, first 2 shown]
	v_cmp_neq_f32_e32 vcc, 0, v1
	s_and_saveexec_b64 s[0:1], vcc
	s_xor_b64 s[0:1], exec, s[0:1]
	s_cbranch_execz .LBB19_32
; %bb.29:
	s_waitcnt lgkmcnt(0)
	v_cmp_neq_f32_e32 vcc, 0, v17
	s_and_saveexec_b64 s[2:3], vcc
	s_cbranch_execz .LBB19_31
; %bb.30:
	v_add_f32_e32 v9, v1, v17
	v_div_scale_f32 v8, s[8:9], v9, v9, v17
	v_rcp_f32_e32 v18, v8
	v_pk_add_f32 v[4:5], v[6:7], v[2:3] neg_lo:[0,1] neg_hi:[0,1]
	v_pk_add_f32 v[6:7], v[2:3], v[6:7]
	v_mul_f32_e32 v2, v5, v5
	v_fma_f32 v4, -v8, v18, 1.0
	v_fmac_f32_e32 v18, v4, v18
	v_div_scale_f32 v4, vcc, v17, v9, v17
	v_mul_f32_e32 v19, v4, v18
	v_fma_f32 v20, -v8, v19, v4
	v_fmac_f32_e32 v19, v20, v18
	v_fma_f32 v4, -v8, v19, v4
	v_div_fmas_f32 v4, v4, v18, v19
	v_div_fixup_f32 v8, v4, v9, v17
	v_mul_f32_e32 v4, v1, v2
	v_mov_b32_e32 v7, v3
	v_pk_fma_f32 v[2:3], v[4:5], v[8:9], v[6:7] op_sel_hi:[1,0,1]
	v_pk_mov_b32 v[4:5], -1, -1
	v_mov_b32_e32 v1, v9
.LBB19_31:
	s_or_b64 exec, exec, s[2:3]
                                        ; implicit-def: $vgpr6_vgpr7
                                        ; implicit-def: $vgpr8
                                        ; implicit-def: $vgpr17
.LBB19_32:
	s_andn2_saveexec_b64 s[0:1], s[0:1]
	s_cbranch_execz .LBB19_34
; %bb.33:
	s_waitcnt lgkmcnt(0)
	v_mov_b32_e32 v1, v17
	v_pk_mov_b32 v[4:5], v[8:9], v[8:9] op_sel:[0,1]
	v_pk_mov_b32 v[2:3], v[6:7], v[6:7] op_sel:[0,1]
.LBB19_34:
	s_or_b64 exec, exec, s[0:1]
	v_cmp_ne_u32_e32 vcc, 63, v15
	s_waitcnt lgkmcnt(3)
	v_addc_co_u32_e32 v6, vcc, 0, v14, vcc
	v_lshlrev_b32_e32 v14, 2, v6
	ds_bpermute_b32 v7, v14, v3
	ds_bpermute_b32 v6, v14, v2
	s_waitcnt lgkmcnt(4)
	ds_bpermute_b32 v8, v14, v4
	s_waitcnt lgkmcnt(4)
	ds_bpermute_b32 v9, v14, v5
	ds_bpermute_b32 v15, v14, v1
	v_cmp_neq_f32_e32 vcc, 0, v1
	s_and_saveexec_b64 s[0:1], vcc
	s_xor_b64 s[0:1], exec, s[0:1]
	s_cbranch_execz .LBB19_38
; %bb.35:
	s_waitcnt lgkmcnt(0)
	v_cmp_neq_f32_e32 vcc, 0, v15
	s_and_saveexec_b64 s[2:3], vcc
	s_cbranch_execz .LBB19_37
; %bb.36:
	v_add_f32_e32 v9, v1, v15
	v_div_scale_f32 v8, s[8:9], v9, v9, v15
	v_rcp_f32_e32 v17, v8
	v_pk_add_f32 v[4:5], v[6:7], v[2:3] neg_lo:[0,1] neg_hi:[0,1]
	v_pk_add_f32 v[6:7], v[2:3], v[6:7]
	v_mul_f32_e32 v2, v5, v5
	v_fma_f32 v4, -v8, v17, 1.0
	v_fmac_f32_e32 v17, v4, v17
	v_div_scale_f32 v4, vcc, v15, v9, v15
	v_mul_f32_e32 v18, v4, v17
	v_fma_f32 v19, -v8, v18, v4
	v_fmac_f32_e32 v18, v19, v17
	v_fma_f32 v4, -v8, v18, v4
	v_div_fmas_f32 v4, v4, v17, v18
	v_div_fixup_f32 v8, v4, v9, v15
	v_mul_f32_e32 v4, v1, v2
	v_mov_b32_e32 v7, v3
	v_pk_fma_f32 v[2:3], v[4:5], v[8:9], v[6:7] op_sel_hi:[1,0,1]
	v_pk_mov_b32 v[4:5], -1, -1
	v_mov_b32_e32 v1, v9
.LBB19_37:
	s_or_b64 exec, exec, s[2:3]
                                        ; implicit-def: $vgpr6_vgpr7
                                        ; implicit-def: $vgpr8
                                        ; implicit-def: $vgpr15
.LBB19_38:
	s_andn2_saveexec_b64 s[0:1], s[0:1]
	s_cbranch_execz .LBB19_40
; %bb.39:
	s_waitcnt lgkmcnt(0)
	v_mov_b32_e32 v1, v15
	v_pk_mov_b32 v[4:5], v[8:9], v[8:9] op_sel:[0,1]
	v_pk_mov_b32 v[2:3], v[6:7], v[6:7] op_sel:[0,1]
.LBB19_40:
	s_or_b64 exec, exec, s[0:1]
	s_waitcnt lgkmcnt(3)
	v_and_b32_e32 v6, 63, v0
	v_cmp_eq_u32_e32 vcc, 0, v6
	s_waitcnt lgkmcnt(0)
	s_barrier
	s_and_saveexec_b64 s[0:1], vcc
	s_cbranch_execz .LBB19_42
; %bb.41:
	v_lshrrev_b32_e32 v7, 6, v0
	v_mul_u32_u24_e32 v7, 24, v7
	v_mov_b32_e32 v8, v3
	v_mov_b32_e32 v9, v2
	ds_write2_b64 v7, v[8:9], v[4:5] offset1:1
	ds_write_b32 v7, v1 offset:16
.LBB19_42:
	s_or_b64 exec, exec, s[0:1]
	s_waitcnt lgkmcnt(0)
	s_barrier
	s_load_dword s0, s[4:5], 0x34
	v_mul_u32_u24_e32 v4, 24, v6
	v_mov_b32_e32 v2, 0
	v_mov_b32_e32 v1, 0
	s_waitcnt lgkmcnt(0)
	s_bfe_u32 s0, s0, 0xa0006
	v_cmp_gt_u32_e32 vcc, s0, v0
	s_and_saveexec_b64 s[0:1], vcc
	s_cbranch_execnz .LBB19_48
; %bb.43:
	s_or_b64 exec, exec, s[0:1]
	s_and_saveexec_b64 s[0:1], vcc
	s_cbranch_execnz .LBB19_49
.LBB19_44:
	s_or_b64 exec, exec, s[0:1]
	v_mov_b32_e32 v3, 0
	s_and_saveexec_b64 s[0:1], vcc
	s_cbranch_execnz .LBB19_50
.LBB19_45:
	s_or_b64 exec, exec, s[0:1]
	v_cmp_gt_u32_e32 vcc, 64, v0
	s_and_saveexec_b64 s[0:1], vcc
	s_cbranch_execnz .LBB19_51
.LBB19_46:
	s_or_b64 exec, exec, s[0:1]
	v_cmp_eq_u32_e32 vcc, 0, v0
	s_and_saveexec_b64 s[0:1], vcc
	s_cbranch_execnz .LBB19_76
.LBB19_47:
	s_endpgm
.LBB19_48:
	ds_read_b32 v1, v4
	s_or_b64 exec, exec, s[0:1]
	s_and_saveexec_b64 s[0:1], vcc
	s_cbranch_execz .LBB19_44
.LBB19_49:
	ds_read_b32 v2, v4 offset:4
	s_or_b64 exec, exec, s[0:1]
	v_mov_b32_e32 v3, 0
	s_and_saveexec_b64 s[0:1], vcc
	s_cbranch_execz .LBB19_45
.LBB19_50:
	ds_read_b32 v3, v4 offset:16
	s_or_b64 exec, exec, s[0:1]
	v_cmp_gt_u32_e32 vcc, 64, v0
	s_and_saveexec_b64 s[0:1], vcc
	s_cbranch_execz .LBB19_46
.LBB19_51:
	s_waitcnt lgkmcnt(0)
	ds_bpermute_b32 v6, v10, v1
	ds_bpermute_b32 v4, v10, v2
	;; [unrolled: 1-line block ×3, first 2 shown]
	v_cmp_neq_f32_e32 vcc, 0, v3
	s_and_saveexec_b64 s[2:3], vcc
	s_cbranch_execz .LBB19_55
; %bb.52:
	s_waitcnt lgkmcnt(0)
	v_cmp_neq_f32_e32 vcc, 0, v5
	s_and_saveexec_b64 s[8:9], vcc
	s_cbranch_execz .LBB19_54
; %bb.53:
	v_sub_f32_e32 v6, v6, v1
	v_mul_f32_e32 v7, v6, v6
	v_mul_f32_e32 v7, v3, v7
	v_add_f32_e32 v3, v3, v5
	v_div_scale_f32 v8, s[10:11], v3, v3, v5
	v_rcp_f32_e32 v9, v8
	v_add_f32_e32 v2, v2, v4
	v_fma_f32 v4, -v8, v9, 1.0
	v_fmac_f32_e32 v9, v4, v9
	v_div_scale_f32 v4, vcc, v5, v3, v5
	v_mul_f32_e32 v10, v4, v9
	v_fma_f32 v15, -v8, v10, v4
	v_fmac_f32_e32 v10, v15, v9
	v_fma_f32 v4, -v8, v10, v4
	v_div_fmas_f32 v4, v4, v9, v10
	v_div_fixup_f32 v4, v4, v3, v5
	v_fmac_f32_e32 v1, v6, v4
	v_fmac_f32_e32 v2, v7, v4
.LBB19_54:
	s_or_b64 exec, exec, s[8:9]
	v_mov_b32_e32 v6, v1
	v_pk_mov_b32 v[4:5], v[2:3], v[2:3] op_sel:[0,1]
.LBB19_55:
	s_or_b64 exec, exec, s[2:3]
	s_waitcnt lgkmcnt(2)
	ds_bpermute_b32 v1, v11, v6
	s_waitcnt lgkmcnt(2)
	ds_bpermute_b32 v2, v11, v4
	s_waitcnt lgkmcnt(2)
	ds_bpermute_b32 v3, v11, v5
	v_cmp_neq_f32_e32 vcc, 0, v5
	s_and_saveexec_b64 s[2:3], vcc
	s_cbranch_execz .LBB19_59
; %bb.56:
	s_waitcnt lgkmcnt(0)
	v_cmp_neq_f32_e32 vcc, 0, v3
	s_and_saveexec_b64 s[8:9], vcc
	s_cbranch_execz .LBB19_58
; %bb.57:
	v_pk_add_f32 v[8:9], v[4:5], v[2:3]
	v_div_scale_f32 v2, s[10:11], v9, v9, v3
	v_rcp_f32_e32 v4, v2
	v_sub_f32_e32 v1, v1, v6
	v_mul_f32_e32 v7, v1, v1
	v_mul_f32_e32 v5, v5, v7
	v_fma_f32 v7, -v2, v4, 1.0
	v_fmac_f32_e32 v4, v7, v4
	v_div_scale_f32 v7, vcc, v3, v9, v3
	v_mul_f32_e32 v10, v7, v4
	v_fma_f32 v11, -v2, v10, v7
	v_fmac_f32_e32 v10, v11, v4
	v_fma_f32 v2, -v2, v10, v7
	v_div_fmas_f32 v2, v2, v4, v10
	v_div_fixup_f32 v2, v2, v9, v3
	v_fma_f32 v8, v5, v2, v8
	v_fmac_f32_e32 v6, v1, v2
	v_pk_mov_b32 v[4:5], v[8:9], v[8:9] op_sel:[0,1]
.LBB19_58:
	s_or_b64 exec, exec, s[8:9]
	v_mov_b32_e32 v1, v6
	v_pk_mov_b32 v[2:3], v[4:5], v[4:5] op_sel:[0,1]
.LBB19_59:
	s_or_b64 exec, exec, s[2:3]
	s_waitcnt lgkmcnt(2)
	ds_bpermute_b32 v6, v12, v1
	s_waitcnt lgkmcnt(2)
	ds_bpermute_b32 v4, v12, v2
	s_waitcnt lgkmcnt(2)
	ds_bpermute_b32 v5, v12, v3
	v_cmp_neq_f32_e32 vcc, 0, v3
	s_and_saveexec_b64 s[2:3], vcc
	s_cbranch_execz .LBB19_63
; %bb.60:
	s_waitcnt lgkmcnt(0)
	v_cmp_neq_f32_e32 vcc, 0, v5
	s_and_saveexec_b64 s[8:9], vcc
	s_cbranch_execz .LBB19_62
; %bb.61:
	v_pk_add_f32 v[8:9], v[2:3], v[4:5]
	v_div_scale_f32 v2, s[10:11], v9, v9, v5
	v_rcp_f32_e32 v4, v2
	v_sub_f32_e32 v6, v6, v1
	v_mul_f32_e32 v7, v6, v6
	v_mul_f32_e32 v3, v3, v7
	v_fma_f32 v7, -v2, v4, 1.0
	v_fmac_f32_e32 v4, v7, v4
	v_div_scale_f32 v7, vcc, v5, v9, v5
	v_mul_f32_e32 v10, v7, v4
	v_fma_f32 v11, -v2, v10, v7
	v_fmac_f32_e32 v10, v11, v4
	v_fma_f32 v2, -v2, v10, v7
	v_div_fmas_f32 v2, v2, v4, v10
	v_div_fixup_f32 v2, v2, v9, v5
	v_fma_f32 v8, v3, v2, v8
	v_fmac_f32_e32 v1, v6, v2
	v_pk_mov_b32 v[2:3], v[8:9], v[8:9] op_sel:[0,1]
.LBB19_62:
	s_or_b64 exec, exec, s[8:9]
	v_mov_b32_e32 v6, v1
	v_pk_mov_b32 v[4:5], v[2:3], v[2:3] op_sel:[0,1]
.LBB19_63:
	;; [unrolled: 39-line block ×4, first 2 shown]
	s_or_b64 exec, exec, s[2:3]
	s_waitcnt lgkmcnt(2)
	ds_bpermute_b32 v1, v14, v6
	s_waitcnt lgkmcnt(2)
	ds_bpermute_b32 v2, v14, v4
	;; [unrolled: 2-line block ×3, first 2 shown]
	v_cmp_neq_f32_e32 vcc, 0, v5
	s_and_saveexec_b64 s[2:3], vcc
	s_cbranch_execz .LBB19_75
; %bb.72:
	s_waitcnt lgkmcnt(0)
	v_cmp_neq_f32_e32 vcc, 0, v3
	s_and_saveexec_b64 s[8:9], vcc
	s_cbranch_execz .LBB19_74
; %bb.73:
	v_pk_add_f32 v[8:9], v[4:5], v[2:3]
	v_div_scale_f32 v2, s[10:11], v9, v9, v3
	v_rcp_f32_e32 v4, v2
	v_sub_f32_e32 v1, v1, v6
	v_mul_f32_e32 v7, v1, v1
	v_mul_f32_e32 v5, v5, v7
	v_fma_f32 v7, -v2, v4, 1.0
	v_fmac_f32_e32 v4, v7, v4
	v_div_scale_f32 v7, vcc, v3, v9, v3
	v_mul_f32_e32 v10, v7, v4
	v_fma_f32 v11, -v2, v10, v7
	v_fmac_f32_e32 v10, v11, v4
	v_fma_f32 v2, -v2, v10, v7
	v_div_fmas_f32 v2, v2, v4, v10
	v_div_fixup_f32 v2, v2, v9, v3
	v_fma_f32 v8, v5, v2, v8
	v_fmac_f32_e32 v6, v1, v2
	v_pk_mov_b32 v[4:5], v[8:9], v[8:9] op_sel:[0,1]
.LBB19_74:
	s_or_b64 exec, exec, s[8:9]
	v_pk_mov_b32 v[2:3], v[4:5], v[4:5] op_sel:[0,1]
	v_mov_b32_e32 v1, v6
.LBB19_75:
	s_or_b64 exec, exec, s[2:3]
	s_or_b64 exec, exec, s[0:1]
	v_cmp_eq_u32_e32 vcc, 0, v0
	s_and_saveexec_b64 s[0:1], vcc
	s_cbranch_execz .LBB19_47
.LBB19_76:
	s_waitcnt lgkmcnt(0)
	v_max_f32_e32 v0, v3, v3
	v_max_f32_e32 v0, 0, v0
	v_div_scale_f32 v3, s[0:1], v0, v0, v2
	v_rcp_f32_e32 v4, v3
	s_load_dword s2, s[4:5], 0x8
	s_load_dwordx2 s[0:1], s[4:5], 0x20
	v_fma_f32 v5, -v3, v4, 1.0
	v_fmac_f32_e32 v4, v5, v4
	v_div_scale_f32 v5, vcc, v2, v0, v2
	v_mul_f32_e32 v6, v5, v4
	v_fma_f32 v7, -v3, v6, v5
	v_fmac_f32_e32 v6, v7, v4
	v_fma_f32 v3, -v3, v6, v5
	v_div_fmas_f32 v3, v3, v4, v6
	v_div_fixup_f32 v0, v3, v0, v2
	v_fmac_f32_e32 v0, v1, v1
	s_waitcnt lgkmcnt(0)
	v_add_f32_e32 v0, s2, v0
	s_mov_b32 s2, 0x800000
	v_mul_f32_e32 v1, 0x4b800000, v0
	v_cmp_gt_f32_e32 vcc, s2, v0
	v_cndmask_b32_e32 v0, v0, v1, vcc
	v_rsq_f32_e32 v0, v0
	s_lshl_b64 s[2:3], s[6:7], 2
	s_add_u32 s0, s0, s2
	s_addc_u32 s1, s1, s3
	v_mul_f32_e32 v1, 0x45800000, v0
	v_cndmask_b32_e32 v0, v0, v1, vcc
	v_mov_b32_e32 v1, 0
	global_store_dword v1, v0, s[0:1]
	s_endpgm
	.section	.rodata,"a",@progbits
	.p2align	6, 0x0
	.amdhsa_kernel _ZN2at6native12_GLOBAL__N_124RowwiseMomentsCUDAKernelIN3c104HalfEfLb1EEEvlT0_PKT_PS5_S9_
		.amdhsa_group_segment_fixed_size 1536
		.amdhsa_private_segment_fixed_size 0
		.amdhsa_kernarg_size 296
		.amdhsa_user_sgpr_count 6
		.amdhsa_user_sgpr_private_segment_buffer 1
		.amdhsa_user_sgpr_dispatch_ptr 0
		.amdhsa_user_sgpr_queue_ptr 0
		.amdhsa_user_sgpr_kernarg_segment_ptr 1
		.amdhsa_user_sgpr_dispatch_id 0
		.amdhsa_user_sgpr_flat_scratch_init 0
		.amdhsa_user_sgpr_kernarg_preload_length 0
		.amdhsa_user_sgpr_kernarg_preload_offset 0
		.amdhsa_user_sgpr_private_segment_size 0
		.amdhsa_uses_dynamic_stack 0
		.amdhsa_system_sgpr_private_segment_wavefront_offset 0
		.amdhsa_system_sgpr_workgroup_id_x 1
		.amdhsa_system_sgpr_workgroup_id_y 0
		.amdhsa_system_sgpr_workgroup_id_z 0
		.amdhsa_system_sgpr_workgroup_info 0
		.amdhsa_system_vgpr_workitem_id 0
		.amdhsa_next_free_vgpr 21
		.amdhsa_next_free_sgpr 17
		.amdhsa_accum_offset 24
		.amdhsa_reserve_vcc 1
		.amdhsa_reserve_flat_scratch 0
		.amdhsa_float_round_mode_32 0
		.amdhsa_float_round_mode_16_64 0
		.amdhsa_float_denorm_mode_32 3
		.amdhsa_float_denorm_mode_16_64 3
		.amdhsa_dx10_clamp 1
		.amdhsa_ieee_mode 1
		.amdhsa_fp16_overflow 0
		.amdhsa_tg_split 0
		.amdhsa_exception_fp_ieee_invalid_op 0
		.amdhsa_exception_fp_denorm_src 0
		.amdhsa_exception_fp_ieee_div_zero 0
		.amdhsa_exception_fp_ieee_overflow 0
		.amdhsa_exception_fp_ieee_underflow 0
		.amdhsa_exception_fp_ieee_inexact 0
		.amdhsa_exception_int_div_zero 0
	.end_amdhsa_kernel
	.section	.text._ZN2at6native12_GLOBAL__N_124RowwiseMomentsCUDAKernelIN3c104HalfEfLb1EEEvlT0_PKT_PS5_S9_,"axG",@progbits,_ZN2at6native12_GLOBAL__N_124RowwiseMomentsCUDAKernelIN3c104HalfEfLb1EEEvlT0_PKT_PS5_S9_,comdat
.Lfunc_end19:
	.size	_ZN2at6native12_GLOBAL__N_124RowwiseMomentsCUDAKernelIN3c104HalfEfLb1EEEvlT0_PKT_PS5_S9_, .Lfunc_end19-_ZN2at6native12_GLOBAL__N_124RowwiseMomentsCUDAKernelIN3c104HalfEfLb1EEEvlT0_PKT_PS5_S9_
                                        ; -- End function
	.section	.AMDGPU.csdata,"",@progbits
; Kernel info:
; codeLenInByte = 3572
; NumSgprs: 21
; NumVgprs: 21
; NumAgprs: 0
; TotalNumVgprs: 21
; ScratchSize: 0
; MemoryBound: 0
; FloatMode: 240
; IeeeMode: 1
; LDSByteSize: 1536 bytes/workgroup (compile time only)
; SGPRBlocks: 2
; VGPRBlocks: 2
; NumSGPRsForWavesPerEU: 21
; NumVGPRsForWavesPerEU: 21
; AccumOffset: 24
; Occupancy: 8
; WaveLimiterHint : 0
; COMPUTE_PGM_RSRC2:SCRATCH_EN: 0
; COMPUTE_PGM_RSRC2:USER_SGPR: 6
; COMPUTE_PGM_RSRC2:TRAP_HANDLER: 0
; COMPUTE_PGM_RSRC2:TGID_X_EN: 1
; COMPUTE_PGM_RSRC2:TGID_Y_EN: 0
; COMPUTE_PGM_RSRC2:TGID_Z_EN: 0
; COMPUTE_PGM_RSRC2:TIDIG_COMP_CNT: 0
; COMPUTE_PGM_RSRC3_GFX90A:ACCUM_OFFSET: 5
; COMPUTE_PGM_RSRC3_GFX90A:TG_SPLIT: 0
	.section	.text._ZN2at6native12_GLOBAL__N_126LayerNormForwardCUDAKernelIN3c104HalfEfLb1EEEvlPKT_PKT0_SA_S7_S7_PS5_,"axG",@progbits,_ZN2at6native12_GLOBAL__N_126LayerNormForwardCUDAKernelIN3c104HalfEfLb1EEEvlPKT_PKT0_SA_S7_S7_PS5_,comdat
	.globl	_ZN2at6native12_GLOBAL__N_126LayerNormForwardCUDAKernelIN3c104HalfEfLb1EEEvlPKT_PKT0_SA_S7_S7_PS5_ ; -- Begin function _ZN2at6native12_GLOBAL__N_126LayerNormForwardCUDAKernelIN3c104HalfEfLb1EEEvlPKT_PKT0_SA_S7_S7_PS5_
	.p2align	8
	.type	_ZN2at6native12_GLOBAL__N_126LayerNormForwardCUDAKernelIN3c104HalfEfLb1EEEvlPKT_PKT0_SA_S7_S7_PS5_,@function
_ZN2at6native12_GLOBAL__N_126LayerNormForwardCUDAKernelIN3c104HalfEfLb1EEEvlPKT_PKT0_SA_S7_S7_PS5_: ; @_ZN2at6native12_GLOBAL__N_126LayerNormForwardCUDAKernelIN3c104HalfEfLb1EEEvlPKT_PKT0_SA_S7_S7_PS5_
; %bb.0:
	s_load_dwordx4 s[8:11], s[4:5], 0x0
	v_mov_b32_e32 v1, 0
	s_waitcnt lgkmcnt(0)
	v_cmp_gt_i64_e32 vcc, s[8:9], v[0:1]
	s_and_saveexec_b64 s[0:1], vcc
	s_cbranch_execz .LBB20_6
; %bb.1:
	s_load_dwordx4 s[0:3], s[4:5], 0x18
	s_load_dwordx2 s[14:15], s[4:5], 0x30
	s_mov_b32 s7, 0
	s_load_dword s18, s[4:5], 0x44
	s_mov_b64 s[12:13], 0
	s_waitcnt lgkmcnt(0)
	s_cmp_lg_u64 s[2:3], 0
	s_cselect_b64 s[16:17], -1, 0
	s_lshl_b64 s[4:5], s[6:7], 2
	s_add_u32 s0, s0, s4
	s_addc_u32 s1, s1, s5
	s_load_dword s4, s[0:1], 0x0
	s_mul_i32 s0, s9, s6
	s_mul_hi_u32 s1, s8, s6
	s_add_i32 s1, s1, s0
	s_mul_i32 s0, s8, s6
	s_and_b32 s5, s18, 0xffff
	s_lshl_b64 s[0:1], s[0:1], 1
	s_add_u32 s6, s10, s0
	s_addc_u32 s19, s11, s1
	s_lshl_b32 s10, s5, 1
	s_add_u32 s11, s14, s0
	s_addc_u32 s14, s15, s1
	v_cndmask_b32_e64 v4, 0, 1, s[16:17]
	v_lshlrev_b32_e32 v2, 1, v0
	v_mov_b32_e32 v3, v1
	v_cmp_ne_u32_e64 s[0:1], 1, v4
	v_mov_b32_e32 v4, s19
	v_mov_b32_e32 v5, s14
	;; [unrolled: 1-line block ×4, first 2 shown]
	s_branch .LBB20_4
.LBB20_2:                               ;   in Loop: Header=BB20_4 Depth=1
	v_mov_b32_e32 v9, s3
	v_add_co_u32_e32 v8, vcc, s2, v2
	v_addc_co_u32_e32 v9, vcc, v9, v3, vcc
	global_load_ushort v8, v[8:9], off
	s_waitcnt vmcnt(0)
	v_cvt_f32_f16_e32 v8, v8
.LBB20_3:                               ;   in Loop: Header=BB20_4 Depth=1
	v_add_co_u32_e32 v10, vcc, s6, v2
	v_addc_co_u32_e32 v11, vcc, v4, v3, vcc
	global_load_ushort v9, v[10:11], off
	v_add_co_u32_e32 v10, vcc, s11, v2
	v_addc_co_u32_e32 v11, vcc, v5, v3, vcc
	v_add_co_u32_e32 v0, vcc, s5, v0
	v_addc_co_u32_e32 v1, vcc, v1, v6, vcc
	v_cmp_le_i64_e32 vcc, s[8:9], v[0:1]
	s_or_b64 s[12:13], vcc, s[12:13]
	v_add_co_u32_e32 v2, vcc, s10, v2
	v_addc_co_u32_e32 v3, vcc, v3, v7, vcc
	s_waitcnt vmcnt(0)
	v_cvt_f32_f16_e32 v9, v9
	s_waitcnt lgkmcnt(0)
	v_mul_f32_e32 v9, s4, v9
	v_fma_mixlo_f16 v8, v8, v9, 0
	global_store_short v[10:11], v8, off
	s_andn2_b64 exec, exec, s[12:13]
	s_cbranch_execz .LBB20_6
.LBB20_4:                               ; =>This Inner Loop Header: Depth=1
	s_and_b64 vcc, exec, s[0:1]
	s_cbranch_vccz .LBB20_2
; %bb.5:                                ;   in Loop: Header=BB20_4 Depth=1
	v_mov_b32_e32 v8, 1.0
	s_branch .LBB20_3
.LBB20_6:
	s_endpgm
	.section	.rodata,"a",@progbits
	.p2align	6, 0x0
	.amdhsa_kernel _ZN2at6native12_GLOBAL__N_126LayerNormForwardCUDAKernelIN3c104HalfEfLb1EEEvlPKT_PKT0_SA_S7_S7_PS5_
		.amdhsa_group_segment_fixed_size 0
		.amdhsa_private_segment_fixed_size 0
		.amdhsa_kernarg_size 312
		.amdhsa_user_sgpr_count 6
		.amdhsa_user_sgpr_private_segment_buffer 1
		.amdhsa_user_sgpr_dispatch_ptr 0
		.amdhsa_user_sgpr_queue_ptr 0
		.amdhsa_user_sgpr_kernarg_segment_ptr 1
		.amdhsa_user_sgpr_dispatch_id 0
		.amdhsa_user_sgpr_flat_scratch_init 0
		.amdhsa_user_sgpr_kernarg_preload_length 0
		.amdhsa_user_sgpr_kernarg_preload_offset 0
		.amdhsa_user_sgpr_private_segment_size 0
		.amdhsa_uses_dynamic_stack 0
		.amdhsa_system_sgpr_private_segment_wavefront_offset 0
		.amdhsa_system_sgpr_workgroup_id_x 1
		.amdhsa_system_sgpr_workgroup_id_y 0
		.amdhsa_system_sgpr_workgroup_id_z 0
		.amdhsa_system_sgpr_workgroup_info 0
		.amdhsa_system_vgpr_workitem_id 0
		.amdhsa_next_free_vgpr 12
		.amdhsa_next_free_sgpr 20
		.amdhsa_accum_offset 12
		.amdhsa_reserve_vcc 1
		.amdhsa_reserve_flat_scratch 0
		.amdhsa_float_round_mode_32 0
		.amdhsa_float_round_mode_16_64 0
		.amdhsa_float_denorm_mode_32 3
		.amdhsa_float_denorm_mode_16_64 3
		.amdhsa_dx10_clamp 1
		.amdhsa_ieee_mode 1
		.amdhsa_fp16_overflow 0
		.amdhsa_tg_split 0
		.amdhsa_exception_fp_ieee_invalid_op 0
		.amdhsa_exception_fp_denorm_src 0
		.amdhsa_exception_fp_ieee_div_zero 0
		.amdhsa_exception_fp_ieee_overflow 0
		.amdhsa_exception_fp_ieee_underflow 0
		.amdhsa_exception_fp_ieee_inexact 0
		.amdhsa_exception_int_div_zero 0
	.end_amdhsa_kernel
	.section	.text._ZN2at6native12_GLOBAL__N_126LayerNormForwardCUDAKernelIN3c104HalfEfLb1EEEvlPKT_PKT0_SA_S7_S7_PS5_,"axG",@progbits,_ZN2at6native12_GLOBAL__N_126LayerNormForwardCUDAKernelIN3c104HalfEfLb1EEEvlPKT_PKT0_SA_S7_S7_PS5_,comdat
.Lfunc_end20:
	.size	_ZN2at6native12_GLOBAL__N_126LayerNormForwardCUDAKernelIN3c104HalfEfLb1EEEvlPKT_PKT0_SA_S7_S7_PS5_, .Lfunc_end20-_ZN2at6native12_GLOBAL__N_126LayerNormForwardCUDAKernelIN3c104HalfEfLb1EEEvlPKT_PKT0_SA_S7_S7_PS5_
                                        ; -- End function
	.section	.AMDGPU.csdata,"",@progbits
; Kernel info:
; codeLenInByte = 320
; NumSgprs: 24
; NumVgprs: 12
; NumAgprs: 0
; TotalNumVgprs: 12
; ScratchSize: 0
; MemoryBound: 0
; FloatMode: 240
; IeeeMode: 1
; LDSByteSize: 0 bytes/workgroup (compile time only)
; SGPRBlocks: 2
; VGPRBlocks: 1
; NumSGPRsForWavesPerEU: 24
; NumVGPRsForWavesPerEU: 12
; AccumOffset: 12
; Occupancy: 8
; WaveLimiterHint : 0
; COMPUTE_PGM_RSRC2:SCRATCH_EN: 0
; COMPUTE_PGM_RSRC2:USER_SGPR: 6
; COMPUTE_PGM_RSRC2:TRAP_HANDLER: 0
; COMPUTE_PGM_RSRC2:TGID_X_EN: 1
; COMPUTE_PGM_RSRC2:TGID_Y_EN: 0
; COMPUTE_PGM_RSRC2:TGID_Z_EN: 0
; COMPUTE_PGM_RSRC2:TIDIG_COMP_CNT: 0
; COMPUTE_PGM_RSRC3_GFX90A:ACCUM_OFFSET: 2
; COMPUTE_PGM_RSRC3_GFX90A:TG_SPLIT: 0
	.section	.text._ZN2at6native12_GLOBAL__N_128vectorized_layer_norm_kernelIN3c108BFloat16EfLb1EEEviT0_PKT_S8_S8_PS5_S9_PS6_,"axG",@progbits,_ZN2at6native12_GLOBAL__N_128vectorized_layer_norm_kernelIN3c108BFloat16EfLb1EEEviT0_PKT_S8_S8_PS5_S9_PS6_,comdat
	.globl	_ZN2at6native12_GLOBAL__N_128vectorized_layer_norm_kernelIN3c108BFloat16EfLb1EEEviT0_PKT_S8_S8_PS5_S9_PS6_ ; -- Begin function _ZN2at6native12_GLOBAL__N_128vectorized_layer_norm_kernelIN3c108BFloat16EfLb1EEEviT0_PKT_S8_S8_PS5_S9_PS6_
	.p2align	8
	.type	_ZN2at6native12_GLOBAL__N_128vectorized_layer_norm_kernelIN3c108BFloat16EfLb1EEEviT0_PKT_S8_S8_PS5_S9_PS6_,@function
_ZN2at6native12_GLOBAL__N_128vectorized_layer_norm_kernelIN3c108BFloat16EfLb1EEEviT0_PKT_S8_S8_PS5_S9_PS6_: ; @_ZN2at6native12_GLOBAL__N_128vectorized_layer_norm_kernelIN3c108BFloat16EfLb1EEEviT0_PKT_S8_S8_PS5_S9_PS6_
; %bb.0:
	s_load_dwordx4 s[16:19], s[4:5], 0x0
	s_load_dword s0, s[4:5], 0x44
	v_and_b32_e32 v1, 0x3ff, v0
	v_bfe_u32 v4, v0, 10, 10
	s_mov_b32 s7, 0
	s_waitcnt lgkmcnt(0)
	s_ashr_i32 s1, s16, 31
	s_lshr_b32 s12, s0, 16
	s_and_b32 s0, s0, 0xffff
	s_mul_i32 s20, s12, s0
	v_mul_u32_u24_e32 v0, s0, v4
	v_mad_u32_u24 v14, v4, s0, v1
	s_lshr_b32 s0, s1, 30
	s_add_i32 s0, s16, s0
	s_mul_hi_u32 s2, s16, s6
	s_mul_i32 s3, s1, s6
	s_ashr_i32 s24, s0, 2
	s_add_i32 s23, s2, s3
	s_mul_i32 s22, s16, s6
	v_cmp_gt_i32_e64 s[0:1], s24, v14
	v_mov_b32_e32 v5, 0
	v_add_lshl_u32 v0, v0, v1, 3
	s_and_saveexec_b64 s[2:3], s[0:1]
	s_cbranch_execz .LBB21_4
; %bb.1:
	s_lshl_b64 s[8:9], s[22:23], 1
	s_add_u32 s8, s18, s8
	s_addc_u32 s9, s19, s9
	s_ashr_i32 s21, s20, 31
	v_mov_b32_e32 v3, s9
	v_add_co_u32_e32 v2, vcc, s8, v0
	s_lshl_b64 s[10:11], s[20:21], 3
	v_mov_b32_e32 v5, 0
	v_addc_co_u32_e32 v3, vcc, 0, v3, vcc
	s_mov_b64 s[8:9], 0
	v_mov_b32_e32 v6, s11
	v_mov_b32_e32 v7, v14
.LBB21_2:                               ; =>This Inner Loop Header: Depth=1
	global_load_dwordx2 v[8:9], v[2:3], off
	v_add_co_u32_e32 v2, vcc, s10, v2
	v_add_u32_e32 v7, s20, v7
	v_addc_co_u32_e32 v3, vcc, v3, v6, vcc
	v_cmp_le_i32_e32 vcc, s24, v7
	s_or_b64 s[8:9], vcc, s[8:9]
	s_waitcnt vmcnt(0)
	v_lshlrev_b32_e32 v11, 16, v8
	v_and_b32_e32 v10, 0xffff0000, v8
	v_alignbit_b32 v8, v9, v8, 16
	v_fmac_f32_e32 v5, v11, v11
	v_and_b32_e32 v8, 0xffff0000, v8
	v_fmac_f32_e32 v5, v10, v10
	v_and_b32_e32 v9, 0xffff0000, v9
	v_fmac_f32_e32 v5, v8, v8
	v_fmac_f32_e32 v5, v9, v9
	s_andn2_b64 exec, exec, s[8:9]
	s_cbranch_execnz .LBB21_2
; %bb.3:
	s_or_b64 exec, exec, s[8:9]
.LBB21_4:
	s_or_b64 exec, exec, s[2:3]
	v_mbcnt_lo_u32_b32 v2, -1, 0
	v_mbcnt_hi_u32_b32 v2, -1, v2
	v_and_b32_e32 v3, 63, v2
	v_cmp_gt_u32_e32 vcc, 32, v3
	v_cndmask_b32_e64 v6, 0, 1, vcc
	v_lshlrev_b32_e32 v6, 5, v6
	v_add_lshl_u32 v6, v6, v2, 2
	ds_bpermute_b32 v6, v6, v5
	v_cmp_gt_u32_e32 vcc, 48, v3
	v_cndmask_b32_e64 v7, 0, 1, vcc
	v_lshlrev_b32_e32 v7, 4, v7
	v_cmp_gt_u32_e32 vcc, 56, v3
	s_waitcnt lgkmcnt(0)
	v_add_f32_e32 v5, v5, v6
	v_add_lshl_u32 v6, v7, v2, 2
	ds_bpermute_b32 v6, v6, v5
	v_cndmask_b32_e64 v7, 0, 1, vcc
	v_lshlrev_b32_e32 v7, 3, v7
	v_cmp_gt_u32_e32 vcc, 60, v3
	s_cmp_lt_u32 s12, 2
	s_waitcnt lgkmcnt(0)
	v_add_f32_e32 v5, v5, v6
	v_add_lshl_u32 v6, v7, v2, 2
	ds_bpermute_b32 v6, v6, v5
	v_cndmask_b32_e64 v7, 0, 1, vcc
	v_lshlrev_b32_e32 v7, 2, v7
	v_cmp_gt_u32_e32 vcc, 62, v3
	s_waitcnt lgkmcnt(0)
	v_add_f32_e32 v5, v5, v6
	v_add_lshl_u32 v6, v7, v2, 2
	ds_bpermute_b32 v6, v6, v5
	v_cndmask_b32_e64 v7, 0, 1, vcc
	v_lshlrev_b32_e32 v7, 1, v7
	v_cmp_ne_u32_e32 vcc, 63, v3
	v_addc_co_u32_e32 v3, vcc, 0, v2, vcc
	s_waitcnt lgkmcnt(0)
	v_add_f32_e32 v5, v5, v6
	v_add_lshl_u32 v6, v7, v2, 2
	ds_bpermute_b32 v6, v6, v5
	v_lshlrev_b32_e32 v3, 2, v3
	s_waitcnt lgkmcnt(0)
	v_add_f32_e32 v5, v5, v6
	ds_bpermute_b32 v3, v3, v5
	s_waitcnt lgkmcnt(0)
	v_add_f32_e32 v5, v5, v3
	s_cbranch_scc0 .LBB21_6
; %bb.5:
	v_lshlrev_b32_e32 v2, 2, v2
	v_and_b32_e32 v2, 0x100, v2
	ds_bpermute_b32 v3, v2, v5
	v_cvt_f32_i32_e32 v6, s16
	v_mov_b32_e32 v7, 0
	ds_bpermute_b32 v2, v2, v7
	s_waitcnt lgkmcnt(1)
	v_div_scale_f32 v8, s[2:3], v6, v6, v3
	v_rcp_f32_e32 v9, v8
	v_div_scale_f32 v7, vcc, v3, v6, v3
	v_fma_f32 v10, -v8, v9, 1.0
	v_fmac_f32_e32 v9, v10, v9
	v_mul_f32_e32 v10, v7, v9
	v_fma_f32 v11, -v8, v10, v7
	v_fmac_f32_e32 v10, v11, v9
	v_fma_f32 v7, -v8, v10, v7
	v_div_fmas_f32 v7, v7, v9, v10
	v_div_fixup_f32 v3, v7, v6, v3
	s_cbranch_execz .LBB21_7
	s_branch .LBB21_17
.LBB21_6:
                                        ; implicit-def: $vgpr2_vgpr3
.LBB21_7:
	s_lshl_b32 s2, s12, 2
	s_add_i32 s10, s2, 0
	v_cmp_eq_u32_e32 vcc, 0, v1
	s_waitcnt lgkmcnt(0)
	v_mov_b32_e32 v2, 0
	v_lshl_add_u32 v3, v4, 3, 0
.LBB21_8:                               ; =>This Inner Loop Header: Depth=1
	s_lshr_b32 s11, s12, 1
	s_and_b32 s8, s12, 0xfffe
	v_cmp_le_u32_e64 s[2:3], s11, v4
	v_cmp_gt_u32_e64 s[8:9], s8, v4
	s_and_b64 s[2:3], s[2:3], s[8:9]
	s_and_b64 s[8:9], vcc, s[2:3]
	s_and_saveexec_b64 s[2:3], s[8:9]
	s_cbranch_execz .LBB21_10
; %bb.9:                                ;   in Loop: Header=BB21_8 Depth=1
	v_subrev_u32_e32 v6, s11, v4
	v_lshl_add_u32 v7, v6, 3, 0
	v_lshl_add_u32 v6, v6, 2, s10
	ds_write2_b32 v7, v2, v5 offset1:1
	ds_write_b32 v6, v2
.LBB21_10:                              ;   in Loop: Header=BB21_8 Depth=1
	s_or_b64 exec, exec, s[2:3]
	v_cmp_gt_u32_e64 s[2:3], s11, v4
	s_and_b64 s[8:9], vcc, s[2:3]
	s_waitcnt lgkmcnt(0)
	s_barrier
	s_and_saveexec_b64 s[2:3], s[8:9]
	s_cbranch_execz .LBB21_12
; %bb.11:                               ;   in Loop: Header=BB21_8 Depth=1
	ds_read_b32 v6, v3 offset:4
	s_waitcnt lgkmcnt(0)
	v_add_f32_e32 v5, v5, v6
.LBB21_12:                              ;   in Loop: Header=BB21_8 Depth=1
	s_or_b64 exec, exec, s[2:3]
	s_cmp_lt_u32 s12, 4
	s_barrier
	s_cbranch_scc1 .LBB21_14
; %bb.13:                               ;   in Loop: Header=BB21_8 Depth=1
	s_mov_b32 s12, s11
	s_branch .LBB21_8
.LBB21_14:
	v_or_b32_e32 v1, v1, v4
	v_cmp_eq_u32_e32 vcc, 0, v1
	s_and_saveexec_b64 s[2:3], vcc
	s_cbranch_execz .LBB21_16
; %bb.15:
	v_cvt_f32_i32_e32 v1, s16
	v_div_scale_f32 v2, s[8:9], v1, v1, v5
	v_rcp_f32_e32 v3, v2
	v_div_scale_f32 v4, vcc, v5, v1, v5
	v_fma_f32 v6, -v2, v3, 1.0
	v_fmac_f32_e32 v3, v6, v3
	v_mul_f32_e32 v6, v4, v3
	v_fma_f32 v7, -v2, v6, v4
	v_fmac_f32_e32 v6, v7, v3
	v_fma_f32 v2, -v2, v6, v4
	v_div_fmas_f32 v2, v2, v3, v6
	v_div_fixup_f32 v1, v2, v1, v5
	v_mov_b32_e32 v2, 0
	ds_write2_b32 v2, v2, v1 offset1:1
.LBB21_16:
	s_or_b64 exec, exec, s[2:3]
	v_mov_b32_e32 v1, 0
	s_waitcnt lgkmcnt(0)
	s_barrier
	ds_read2_b32 v[2:3], v1 offset1:1
.LBB21_17:
	s_waitcnt lgkmcnt(0)
	v_add_f32_e32 v1, s17, v3
	s_mov_b32 s2, 0x800000
	v_mul_f32_e32 v3, 0x4b800000, v1
	v_cmp_gt_f32_e32 vcc, s2, v1
	v_cndmask_b32_e32 v1, v1, v3, vcc
	v_rsq_f32_e32 v1, v1
	s_load_dwordx4 s[8:11], s[4:5], 0x28
	v_mul_f32_e32 v3, 0x45800000, v1
	v_cndmask_b32_e32 v4, v1, v3, vcc
	s_and_saveexec_b64 s[2:3], s[0:1]
	s_cbranch_execz .LBB21_32
; %bb.18:
	s_load_dwordx4 s[12:15], s[4:5], 0x10
	s_mov_b64 s[4:5], 0
	v_mov_b32_e32 v5, v4
	v_mov_b32_e32 v3, v2
	;; [unrolled: 1-line block ×3, first 2 shown]
	s_waitcnt lgkmcnt(0)
	s_cmp_eq_u64 s[12:13], 0
	s_cselect_b64 s[16:17], -1, 0
	s_cmp_eq_u64 s[14:15], 0
	s_cselect_b64 s[0:1], -1, 0
	s_lshl_b64 s[22:23], s[22:23], 1
	s_add_u32 s25, s10, s22
	s_addc_u32 s26, s11, s23
	s_add_u32 s27, s18, s22
	v_cndmask_b32_e64 v6, 0, 1, s[0:1]
	s_addc_u32 s28, s19, s23
	s_ashr_i32 s21, s20, 31
	s_or_b64 s[10:11], s[16:17], s[0:1]
	s_lshl_b64 s[18:19], s[20:21], 3
	v_cmp_ne_u32_e64 s[0:1], 1, v6
	s_movk_i32 s21, 0x7fff
	v_mov_b32_e32 v15, 0x7fc0
	v_mov_b32_e32 v16, 0x7fc00000
	;; [unrolled: 1-line block ×3, first 2 shown]
	s_branch .LBB21_20
.LBB21_19:                              ;   in Loop: Header=BB21_20 Depth=1
	v_bfe_u32 v6, v9, 16, 1
	s_add_u32 s27, s27, s18
	v_add3_u32 v6, v9, v6, s21
	s_addc_u32 s28, s28, s19
	v_and_b32_e32 v8, 0xffff0000, v6
	v_add_co_u32_e32 v6, vcc, s25, v0
	s_add_u32 s25, s25, s18
	v_mov_b32_e32 v7, s26
	s_addc_u32 s26, s26, s19
	s_add_u32 s12, s12, s18
	v_addc_co_u32_e32 v7, vcc, 0, v7, vcc
	s_addc_u32 s13, s13, s19
	v_cmp_o_f32_e32 vcc, v9, v9
	v_add_u32_e32 v17, s20, v17
	s_add_u32 s14, s14, s18
	v_cndmask_b32_e32 v9, v16, v8, vcc
	v_or_b32_sdwa v11, v1, v13 dst_sel:DWORD dst_unused:UNUSED_PAD src0_sel:DWORD src1_sel:WORD_0
	s_addc_u32 s15, s15, s19
	v_cmp_le_i32_e32 vcc, s24, v17
	v_lshl_or_b32 v8, v12, 16, v10
	v_or_b32_e32 v9, v11, v9
	s_or_b64 s[4:5], vcc, s[4:5]
	global_store_dwordx2 v[6:7], v[8:9], off
	s_andn2_b64 exec, exec, s[4:5]
	s_cbranch_execz .LBB21_32
.LBB21_20:                              ; =>This Inner Loop Header: Depth=1
	v_mov_b32_e32 v7, s28
	v_add_co_u32_e32 v6, vcc, s27, v0
	v_addc_co_u32_e32 v7, vcc, 0, v7, vcc
	global_load_dwordx2 v[6:7], v[6:7], off
	s_and_b64 vcc, exec, s[10:11]
	s_waitcnt vmcnt(0)
	v_lshrrev_b64 v[8:9], 16, v[6:7]
	s_cbranch_vccz .LBB21_24
; %bb.21:                               ;   in Loop: Header=BB21_20 Depth=1
	s_and_b64 vcc, exec, s[16:17]
	s_cbranch_vccz .LBB21_25
; %bb.22:                               ;   in Loop: Header=BB21_20 Depth=1
	s_and_b64 vcc, exec, s[0:1]
	s_cbranch_vccnz .LBB21_26
; %bb.23:                               ;   in Loop: Header=BB21_20 Depth=1
	v_lshlrev_b32_e32 v9, 16, v6
	v_mul_f32_e32 v9, v4, v9
	v_lshlrev_b32_e32 v13, 16, v7
	v_lshlrev_b32_e32 v12, 16, v8
	v_bfe_u32 v10, v9, 16, 1
	v_pk_mul_f32 v[12:13], v[4:5], v[12:13]
	v_add3_u32 v10, v9, v10, s21
	v_bfe_u32 v11, v13, 16, 1
	v_lshrrev_b32_e32 v10, 16, v10
	v_cmp_o_f32_e32 vcc, v9, v9
	v_bfe_u32 v9, v12, 16, 1
	v_add3_u32 v11, v13, v11, s21
	v_cndmask_b32_e32 v10, v15, v10, vcc
	v_add3_u32 v9, v12, v9, s21
	v_lshrrev_b32_e32 v11, 16, v11
	v_cmp_o_f32_e32 vcc, v13, v13
	v_lshrrev_b32_e32 v9, 16, v9
	v_cndmask_b32_e32 v13, v15, v11, vcc
	v_cmp_o_f32_e32 vcc, v12, v12
	v_cndmask_b32_e32 v12, v15, v9, vcc
	v_and_b32_e32 v9, 0xffff0000, v7
	v_mul_f32_e32 v9, v4, v9
	s_cbranch_execz .LBB21_27
	s_branch .LBB21_28
.LBB21_24:                              ;   in Loop: Header=BB21_20 Depth=1
                                        ; implicit-def: $vgpr12_vgpr13
                                        ; implicit-def: $vgpr9
                                        ; implicit-def: $vgpr10_vgpr11
	s_branch .LBB21_31
.LBB21_25:                              ;   in Loop: Header=BB21_20 Depth=1
                                        ; implicit-def: $vgpr12_vgpr13
                                        ; implicit-def: $vgpr9
                                        ; implicit-def: $vgpr10_vgpr11
	s_branch .LBB21_29
.LBB21_26:                              ;   in Loop: Header=BB21_20 Depth=1
                                        ; implicit-def: $vgpr12_vgpr13
                                        ; implicit-def: $vgpr9
                                        ; implicit-def: $vgpr10_vgpr11
.LBB21_27:                              ;   in Loop: Header=BB21_20 Depth=1
	v_mov_b32_e32 v9, s15
	v_add_co_u32_e32 v10, vcc, s14, v0
	v_addc_co_u32_e32 v11, vcc, 0, v9, vcc
	global_load_dwordx2 v[10:11], v[10:11], off
	v_lshlrev_b32_e32 v9, 16, v6
	v_lshlrev_b32_e32 v13, 16, v7
	;; [unrolled: 1-line block ×3, first 2 shown]
	v_and_b32_e32 v18, 0xffff0000, v7
	v_sub_f32_e32 v20, v9, v2
	v_pk_add_f32 v[12:13], v[12:13], v[2:3] neg_lo:[0,1] neg_hi:[0,1]
	v_sub_f32_e32 v21, v18, v2
	s_waitcnt vmcnt(0)
	v_lshlrev_b32_e32 v22, 16, v10
	v_lshlrev_b32_e32 v19, 16, v11
	v_and_b32_e32 v18, 0xffff0000, v10
	v_fmac_f32_e32 v22, v4, v20
	v_pk_fma_f32 v[12:13], v[4:5], v[12:13], v[18:19]
	v_bfe_u32 v10, v22, 16, 1
	v_bfe_u32 v18, v13, 16, 1
	v_add3_u32 v10, v22, v10, s21
	v_and_b32_e32 v9, 0xffff0000, v11
	v_bfe_u32 v11, v12, 16, 1
	v_add3_u32 v18, v13, v18, s21
	v_lshrrev_b32_e32 v10, 16, v10
	v_cmp_o_f32_e32 vcc, v22, v22
	v_add3_u32 v11, v12, v11, s21
	v_lshrrev_b32_e32 v18, 16, v18
	v_cndmask_b32_e32 v10, v15, v10, vcc
	v_cmp_o_f32_e32 vcc, v13, v13
	v_lshrrev_b32_e32 v11, 16, v11
	v_cndmask_b32_e32 v13, v15, v18, vcc
	v_cmp_o_f32_e32 vcc, v12, v12
	v_cndmask_b32_e32 v12, v15, v11, vcc
	v_fmac_f32_e32 v9, v4, v21
.LBB21_28:                              ;   in Loop: Header=BB21_20 Depth=1
	s_cbranch_execnz .LBB21_30
.LBB21_29:                              ;   in Loop: Header=BB21_20 Depth=1
	v_mov_b32_e32 v9, s13
	v_add_co_u32_e32 v10, vcc, s12, v0
	v_addc_co_u32_e32 v11, vcc, 0, v9, vcc
	global_load_dwordx2 v[10:11], v[10:11], off
	v_lshlrev_b32_e32 v9, 16, v6
	v_lshlrev_b32_e32 v13, 16, v7
	;; [unrolled: 1-line block ×3, first 2 shown]
	v_and_b32_e32 v18, 0xffff0000, v7
	v_mul_f32_e32 v9, v4, v9
	v_pk_mul_f32 v[12:13], v[4:5], v[12:13]
	v_mul_f32_e32 v20, v4, v18
	s_waitcnt vmcnt(0)
	v_lshlrev_b32_e32 v21, 16, v10
	v_lshlrev_b32_e32 v19, 16, v11
	v_and_b32_e32 v18, 0xffff0000, v10
	v_mul_f32_e32 v9, v9, v21
	v_pk_mul_f32 v[12:13], v[12:13], v[18:19]
	v_bfe_u32 v10, v9, 16, 1
	v_bfe_u32 v19, v13, 16, 1
	v_add3_u32 v10, v9, v10, s21
	v_bfe_u32 v18, v12, 16, 1
	v_add3_u32 v19, v13, v19, s21
	v_lshrrev_b32_e32 v10, 16, v10
	v_cmp_o_f32_e32 vcc, v9, v9
	v_add3_u32 v18, v12, v18, s21
	v_lshrrev_b32_e32 v19, 16, v19
	v_cndmask_b32_e32 v10, v15, v10, vcc
	v_cmp_o_f32_e32 vcc, v13, v13
	v_and_b32_e32 v11, 0xffff0000, v11
	v_lshrrev_b32_e32 v18, 16, v18
	v_cndmask_b32_e32 v13, v15, v19, vcc
	v_cmp_o_f32_e32 vcc, v12, v12
	v_cndmask_b32_e32 v12, v15, v18, vcc
	v_mul_f32_e32 v9, v20, v11
.LBB21_30:                              ;   in Loop: Header=BB21_20 Depth=1
	s_cbranch_execnz .LBB21_19
.LBB21_31:                              ;   in Loop: Header=BB21_20 Depth=1
	v_mov_b32_e32 v9, s13
	v_add_co_u32_e32 v10, vcc, s12, v0
	v_addc_co_u32_e32 v11, vcc, 0, v9, vcc
	global_load_dwordx2 v[10:11], v[10:11], off
	v_lshlrev_b32_e32 v6, 16, v6
	v_and_b32_e32 v12, 0xffff0000, v7
	v_lshlrev_b32_e32 v9, 16, v7
	v_lshlrev_b32_e32 v8, 16, v8
	v_mul_f32_e32 v13, v4, v6
	v_mul_f32_e32 v18, v4, v12
	v_pk_mul_f32 v[6:7], v[4:5], v[8:9]
	s_waitcnt vmcnt(0)
	v_lshlrev_b32_e32 v12, 16, v10
	v_lshlrev_b32_e32 v9, 16, v11
	v_and_b32_e32 v8, 0xffff0000, v10
	v_mul_f32_e32 v10, v13, v12
	v_pk_mul_f32 v[6:7], v[6:7], v[8:9]
	v_bfe_u32 v8, v10, 16, 1
	v_bfe_u32 v12, v7, 16, 1
	v_add3_u32 v8, v10, v8, s21
	v_bfe_u32 v9, v6, 16, 1
	v_add3_u32 v12, v7, v12, s21
	v_lshrrev_b32_e32 v8, 16, v8
	v_cmp_o_f32_e32 vcc, v10, v10
	v_add3_u32 v9, v6, v9, s21
	v_lshrrev_b32_e32 v12, 16, v12
	v_cndmask_b32_e32 v10, v15, v8, vcc
	v_cmp_o_f32_e32 vcc, v7, v7
	v_and_b32_e32 v11, 0xffff0000, v11
	v_lshrrev_b32_e32 v9, 16, v9
	v_cndmask_b32_e32 v13, v15, v12, vcc
	v_cmp_o_f32_e32 vcc, v6, v6
	v_cndmask_b32_e32 v12, v15, v9, vcc
	v_mul_f32_e32 v9, v18, v11
	s_branch .LBB21_19
.LBB21_32:
	s_or_b64 exec, exec, s[2:3]
	v_cmp_eq_u32_e32 vcc, 0, v14
	s_and_saveexec_b64 s[0:1], vcc
	s_cbranch_execz .LBB21_34
; %bb.33:
	s_lshl_b64 s[0:1], s[6:7], 2
	s_waitcnt lgkmcnt(0)
	s_add_u32 s0, s8, s0
	s_addc_u32 s1, s9, s1
	v_mov_b32_e32 v0, 0
	global_store_dword v0, v4, s[0:1]
.LBB21_34:
	s_endpgm
	.section	.rodata,"a",@progbits
	.p2align	6, 0x0
	.amdhsa_kernel _ZN2at6native12_GLOBAL__N_128vectorized_layer_norm_kernelIN3c108BFloat16EfLb1EEEviT0_PKT_S8_S8_PS5_S9_PS6_
		.amdhsa_group_segment_fixed_size 0
		.amdhsa_private_segment_fixed_size 0
		.amdhsa_kernarg_size 312
		.amdhsa_user_sgpr_count 6
		.amdhsa_user_sgpr_private_segment_buffer 1
		.amdhsa_user_sgpr_dispatch_ptr 0
		.amdhsa_user_sgpr_queue_ptr 0
		.amdhsa_user_sgpr_kernarg_segment_ptr 1
		.amdhsa_user_sgpr_dispatch_id 0
		.amdhsa_user_sgpr_flat_scratch_init 0
		.amdhsa_user_sgpr_kernarg_preload_length 0
		.amdhsa_user_sgpr_kernarg_preload_offset 0
		.amdhsa_user_sgpr_private_segment_size 0
		.amdhsa_uses_dynamic_stack 0
		.amdhsa_system_sgpr_private_segment_wavefront_offset 0
		.amdhsa_system_sgpr_workgroup_id_x 1
		.amdhsa_system_sgpr_workgroup_id_y 0
		.amdhsa_system_sgpr_workgroup_id_z 0
		.amdhsa_system_sgpr_workgroup_info 0
		.amdhsa_system_vgpr_workitem_id 1
		.amdhsa_next_free_vgpr 23
		.amdhsa_next_free_sgpr 29
		.amdhsa_accum_offset 24
		.amdhsa_reserve_vcc 1
		.amdhsa_reserve_flat_scratch 0
		.amdhsa_float_round_mode_32 0
		.amdhsa_float_round_mode_16_64 0
		.amdhsa_float_denorm_mode_32 3
		.amdhsa_float_denorm_mode_16_64 3
		.amdhsa_dx10_clamp 1
		.amdhsa_ieee_mode 1
		.amdhsa_fp16_overflow 0
		.amdhsa_tg_split 0
		.amdhsa_exception_fp_ieee_invalid_op 0
		.amdhsa_exception_fp_denorm_src 0
		.amdhsa_exception_fp_ieee_div_zero 0
		.amdhsa_exception_fp_ieee_overflow 0
		.amdhsa_exception_fp_ieee_underflow 0
		.amdhsa_exception_fp_ieee_inexact 0
		.amdhsa_exception_int_div_zero 0
	.end_amdhsa_kernel
	.section	.text._ZN2at6native12_GLOBAL__N_128vectorized_layer_norm_kernelIN3c108BFloat16EfLb1EEEviT0_PKT_S8_S8_PS5_S9_PS6_,"axG",@progbits,_ZN2at6native12_GLOBAL__N_128vectorized_layer_norm_kernelIN3c108BFloat16EfLb1EEEviT0_PKT_S8_S8_PS5_S9_PS6_,comdat
.Lfunc_end21:
	.size	_ZN2at6native12_GLOBAL__N_128vectorized_layer_norm_kernelIN3c108BFloat16EfLb1EEEviT0_PKT_S8_S8_PS5_S9_PS6_, .Lfunc_end21-_ZN2at6native12_GLOBAL__N_128vectorized_layer_norm_kernelIN3c108BFloat16EfLb1EEEviT0_PKT_S8_S8_PS5_S9_PS6_
                                        ; -- End function
	.section	.AMDGPU.csdata,"",@progbits
; Kernel info:
; codeLenInByte = 2072
; NumSgprs: 33
; NumVgprs: 23
; NumAgprs: 0
; TotalNumVgprs: 23
; ScratchSize: 0
; MemoryBound: 0
; FloatMode: 240
; IeeeMode: 1
; LDSByteSize: 0 bytes/workgroup (compile time only)
; SGPRBlocks: 4
; VGPRBlocks: 2
; NumSGPRsForWavesPerEU: 33
; NumVGPRsForWavesPerEU: 23
; AccumOffset: 24
; Occupancy: 8
; WaveLimiterHint : 0
; COMPUTE_PGM_RSRC2:SCRATCH_EN: 0
; COMPUTE_PGM_RSRC2:USER_SGPR: 6
; COMPUTE_PGM_RSRC2:TRAP_HANDLER: 0
; COMPUTE_PGM_RSRC2:TGID_X_EN: 1
; COMPUTE_PGM_RSRC2:TGID_Y_EN: 0
; COMPUTE_PGM_RSRC2:TGID_Z_EN: 0
; COMPUTE_PGM_RSRC2:TIDIG_COMP_CNT: 1
; COMPUTE_PGM_RSRC3_GFX90A:ACCUM_OFFSET: 5
; COMPUTE_PGM_RSRC3_GFX90A:TG_SPLIT: 0
	.section	.text._ZN2at6native12_GLOBAL__N_124RowwiseMomentsCUDAKernelIN3c108BFloat16EfLb1EEEvlT0_PKT_PS5_S9_,"axG",@progbits,_ZN2at6native12_GLOBAL__N_124RowwiseMomentsCUDAKernelIN3c108BFloat16EfLb1EEEvlT0_PKT_PS5_S9_,comdat
	.globl	_ZN2at6native12_GLOBAL__N_124RowwiseMomentsCUDAKernelIN3c108BFloat16EfLb1EEEvlT0_PKT_PS5_S9_ ; -- Begin function _ZN2at6native12_GLOBAL__N_124RowwiseMomentsCUDAKernelIN3c108BFloat16EfLb1EEEvlT0_PKT_PS5_S9_
	.p2align	8
	.type	_ZN2at6native12_GLOBAL__N_124RowwiseMomentsCUDAKernelIN3c108BFloat16EfLb1EEEvlT0_PKT_PS5_S9_,@function
_ZN2at6native12_GLOBAL__N_124RowwiseMomentsCUDAKernelIN3c108BFloat16EfLb1EEEvlT0_PKT_PS5_S9_: ; @_ZN2at6native12_GLOBAL__N_124RowwiseMomentsCUDAKernelIN3c108BFloat16EfLb1EEEvlT0_PKT_PS5_S9_
; %bb.0:
	s_load_dwordx2 s[0:1], s[4:5], 0x0
	s_mov_b32 s7, 0
	v_mov_b32_e32 v1, 0
	s_mov_b32 s2, s7
	s_mov_b32 s3, s7
	s_waitcnt lgkmcnt(0)
	v_cmp_gt_i64_e32 vcc, s[0:1], v[0:1]
	v_pk_mov_b32 v[2:3], s[2:3], s[2:3] op_sel:[0,1]
	v_pk_mov_b32 v[4:5], 0, 0
	s_and_saveexec_b64 s[2:3], vcc
	s_cbranch_execz .LBB22_4
; %bb.1:
	s_load_dword s10, s[4:5], 0x34
	s_load_dwordx2 s[8:9], s[4:5], 0x10
	s_mul_i32 s11, s1, s6
	s_mul_hi_u32 s13, s0, s6
	s_add_i32 s11, s13, s11
	s_waitcnt lgkmcnt(0)
	s_and_b32 s12, s10, 0xffff
	s_mul_i32 s10, s0, s6
	s_lshl_b64 s[10:11], s[10:11], 1
	s_add_u32 s8, s8, s10
	v_lshlrev_b32_e32 v2, 1, v0
	s_addc_u32 s9, s9, s11
	v_mov_b32_e32 v3, s9
	v_add_co_u32_e32 v6, vcc, s8, v2
	v_addc_co_u32_e32 v7, vcc, 0, v3, vcc
	s_lshl_b32 s13, s12, 1
	s_mov_b64 s[8:9], 0
	v_mov_b32_e32 v2, 0
	v_mov_b32_e32 v10, s7
	;; [unrolled: 1-line block ×3, first 2 shown]
	v_pk_mov_b32 v[8:9], v[0:1], v[0:1] op_sel:[0,1]
	s_mov_b64 s[10:11], 0
	v_mov_b32_e32 v3, 0
.LBB22_2:                               ; =>This Inner Loop Header: Depth=1
	global_load_ushort v12, v[6:7], off
	s_add_u32 s10, s10, 1
	s_addc_u32 s11, s11, 0
	s_flbit_i32_b32 s14, s11
	s_min_u32 s16, s14, 32
	s_lshl_b64 s[14:15], s[10:11], s16
	s_min_u32 s14, s14, 1
	s_or_b32 s14, s15, s14
	v_cvt_f32_u32_e32 v1, s14
	s_sub_i32 s16, 32, s16
	v_add_co_u32_e32 v8, vcc, s12, v8
	v_ldexp_f32 v1, v1, s16
	v_addc_co_u32_e32 v9, vcc, v9, v10, vcc
	v_add_co_u32_e32 v6, vcc, s13, v6
	v_addc_co_u32_e32 v7, vcc, v7, v11, vcc
	v_cmp_le_i64_e32 vcc, s[0:1], v[8:9]
	s_or_b64 s[8:9], vcc, s[8:9]
	v_pk_mov_b32 v[4:5], s[10:11], s[10:11] op_sel:[0,1]
	s_waitcnt vmcnt(0)
	v_lshlrev_b32_e32 v12, 16, v12
	v_sub_f32_e32 v13, v12, v3
	v_div_scale_f32 v14, s[14:15], v1, v1, v13
	v_rcp_f32_e32 v15, v14
	v_div_scale_f32 v16, vcc, v13, v1, v13
	v_fma_f32 v17, -v14, v15, 1.0
	v_fmac_f32_e32 v15, v17, v15
	v_mul_f32_e32 v17, v16, v15
	v_fma_f32 v18, -v14, v17, v16
	v_fmac_f32_e32 v17, v18, v15
	v_fma_f32 v14, -v14, v17, v16
	v_div_fmas_f32 v14, v14, v15, v17
	v_div_fixup_f32 v14, v14, v1, v13
	v_add_f32_e32 v3, v3, v14
	v_sub_f32_e32 v12, v12, v3
	v_fmac_f32_e32 v2, v13, v12
	s_andn2_b64 exec, exec, s[8:9]
	s_cbranch_execnz .LBB22_2
; %bb.3:
	s_or_b64 exec, exec, s[8:9]
.LBB22_4:
	s_or_b64 exec, exec, s[2:3]
	v_mbcnt_lo_u32_b32 v6, -1, 0
	v_mbcnt_hi_u32_b32 v14, -1, v6
	v_and_b32_e32 v15, 63, v14
	v_cmp_gt_u32_e32 vcc, 32, v15
	v_cndmask_b32_e64 v6, 0, 1, vcc
	v_lshlrev_b32_e32 v6, 5, v6
	v_add_lshl_u32 v10, v6, v14, 2
	ds_bpermute_b32 v7, v10, v3
	ds_bpermute_b32 v6, v10, v2
	;; [unrolled: 1-line block ×5, first 2 shown]
	v_cmp_neq_f32_e32 vcc, 0, v1
	s_and_saveexec_b64 s[0:1], vcc
	s_xor_b64 s[0:1], exec, s[0:1]
	s_cbranch_execz .LBB22_8
; %bb.5:
	s_waitcnt lgkmcnt(0)
	v_cmp_neq_f32_e32 vcc, 0, v11
	s_and_saveexec_b64 s[2:3], vcc
	s_cbranch_execz .LBB22_7
; %bb.6:
	v_add_f32_e32 v9, v1, v11
	v_div_scale_f32 v8, s[8:9], v9, v9, v11
	v_rcp_f32_e32 v12, v8
	v_pk_add_f32 v[4:5], v[6:7], v[2:3] neg_lo:[0,1] neg_hi:[0,1]
	v_pk_add_f32 v[6:7], v[2:3], v[6:7]
	v_mul_f32_e32 v2, v5, v5
	v_fma_f32 v4, -v8, v12, 1.0
	v_fmac_f32_e32 v12, v4, v12
	v_div_scale_f32 v4, vcc, v11, v9, v11
	v_mul_f32_e32 v13, v4, v12
	v_fma_f32 v16, -v8, v13, v4
	v_fmac_f32_e32 v13, v16, v12
	v_fma_f32 v4, -v8, v13, v4
	v_div_fmas_f32 v4, v4, v12, v13
	v_div_fixup_f32 v8, v4, v9, v11
	v_mul_f32_e32 v4, v1, v2
	v_mov_b32_e32 v7, v3
	v_pk_fma_f32 v[2:3], v[4:5], v[8:9], v[6:7] op_sel_hi:[1,0,1]
	v_pk_mov_b32 v[4:5], -1, -1
	v_mov_b32_e32 v1, v9
.LBB22_7:
	s_or_b64 exec, exec, s[2:3]
                                        ; implicit-def: $vgpr6_vgpr7
                                        ; implicit-def: $vgpr8
                                        ; implicit-def: $vgpr11
.LBB22_8:
	s_andn2_saveexec_b64 s[0:1], s[0:1]
	s_cbranch_execz .LBB22_10
; %bb.9:
	s_waitcnt lgkmcnt(0)
	v_mov_b32_e32 v1, v11
	v_pk_mov_b32 v[4:5], v[8:9], v[8:9] op_sel:[0,1]
	v_pk_mov_b32 v[2:3], v[6:7], v[6:7] op_sel:[0,1]
.LBB22_10:
	s_or_b64 exec, exec, s[0:1]
	v_cmp_gt_u32_e32 vcc, 48, v15
	s_waitcnt lgkmcnt(3)
	v_cndmask_b32_e64 v6, 0, 1, vcc
	v_lshlrev_b32_e32 v6, 4, v6
	s_waitcnt lgkmcnt(0)
	v_add_lshl_u32 v11, v6, v14, 2
	ds_bpermute_b32 v7, v11, v3
	ds_bpermute_b32 v6, v11, v2
	;; [unrolled: 1-line block ×5, first 2 shown]
	v_cmp_neq_f32_e32 vcc, 0, v1
	s_and_saveexec_b64 s[0:1], vcc
	s_xor_b64 s[0:1], exec, s[0:1]
	s_cbranch_execz .LBB22_14
; %bb.11:
	s_waitcnt lgkmcnt(0)
	v_cmp_neq_f32_e32 vcc, 0, v12
	s_and_saveexec_b64 s[2:3], vcc
	s_cbranch_execz .LBB22_13
; %bb.12:
	v_add_f32_e32 v9, v1, v12
	v_div_scale_f32 v8, s[8:9], v9, v9, v12
	v_rcp_f32_e32 v13, v8
	v_pk_add_f32 v[4:5], v[6:7], v[2:3] neg_lo:[0,1] neg_hi:[0,1]
	v_pk_add_f32 v[6:7], v[2:3], v[6:7]
	v_mul_f32_e32 v2, v5, v5
	v_fma_f32 v4, -v8, v13, 1.0
	v_fmac_f32_e32 v13, v4, v13
	v_div_scale_f32 v4, vcc, v12, v9, v12
	v_mul_f32_e32 v16, v4, v13
	v_fma_f32 v17, -v8, v16, v4
	v_fmac_f32_e32 v16, v17, v13
	v_fma_f32 v4, -v8, v16, v4
	v_div_fmas_f32 v4, v4, v13, v16
	v_div_fixup_f32 v8, v4, v9, v12
	v_mul_f32_e32 v4, v1, v2
	v_mov_b32_e32 v7, v3
	v_pk_fma_f32 v[2:3], v[4:5], v[8:9], v[6:7] op_sel_hi:[1,0,1]
	v_pk_mov_b32 v[4:5], -1, -1
	v_mov_b32_e32 v1, v9
.LBB22_13:
	s_or_b64 exec, exec, s[2:3]
                                        ; implicit-def: $vgpr6_vgpr7
                                        ; implicit-def: $vgpr8
                                        ; implicit-def: $vgpr12
.LBB22_14:
	s_andn2_saveexec_b64 s[0:1], s[0:1]
	s_cbranch_execz .LBB22_16
; %bb.15:
	s_waitcnt lgkmcnt(0)
	v_mov_b32_e32 v1, v12
	v_pk_mov_b32 v[4:5], v[8:9], v[8:9] op_sel:[0,1]
	v_pk_mov_b32 v[2:3], v[6:7], v[6:7] op_sel:[0,1]
.LBB22_16:
	s_or_b64 exec, exec, s[0:1]
	v_cmp_gt_u32_e32 vcc, 56, v15
	s_waitcnt lgkmcnt(3)
	v_cndmask_b32_e64 v6, 0, 1, vcc
	v_lshlrev_b32_e32 v6, 3, v6
	s_waitcnt lgkmcnt(0)
	v_add_lshl_u32 v12, v6, v14, 2
	ds_bpermute_b32 v7, v12, v3
	ds_bpermute_b32 v6, v12, v2
	ds_bpermute_b32 v8, v12, v4
	ds_bpermute_b32 v9, v12, v5
	ds_bpermute_b32 v13, v12, v1
	v_cmp_neq_f32_e32 vcc, 0, v1
	s_and_saveexec_b64 s[0:1], vcc
	s_xor_b64 s[0:1], exec, s[0:1]
	s_cbranch_execz .LBB22_20
; %bb.17:
	s_waitcnt lgkmcnt(0)
	v_cmp_neq_f32_e32 vcc, 0, v13
	s_and_saveexec_b64 s[2:3], vcc
	s_cbranch_execz .LBB22_19
; %bb.18:
	v_add_f32_e32 v9, v1, v13
	v_div_scale_f32 v8, s[8:9], v9, v9, v13
	v_rcp_f32_e32 v16, v8
	v_pk_add_f32 v[4:5], v[6:7], v[2:3] neg_lo:[0,1] neg_hi:[0,1]
	v_pk_add_f32 v[6:7], v[2:3], v[6:7]
	v_mul_f32_e32 v2, v5, v5
	v_fma_f32 v4, -v8, v16, 1.0
	v_fmac_f32_e32 v16, v4, v16
	v_div_scale_f32 v4, vcc, v13, v9, v13
	v_mul_f32_e32 v17, v4, v16
	v_fma_f32 v18, -v8, v17, v4
	v_fmac_f32_e32 v17, v18, v16
	v_fma_f32 v4, -v8, v17, v4
	v_div_fmas_f32 v4, v4, v16, v17
	v_div_fixup_f32 v8, v4, v9, v13
	v_mul_f32_e32 v4, v1, v2
	v_mov_b32_e32 v7, v3
	v_pk_fma_f32 v[2:3], v[4:5], v[8:9], v[6:7] op_sel_hi:[1,0,1]
	v_pk_mov_b32 v[4:5], -1, -1
	v_mov_b32_e32 v1, v9
.LBB22_19:
	s_or_b64 exec, exec, s[2:3]
                                        ; implicit-def: $vgpr6_vgpr7
                                        ; implicit-def: $vgpr8
                                        ; implicit-def: $vgpr13
.LBB22_20:
	s_andn2_saveexec_b64 s[0:1], s[0:1]
	s_cbranch_execz .LBB22_22
; %bb.21:
	s_waitcnt lgkmcnt(0)
	v_mov_b32_e32 v1, v13
	v_pk_mov_b32 v[4:5], v[8:9], v[8:9] op_sel:[0,1]
	v_pk_mov_b32 v[2:3], v[6:7], v[6:7] op_sel:[0,1]
.LBB22_22:
	s_or_b64 exec, exec, s[0:1]
	v_cmp_gt_u32_e32 vcc, 60, v15
	s_waitcnt lgkmcnt(3)
	v_cndmask_b32_e64 v6, 0, 1, vcc
	v_lshlrev_b32_e32 v6, 2, v6
	s_waitcnt lgkmcnt(0)
	v_add_lshl_u32 v13, v6, v14, 2
	ds_bpermute_b32 v7, v13, v3
	ds_bpermute_b32 v6, v13, v2
	;; [unrolled: 1-line block ×5, first 2 shown]
	v_cmp_neq_f32_e32 vcc, 0, v1
	s_and_saveexec_b64 s[0:1], vcc
	s_xor_b64 s[0:1], exec, s[0:1]
	s_cbranch_execz .LBB22_26
; %bb.23:
	s_waitcnt lgkmcnt(0)
	v_cmp_neq_f32_e32 vcc, 0, v16
	s_and_saveexec_b64 s[2:3], vcc
	s_cbranch_execz .LBB22_25
; %bb.24:
	v_add_f32_e32 v9, v1, v16
	v_div_scale_f32 v8, s[8:9], v9, v9, v16
	v_rcp_f32_e32 v17, v8
	v_pk_add_f32 v[4:5], v[6:7], v[2:3] neg_lo:[0,1] neg_hi:[0,1]
	v_pk_add_f32 v[6:7], v[2:3], v[6:7]
	v_mul_f32_e32 v2, v5, v5
	v_fma_f32 v4, -v8, v17, 1.0
	v_fmac_f32_e32 v17, v4, v17
	v_div_scale_f32 v4, vcc, v16, v9, v16
	v_mul_f32_e32 v18, v4, v17
	v_fma_f32 v19, -v8, v18, v4
	v_fmac_f32_e32 v18, v19, v17
	v_fma_f32 v4, -v8, v18, v4
	v_div_fmas_f32 v4, v4, v17, v18
	v_div_fixup_f32 v8, v4, v9, v16
	v_mul_f32_e32 v4, v1, v2
	v_mov_b32_e32 v7, v3
	v_pk_fma_f32 v[2:3], v[4:5], v[8:9], v[6:7] op_sel_hi:[1,0,1]
	v_pk_mov_b32 v[4:5], -1, -1
	v_mov_b32_e32 v1, v9
.LBB22_25:
	s_or_b64 exec, exec, s[2:3]
                                        ; implicit-def: $vgpr6_vgpr7
                                        ; implicit-def: $vgpr8
                                        ; implicit-def: $vgpr16
.LBB22_26:
	s_andn2_saveexec_b64 s[0:1], s[0:1]
	s_cbranch_execz .LBB22_28
; %bb.27:
	s_waitcnt lgkmcnt(0)
	v_mov_b32_e32 v1, v16
	v_pk_mov_b32 v[4:5], v[8:9], v[8:9] op_sel:[0,1]
	v_pk_mov_b32 v[2:3], v[6:7], v[6:7] op_sel:[0,1]
.LBB22_28:
	s_or_b64 exec, exec, s[0:1]
	v_cmp_gt_u32_e32 vcc, 62, v15
	s_waitcnt lgkmcnt(3)
	v_cndmask_b32_e64 v6, 0, 1, vcc
	v_lshlrev_b32_e32 v6, 1, v6
	s_waitcnt lgkmcnt(0)
	v_add_lshl_u32 v16, v6, v14, 2
	ds_bpermute_b32 v7, v16, v3
	ds_bpermute_b32 v6, v16, v2
	;; [unrolled: 1-line block ×5, first 2 shown]
	v_cmp_neq_f32_e32 vcc, 0, v1
	s_and_saveexec_b64 s[0:1], vcc
	s_xor_b64 s[0:1], exec, s[0:1]
	s_cbranch_execz .LBB22_32
; %bb.29:
	s_waitcnt lgkmcnt(0)
	v_cmp_neq_f32_e32 vcc, 0, v17
	s_and_saveexec_b64 s[2:3], vcc
	s_cbranch_execz .LBB22_31
; %bb.30:
	v_add_f32_e32 v9, v1, v17
	v_div_scale_f32 v8, s[8:9], v9, v9, v17
	v_rcp_f32_e32 v18, v8
	v_pk_add_f32 v[4:5], v[6:7], v[2:3] neg_lo:[0,1] neg_hi:[0,1]
	v_pk_add_f32 v[6:7], v[2:3], v[6:7]
	v_mul_f32_e32 v2, v5, v5
	v_fma_f32 v4, -v8, v18, 1.0
	v_fmac_f32_e32 v18, v4, v18
	v_div_scale_f32 v4, vcc, v17, v9, v17
	v_mul_f32_e32 v19, v4, v18
	v_fma_f32 v20, -v8, v19, v4
	v_fmac_f32_e32 v19, v20, v18
	v_fma_f32 v4, -v8, v19, v4
	v_div_fmas_f32 v4, v4, v18, v19
	v_div_fixup_f32 v8, v4, v9, v17
	v_mul_f32_e32 v4, v1, v2
	v_mov_b32_e32 v7, v3
	v_pk_fma_f32 v[2:3], v[4:5], v[8:9], v[6:7] op_sel_hi:[1,0,1]
	v_pk_mov_b32 v[4:5], -1, -1
	v_mov_b32_e32 v1, v9
.LBB22_31:
	s_or_b64 exec, exec, s[2:3]
                                        ; implicit-def: $vgpr6_vgpr7
                                        ; implicit-def: $vgpr8
                                        ; implicit-def: $vgpr17
.LBB22_32:
	s_andn2_saveexec_b64 s[0:1], s[0:1]
	s_cbranch_execz .LBB22_34
; %bb.33:
	s_waitcnt lgkmcnt(0)
	v_mov_b32_e32 v1, v17
	v_pk_mov_b32 v[4:5], v[8:9], v[8:9] op_sel:[0,1]
	v_pk_mov_b32 v[2:3], v[6:7], v[6:7] op_sel:[0,1]
.LBB22_34:
	s_or_b64 exec, exec, s[0:1]
	v_cmp_ne_u32_e32 vcc, 63, v15
	s_waitcnt lgkmcnt(3)
	v_addc_co_u32_e32 v6, vcc, 0, v14, vcc
	v_lshlrev_b32_e32 v14, 2, v6
	ds_bpermute_b32 v7, v14, v3
	ds_bpermute_b32 v6, v14, v2
	s_waitcnt lgkmcnt(4)
	ds_bpermute_b32 v8, v14, v4
	s_waitcnt lgkmcnt(4)
	ds_bpermute_b32 v9, v14, v5
	ds_bpermute_b32 v15, v14, v1
	v_cmp_neq_f32_e32 vcc, 0, v1
	s_and_saveexec_b64 s[0:1], vcc
	s_xor_b64 s[0:1], exec, s[0:1]
	s_cbranch_execz .LBB22_38
; %bb.35:
	s_waitcnt lgkmcnt(0)
	v_cmp_neq_f32_e32 vcc, 0, v15
	s_and_saveexec_b64 s[2:3], vcc
	s_cbranch_execz .LBB22_37
; %bb.36:
	v_add_f32_e32 v9, v1, v15
	v_div_scale_f32 v8, s[8:9], v9, v9, v15
	v_rcp_f32_e32 v17, v8
	v_pk_add_f32 v[4:5], v[6:7], v[2:3] neg_lo:[0,1] neg_hi:[0,1]
	v_pk_add_f32 v[6:7], v[2:3], v[6:7]
	v_mul_f32_e32 v2, v5, v5
	v_fma_f32 v4, -v8, v17, 1.0
	v_fmac_f32_e32 v17, v4, v17
	v_div_scale_f32 v4, vcc, v15, v9, v15
	v_mul_f32_e32 v18, v4, v17
	v_fma_f32 v19, -v8, v18, v4
	v_fmac_f32_e32 v18, v19, v17
	v_fma_f32 v4, -v8, v18, v4
	v_div_fmas_f32 v4, v4, v17, v18
	v_div_fixup_f32 v8, v4, v9, v15
	v_mul_f32_e32 v4, v1, v2
	v_mov_b32_e32 v7, v3
	v_pk_fma_f32 v[2:3], v[4:5], v[8:9], v[6:7] op_sel_hi:[1,0,1]
	v_pk_mov_b32 v[4:5], -1, -1
	v_mov_b32_e32 v1, v9
.LBB22_37:
	s_or_b64 exec, exec, s[2:3]
                                        ; implicit-def: $vgpr6_vgpr7
                                        ; implicit-def: $vgpr8
                                        ; implicit-def: $vgpr15
.LBB22_38:
	s_andn2_saveexec_b64 s[0:1], s[0:1]
	s_cbranch_execz .LBB22_40
; %bb.39:
	s_waitcnt lgkmcnt(0)
	v_mov_b32_e32 v1, v15
	v_pk_mov_b32 v[4:5], v[8:9], v[8:9] op_sel:[0,1]
	v_pk_mov_b32 v[2:3], v[6:7], v[6:7] op_sel:[0,1]
.LBB22_40:
	s_or_b64 exec, exec, s[0:1]
	s_waitcnt lgkmcnt(3)
	v_and_b32_e32 v6, 63, v0
	v_cmp_eq_u32_e32 vcc, 0, v6
	s_waitcnt lgkmcnt(0)
	s_barrier
	s_and_saveexec_b64 s[0:1], vcc
	s_cbranch_execz .LBB22_42
; %bb.41:
	v_lshrrev_b32_e32 v7, 6, v0
	v_mul_u32_u24_e32 v7, 24, v7
	v_mov_b32_e32 v8, v3
	v_mov_b32_e32 v9, v2
	ds_write2_b64 v7, v[8:9], v[4:5] offset1:1
	ds_write_b32 v7, v1 offset:16
.LBB22_42:
	s_or_b64 exec, exec, s[0:1]
	s_waitcnt lgkmcnt(0)
	s_barrier
	s_load_dword s0, s[4:5], 0x34
	v_mul_u32_u24_e32 v4, 24, v6
	v_mov_b32_e32 v2, 0
	v_mov_b32_e32 v1, 0
	s_waitcnt lgkmcnt(0)
	s_bfe_u32 s0, s0, 0xa0006
	v_cmp_gt_u32_e32 vcc, s0, v0
	s_and_saveexec_b64 s[0:1], vcc
	s_cbranch_execnz .LBB22_48
; %bb.43:
	s_or_b64 exec, exec, s[0:1]
	s_and_saveexec_b64 s[0:1], vcc
	s_cbranch_execnz .LBB22_49
.LBB22_44:
	s_or_b64 exec, exec, s[0:1]
	v_mov_b32_e32 v3, 0
	s_and_saveexec_b64 s[0:1], vcc
	s_cbranch_execnz .LBB22_50
.LBB22_45:
	s_or_b64 exec, exec, s[0:1]
	v_cmp_gt_u32_e32 vcc, 64, v0
	s_and_saveexec_b64 s[0:1], vcc
	s_cbranch_execnz .LBB22_51
.LBB22_46:
	s_or_b64 exec, exec, s[0:1]
	v_cmp_eq_u32_e32 vcc, 0, v0
	s_and_saveexec_b64 s[0:1], vcc
	s_cbranch_execnz .LBB22_76
.LBB22_47:
	s_endpgm
.LBB22_48:
	ds_read_b32 v1, v4
	s_or_b64 exec, exec, s[0:1]
	s_and_saveexec_b64 s[0:1], vcc
	s_cbranch_execz .LBB22_44
.LBB22_49:
	ds_read_b32 v2, v4 offset:4
	s_or_b64 exec, exec, s[0:1]
	v_mov_b32_e32 v3, 0
	s_and_saveexec_b64 s[0:1], vcc
	s_cbranch_execz .LBB22_45
.LBB22_50:
	ds_read_b32 v3, v4 offset:16
	s_or_b64 exec, exec, s[0:1]
	v_cmp_gt_u32_e32 vcc, 64, v0
	s_and_saveexec_b64 s[0:1], vcc
	s_cbranch_execz .LBB22_46
.LBB22_51:
	s_waitcnt lgkmcnt(0)
	ds_bpermute_b32 v6, v10, v1
	ds_bpermute_b32 v4, v10, v2
	;; [unrolled: 1-line block ×3, first 2 shown]
	v_cmp_neq_f32_e32 vcc, 0, v3
	s_and_saveexec_b64 s[2:3], vcc
	s_cbranch_execz .LBB22_55
; %bb.52:
	s_waitcnt lgkmcnt(0)
	v_cmp_neq_f32_e32 vcc, 0, v5
	s_and_saveexec_b64 s[8:9], vcc
	s_cbranch_execz .LBB22_54
; %bb.53:
	v_sub_f32_e32 v6, v6, v1
	v_mul_f32_e32 v7, v6, v6
	v_mul_f32_e32 v7, v3, v7
	v_add_f32_e32 v3, v3, v5
	v_div_scale_f32 v8, s[10:11], v3, v3, v5
	v_rcp_f32_e32 v9, v8
	v_add_f32_e32 v2, v2, v4
	v_fma_f32 v4, -v8, v9, 1.0
	v_fmac_f32_e32 v9, v4, v9
	v_div_scale_f32 v4, vcc, v5, v3, v5
	v_mul_f32_e32 v10, v4, v9
	v_fma_f32 v15, -v8, v10, v4
	v_fmac_f32_e32 v10, v15, v9
	v_fma_f32 v4, -v8, v10, v4
	v_div_fmas_f32 v4, v4, v9, v10
	v_div_fixup_f32 v4, v4, v3, v5
	v_fmac_f32_e32 v1, v6, v4
	v_fmac_f32_e32 v2, v7, v4
.LBB22_54:
	s_or_b64 exec, exec, s[8:9]
	v_mov_b32_e32 v6, v1
	v_pk_mov_b32 v[4:5], v[2:3], v[2:3] op_sel:[0,1]
.LBB22_55:
	s_or_b64 exec, exec, s[2:3]
	s_waitcnt lgkmcnt(2)
	ds_bpermute_b32 v1, v11, v6
	s_waitcnt lgkmcnt(2)
	ds_bpermute_b32 v2, v11, v4
	s_waitcnt lgkmcnt(2)
	ds_bpermute_b32 v3, v11, v5
	v_cmp_neq_f32_e32 vcc, 0, v5
	s_and_saveexec_b64 s[2:3], vcc
	s_cbranch_execz .LBB22_59
; %bb.56:
	s_waitcnt lgkmcnt(0)
	v_cmp_neq_f32_e32 vcc, 0, v3
	s_and_saveexec_b64 s[8:9], vcc
	s_cbranch_execz .LBB22_58
; %bb.57:
	v_pk_add_f32 v[8:9], v[4:5], v[2:3]
	v_div_scale_f32 v2, s[10:11], v9, v9, v3
	v_rcp_f32_e32 v4, v2
	v_sub_f32_e32 v1, v1, v6
	v_mul_f32_e32 v7, v1, v1
	v_mul_f32_e32 v5, v5, v7
	v_fma_f32 v7, -v2, v4, 1.0
	v_fmac_f32_e32 v4, v7, v4
	v_div_scale_f32 v7, vcc, v3, v9, v3
	v_mul_f32_e32 v10, v7, v4
	v_fma_f32 v11, -v2, v10, v7
	v_fmac_f32_e32 v10, v11, v4
	v_fma_f32 v2, -v2, v10, v7
	v_div_fmas_f32 v2, v2, v4, v10
	v_div_fixup_f32 v2, v2, v9, v3
	v_fma_f32 v8, v5, v2, v8
	v_fmac_f32_e32 v6, v1, v2
	v_pk_mov_b32 v[4:5], v[8:9], v[8:9] op_sel:[0,1]
.LBB22_58:
	s_or_b64 exec, exec, s[8:9]
	v_mov_b32_e32 v1, v6
	v_pk_mov_b32 v[2:3], v[4:5], v[4:5] op_sel:[0,1]
.LBB22_59:
	s_or_b64 exec, exec, s[2:3]
	s_waitcnt lgkmcnt(2)
	ds_bpermute_b32 v6, v12, v1
	s_waitcnt lgkmcnt(2)
	ds_bpermute_b32 v4, v12, v2
	s_waitcnt lgkmcnt(2)
	ds_bpermute_b32 v5, v12, v3
	v_cmp_neq_f32_e32 vcc, 0, v3
	s_and_saveexec_b64 s[2:3], vcc
	s_cbranch_execz .LBB22_63
; %bb.60:
	s_waitcnt lgkmcnt(0)
	v_cmp_neq_f32_e32 vcc, 0, v5
	s_and_saveexec_b64 s[8:9], vcc
	s_cbranch_execz .LBB22_62
; %bb.61:
	v_pk_add_f32 v[8:9], v[2:3], v[4:5]
	v_div_scale_f32 v2, s[10:11], v9, v9, v5
	v_rcp_f32_e32 v4, v2
	v_sub_f32_e32 v6, v6, v1
	v_mul_f32_e32 v7, v6, v6
	v_mul_f32_e32 v3, v3, v7
	v_fma_f32 v7, -v2, v4, 1.0
	v_fmac_f32_e32 v4, v7, v4
	v_div_scale_f32 v7, vcc, v5, v9, v5
	v_mul_f32_e32 v10, v7, v4
	v_fma_f32 v11, -v2, v10, v7
	v_fmac_f32_e32 v10, v11, v4
	v_fma_f32 v2, -v2, v10, v7
	v_div_fmas_f32 v2, v2, v4, v10
	v_div_fixup_f32 v2, v2, v9, v5
	v_fma_f32 v8, v3, v2, v8
	v_fmac_f32_e32 v1, v6, v2
	v_pk_mov_b32 v[2:3], v[8:9], v[8:9] op_sel:[0,1]
.LBB22_62:
	s_or_b64 exec, exec, s[8:9]
	v_mov_b32_e32 v6, v1
	v_pk_mov_b32 v[4:5], v[2:3], v[2:3] op_sel:[0,1]
.LBB22_63:
	;; [unrolled: 39-line block ×4, first 2 shown]
	s_or_b64 exec, exec, s[2:3]
	s_waitcnt lgkmcnt(2)
	ds_bpermute_b32 v1, v14, v6
	s_waitcnt lgkmcnt(2)
	ds_bpermute_b32 v2, v14, v4
	;; [unrolled: 2-line block ×3, first 2 shown]
	v_cmp_neq_f32_e32 vcc, 0, v5
	s_and_saveexec_b64 s[2:3], vcc
	s_cbranch_execz .LBB22_75
; %bb.72:
	s_waitcnt lgkmcnt(0)
	v_cmp_neq_f32_e32 vcc, 0, v3
	s_and_saveexec_b64 s[8:9], vcc
	s_cbranch_execz .LBB22_74
; %bb.73:
	v_pk_add_f32 v[8:9], v[4:5], v[2:3]
	v_div_scale_f32 v2, s[10:11], v9, v9, v3
	v_rcp_f32_e32 v4, v2
	v_sub_f32_e32 v1, v1, v6
	v_mul_f32_e32 v7, v1, v1
	v_mul_f32_e32 v5, v5, v7
	v_fma_f32 v7, -v2, v4, 1.0
	v_fmac_f32_e32 v4, v7, v4
	v_div_scale_f32 v7, vcc, v3, v9, v3
	v_mul_f32_e32 v10, v7, v4
	v_fma_f32 v11, -v2, v10, v7
	v_fmac_f32_e32 v10, v11, v4
	v_fma_f32 v2, -v2, v10, v7
	v_div_fmas_f32 v2, v2, v4, v10
	v_div_fixup_f32 v2, v2, v9, v3
	v_fma_f32 v8, v5, v2, v8
	v_fmac_f32_e32 v6, v1, v2
	v_pk_mov_b32 v[4:5], v[8:9], v[8:9] op_sel:[0,1]
.LBB22_74:
	s_or_b64 exec, exec, s[8:9]
	v_pk_mov_b32 v[2:3], v[4:5], v[4:5] op_sel:[0,1]
	v_mov_b32_e32 v1, v6
.LBB22_75:
	s_or_b64 exec, exec, s[2:3]
	s_or_b64 exec, exec, s[0:1]
	v_cmp_eq_u32_e32 vcc, 0, v0
	s_and_saveexec_b64 s[0:1], vcc
	s_cbranch_execz .LBB22_47
.LBB22_76:
	s_waitcnt lgkmcnt(0)
	v_max_f32_e32 v0, v3, v3
	v_max_f32_e32 v0, 0, v0
	v_div_scale_f32 v3, s[0:1], v0, v0, v2
	v_rcp_f32_e32 v4, v3
	s_load_dword s2, s[4:5], 0x8
	s_load_dwordx2 s[0:1], s[4:5], 0x20
	v_fma_f32 v5, -v3, v4, 1.0
	v_fmac_f32_e32 v4, v5, v4
	v_div_scale_f32 v5, vcc, v2, v0, v2
	v_mul_f32_e32 v6, v5, v4
	v_fma_f32 v7, -v3, v6, v5
	v_fmac_f32_e32 v6, v7, v4
	v_fma_f32 v3, -v3, v6, v5
	v_div_fmas_f32 v3, v3, v4, v6
	v_div_fixup_f32 v0, v3, v0, v2
	v_fmac_f32_e32 v0, v1, v1
	s_waitcnt lgkmcnt(0)
	v_add_f32_e32 v0, s2, v0
	s_mov_b32 s2, 0x800000
	v_mul_f32_e32 v1, 0x4b800000, v0
	v_cmp_gt_f32_e32 vcc, s2, v0
	v_cndmask_b32_e32 v0, v0, v1, vcc
	v_rsq_f32_e32 v0, v0
	s_lshl_b64 s[2:3], s[6:7], 2
	s_add_u32 s0, s0, s2
	s_addc_u32 s1, s1, s3
	v_mul_f32_e32 v1, 0x45800000, v0
	v_cndmask_b32_e32 v0, v0, v1, vcc
	v_mov_b32_e32 v1, 0
	global_store_dword v1, v0, s[0:1]
	s_endpgm
	.section	.rodata,"a",@progbits
	.p2align	6, 0x0
	.amdhsa_kernel _ZN2at6native12_GLOBAL__N_124RowwiseMomentsCUDAKernelIN3c108BFloat16EfLb1EEEvlT0_PKT_PS5_S9_
		.amdhsa_group_segment_fixed_size 1536
		.amdhsa_private_segment_fixed_size 0
		.amdhsa_kernarg_size 296
		.amdhsa_user_sgpr_count 6
		.amdhsa_user_sgpr_private_segment_buffer 1
		.amdhsa_user_sgpr_dispatch_ptr 0
		.amdhsa_user_sgpr_queue_ptr 0
		.amdhsa_user_sgpr_kernarg_segment_ptr 1
		.amdhsa_user_sgpr_dispatch_id 0
		.amdhsa_user_sgpr_flat_scratch_init 0
		.amdhsa_user_sgpr_kernarg_preload_length 0
		.amdhsa_user_sgpr_kernarg_preload_offset 0
		.amdhsa_user_sgpr_private_segment_size 0
		.amdhsa_uses_dynamic_stack 0
		.amdhsa_system_sgpr_private_segment_wavefront_offset 0
		.amdhsa_system_sgpr_workgroup_id_x 1
		.amdhsa_system_sgpr_workgroup_id_y 0
		.amdhsa_system_sgpr_workgroup_id_z 0
		.amdhsa_system_sgpr_workgroup_info 0
		.amdhsa_system_vgpr_workitem_id 0
		.amdhsa_next_free_vgpr 21
		.amdhsa_next_free_sgpr 17
		.amdhsa_accum_offset 24
		.amdhsa_reserve_vcc 1
		.amdhsa_reserve_flat_scratch 0
		.amdhsa_float_round_mode_32 0
		.amdhsa_float_round_mode_16_64 0
		.amdhsa_float_denorm_mode_32 3
		.amdhsa_float_denorm_mode_16_64 3
		.amdhsa_dx10_clamp 1
		.amdhsa_ieee_mode 1
		.amdhsa_fp16_overflow 0
		.amdhsa_tg_split 0
		.amdhsa_exception_fp_ieee_invalid_op 0
		.amdhsa_exception_fp_denorm_src 0
		.amdhsa_exception_fp_ieee_div_zero 0
		.amdhsa_exception_fp_ieee_overflow 0
		.amdhsa_exception_fp_ieee_underflow 0
		.amdhsa_exception_fp_ieee_inexact 0
		.amdhsa_exception_int_div_zero 0
	.end_amdhsa_kernel
	.section	.text._ZN2at6native12_GLOBAL__N_124RowwiseMomentsCUDAKernelIN3c108BFloat16EfLb1EEEvlT0_PKT_PS5_S9_,"axG",@progbits,_ZN2at6native12_GLOBAL__N_124RowwiseMomentsCUDAKernelIN3c108BFloat16EfLb1EEEvlT0_PKT_PS5_S9_,comdat
.Lfunc_end22:
	.size	_ZN2at6native12_GLOBAL__N_124RowwiseMomentsCUDAKernelIN3c108BFloat16EfLb1EEEvlT0_PKT_PS5_S9_, .Lfunc_end22-_ZN2at6native12_GLOBAL__N_124RowwiseMomentsCUDAKernelIN3c108BFloat16EfLb1EEEvlT0_PKT_PS5_S9_
                                        ; -- End function
	.section	.AMDGPU.csdata,"",@progbits
; Kernel info:
; codeLenInByte = 3572
; NumSgprs: 21
; NumVgprs: 21
; NumAgprs: 0
; TotalNumVgprs: 21
; ScratchSize: 0
; MemoryBound: 0
; FloatMode: 240
; IeeeMode: 1
; LDSByteSize: 1536 bytes/workgroup (compile time only)
; SGPRBlocks: 2
; VGPRBlocks: 2
; NumSGPRsForWavesPerEU: 21
; NumVGPRsForWavesPerEU: 21
; AccumOffset: 24
; Occupancy: 8
; WaveLimiterHint : 0
; COMPUTE_PGM_RSRC2:SCRATCH_EN: 0
; COMPUTE_PGM_RSRC2:USER_SGPR: 6
; COMPUTE_PGM_RSRC2:TRAP_HANDLER: 0
; COMPUTE_PGM_RSRC2:TGID_X_EN: 1
; COMPUTE_PGM_RSRC2:TGID_Y_EN: 0
; COMPUTE_PGM_RSRC2:TGID_Z_EN: 0
; COMPUTE_PGM_RSRC2:TIDIG_COMP_CNT: 0
; COMPUTE_PGM_RSRC3_GFX90A:ACCUM_OFFSET: 5
; COMPUTE_PGM_RSRC3_GFX90A:TG_SPLIT: 0
	.section	.text._ZN2at6native12_GLOBAL__N_126LayerNormForwardCUDAKernelIN3c108BFloat16EfLb1EEEvlPKT_PKT0_SA_S7_S7_PS5_,"axG",@progbits,_ZN2at6native12_GLOBAL__N_126LayerNormForwardCUDAKernelIN3c108BFloat16EfLb1EEEvlPKT_PKT0_SA_S7_S7_PS5_,comdat
	.globl	_ZN2at6native12_GLOBAL__N_126LayerNormForwardCUDAKernelIN3c108BFloat16EfLb1EEEvlPKT_PKT0_SA_S7_S7_PS5_ ; -- Begin function _ZN2at6native12_GLOBAL__N_126LayerNormForwardCUDAKernelIN3c108BFloat16EfLb1EEEvlPKT_PKT0_SA_S7_S7_PS5_
	.p2align	8
	.type	_ZN2at6native12_GLOBAL__N_126LayerNormForwardCUDAKernelIN3c108BFloat16EfLb1EEEvlPKT_PKT0_SA_S7_S7_PS5_,@function
_ZN2at6native12_GLOBAL__N_126LayerNormForwardCUDAKernelIN3c108BFloat16EfLb1EEEvlPKT_PKT0_SA_S7_S7_PS5_: ; @_ZN2at6native12_GLOBAL__N_126LayerNormForwardCUDAKernelIN3c108BFloat16EfLb1EEEvlPKT_PKT0_SA_S7_S7_PS5_
; %bb.0:
	s_load_dwordx4 s[8:11], s[4:5], 0x0
	v_mov_b32_e32 v1, 0
	s_waitcnt lgkmcnt(0)
	v_cmp_gt_i64_e32 vcc, s[8:9], v[0:1]
	s_and_saveexec_b64 s[0:1], vcc
	s_cbranch_execz .LBB23_6
; %bb.1:
	s_load_dwordx4 s[0:3], s[4:5], 0x18
	s_load_dwordx2 s[14:15], s[4:5], 0x30
	s_mov_b32 s7, 0
	s_load_dword s18, s[4:5], 0x44
	s_mov_b64 s[12:13], 0
	s_waitcnt lgkmcnt(0)
	s_cmp_lg_u64 s[2:3], 0
	s_cselect_b64 s[16:17], -1, 0
	s_lshl_b64 s[4:5], s[6:7], 2
	s_add_u32 s0, s0, s4
	s_addc_u32 s1, s1, s5
	s_load_dword s4, s[0:1], 0x0
	s_mul_i32 s0, s9, s6
	s_mul_hi_u32 s1, s8, s6
	s_add_i32 s1, s1, s0
	s_mul_i32 s0, s8, s6
	s_and_b32 s5, s18, 0xffff
	s_lshl_b64 s[0:1], s[0:1], 1
	s_add_u32 s6, s10, s0
	s_addc_u32 s19, s11, s1
	s_lshl_b32 s10, s5, 1
	s_add_u32 s11, s14, s0
	s_addc_u32 s15, s15, s1
	v_cndmask_b32_e64 v4, 0, 1, s[16:17]
	v_lshlrev_b32_e32 v2, 1, v0
	v_mov_b32_e32 v3, v1
	v_cmp_ne_u32_e64 s[0:1], 1, v4
	v_mov_b32_e32 v4, s19
	s_movk_i32 s14, 0x7fff
	v_mov_b32_e32 v5, 0x7fc0
	v_mov_b32_e32 v6, s15
	;; [unrolled: 1-line block ×4, first 2 shown]
	s_branch .LBB23_4
.LBB23_2:                               ;   in Loop: Header=BB23_4 Depth=1
	v_mov_b32_e32 v9, s3
	v_add_co_u32_e32 v10, vcc, s2, v2
	v_addc_co_u32_e32 v11, vcc, v9, v3, vcc
	global_load_ushort v9, v[10:11], off
	s_waitcnt vmcnt(0)
	v_lshlrev_b32_e32 v9, 16, v9
.LBB23_3:                               ;   in Loop: Header=BB23_4 Depth=1
	v_add_co_u32_e32 v10, vcc, s6, v2
	v_addc_co_u32_e32 v11, vcc, v4, v3, vcc
	global_load_ushort v12, v[10:11], off
	v_add_co_u32_e32 v10, vcc, s11, v2
	v_addc_co_u32_e32 v11, vcc, v6, v3, vcc
	v_add_co_u32_e32 v0, vcc, s5, v0
	v_addc_co_u32_e32 v1, vcc, v1, v7, vcc
	v_cmp_le_i64_e32 vcc, s[8:9], v[0:1]
	s_or_b64 s[12:13], vcc, s[12:13]
	s_waitcnt vmcnt(0)
	v_lshlrev_b32_e32 v12, 16, v12
	s_waitcnt lgkmcnt(0)
	v_mul_f32_e32 v12, s4, v12
	v_mul_f32_e32 v9, v9, v12
	v_bfe_u32 v12, v9, 16, 1
	v_add3_u32 v12, v9, v12, s14
	v_lshrrev_b32_e32 v12, 16, v12
	v_cmp_o_f32_e32 vcc, v9, v9
	v_cndmask_b32_e32 v9, v5, v12, vcc
	v_add_co_u32_e32 v2, vcc, s10, v2
	v_addc_co_u32_e32 v3, vcc, v3, v8, vcc
	global_store_short v[10:11], v9, off
	s_andn2_b64 exec, exec, s[12:13]
	s_cbranch_execz .LBB23_6
.LBB23_4:                               ; =>This Inner Loop Header: Depth=1
	s_and_b64 vcc, exec, s[0:1]
	s_cbranch_vccz .LBB23_2
; %bb.5:                                ;   in Loop: Header=BB23_4 Depth=1
	v_mov_b32_e32 v9, 1.0
	s_branch .LBB23_3
.LBB23_6:
	s_endpgm
	.section	.rodata,"a",@progbits
	.p2align	6, 0x0
	.amdhsa_kernel _ZN2at6native12_GLOBAL__N_126LayerNormForwardCUDAKernelIN3c108BFloat16EfLb1EEEvlPKT_PKT0_SA_S7_S7_PS5_
		.amdhsa_group_segment_fixed_size 0
		.amdhsa_private_segment_fixed_size 0
		.amdhsa_kernarg_size 312
		.amdhsa_user_sgpr_count 6
		.amdhsa_user_sgpr_private_segment_buffer 1
		.amdhsa_user_sgpr_dispatch_ptr 0
		.amdhsa_user_sgpr_queue_ptr 0
		.amdhsa_user_sgpr_kernarg_segment_ptr 1
		.amdhsa_user_sgpr_dispatch_id 0
		.amdhsa_user_sgpr_flat_scratch_init 0
		.amdhsa_user_sgpr_kernarg_preload_length 0
		.amdhsa_user_sgpr_kernarg_preload_offset 0
		.amdhsa_user_sgpr_private_segment_size 0
		.amdhsa_uses_dynamic_stack 0
		.amdhsa_system_sgpr_private_segment_wavefront_offset 0
		.amdhsa_system_sgpr_workgroup_id_x 1
		.amdhsa_system_sgpr_workgroup_id_y 0
		.amdhsa_system_sgpr_workgroup_id_z 0
		.amdhsa_system_sgpr_workgroup_info 0
		.amdhsa_system_vgpr_workitem_id 0
		.amdhsa_next_free_vgpr 13
		.amdhsa_next_free_sgpr 20
		.amdhsa_accum_offset 16
		.amdhsa_reserve_vcc 1
		.amdhsa_reserve_flat_scratch 0
		.amdhsa_float_round_mode_32 0
		.amdhsa_float_round_mode_16_64 0
		.amdhsa_float_denorm_mode_32 3
		.amdhsa_float_denorm_mode_16_64 3
		.amdhsa_dx10_clamp 1
		.amdhsa_ieee_mode 1
		.amdhsa_fp16_overflow 0
		.amdhsa_tg_split 0
		.amdhsa_exception_fp_ieee_invalid_op 0
		.amdhsa_exception_fp_denorm_src 0
		.amdhsa_exception_fp_ieee_div_zero 0
		.amdhsa_exception_fp_ieee_overflow 0
		.amdhsa_exception_fp_ieee_underflow 0
		.amdhsa_exception_fp_ieee_inexact 0
		.amdhsa_exception_int_div_zero 0
	.end_amdhsa_kernel
	.section	.text._ZN2at6native12_GLOBAL__N_126LayerNormForwardCUDAKernelIN3c108BFloat16EfLb1EEEvlPKT_PKT0_SA_S7_S7_PS5_,"axG",@progbits,_ZN2at6native12_GLOBAL__N_126LayerNormForwardCUDAKernelIN3c108BFloat16EfLb1EEEvlPKT_PKT0_SA_S7_S7_PS5_,comdat
.Lfunc_end23:
	.size	_ZN2at6native12_GLOBAL__N_126LayerNormForwardCUDAKernelIN3c108BFloat16EfLb1EEEvlPKT_PKT0_SA_S7_S7_PS5_, .Lfunc_end23-_ZN2at6native12_GLOBAL__N_126LayerNormForwardCUDAKernelIN3c108BFloat16EfLb1EEEvlPKT_PKT0_SA_S7_S7_PS5_
                                        ; -- End function
	.section	.AMDGPU.csdata,"",@progbits
; Kernel info:
; codeLenInByte = 356
; NumSgprs: 24
; NumVgprs: 13
; NumAgprs: 0
; TotalNumVgprs: 13
; ScratchSize: 0
; MemoryBound: 0
; FloatMode: 240
; IeeeMode: 1
; LDSByteSize: 0 bytes/workgroup (compile time only)
; SGPRBlocks: 2
; VGPRBlocks: 1
; NumSGPRsForWavesPerEU: 24
; NumVGPRsForWavesPerEU: 13
; AccumOffset: 16
; Occupancy: 8
; WaveLimiterHint : 0
; COMPUTE_PGM_RSRC2:SCRATCH_EN: 0
; COMPUTE_PGM_RSRC2:USER_SGPR: 6
; COMPUTE_PGM_RSRC2:TRAP_HANDLER: 0
; COMPUTE_PGM_RSRC2:TGID_X_EN: 1
; COMPUTE_PGM_RSRC2:TGID_Y_EN: 0
; COMPUTE_PGM_RSRC2:TGID_Z_EN: 0
; COMPUTE_PGM_RSRC2:TIDIG_COMP_CNT: 0
; COMPUTE_PGM_RSRC3_GFX90A:ACCUM_OFFSET: 3
; COMPUTE_PGM_RSRC3_GFX90A:TG_SPLIT: 0
	.section	.text._ZN2at6native12_GLOBAL__N_118cuComputeGradInputIddLb0EEEvPKT_S5_llPKT0_S8_S5_PS3_,"axG",@progbits,_ZN2at6native12_GLOBAL__N_118cuComputeGradInputIddLb0EEEvPKT_S5_llPKT0_S8_S5_PS3_,comdat
	.globl	_ZN2at6native12_GLOBAL__N_118cuComputeGradInputIddLb0EEEvPKT_S5_llPKT0_S8_S5_PS3_ ; -- Begin function _ZN2at6native12_GLOBAL__N_118cuComputeGradInputIddLb0EEEvPKT_S5_llPKT0_S8_S5_PS3_
	.p2align	8
	.type	_ZN2at6native12_GLOBAL__N_118cuComputeGradInputIddLb0EEEvPKT_S5_llPKT0_S8_S5_PS3_,@function
_ZN2at6native12_GLOBAL__N_118cuComputeGradInputIddLb0EEEvPKT_S5_llPKT0_S8_S5_PS3_: ; @_ZN2at6native12_GLOBAL__N_118cuComputeGradInputIddLb0EEEvPKT_S5_llPKT0_S8_S5_PS3_
; %bb.0:
	s_load_dwordx4 s[20:23], s[4:5], 0x10
	s_mov_b32 s28, s7
	s_ashr_i32 s29, s7, 31
	s_waitcnt lgkmcnt(0)
	v_pk_mov_b32 v[2:3], s[20:21], s[20:21] op_sel:[0,1]
	v_cmp_ge_i64_e32 vcc, s[28:29], v[2:3]
	s_cbranch_vccnz .LBB24_47
; %bb.1:
	v_and_b32_e32 v22, 0x3ff, v0
	v_bfe_u32 v23, v0, 10, 10
	v_cvt_f64_i32_e32 v[0:1], s23
	s_load_dword s0, s[4:5], 0x4c
	s_load_dword s33, s[4:5], 0x44
	s_load_dwordx4 s[24:27], s[4:5], 0x0
	s_load_dwordx8 s[12:19], s[4:5], 0x20
	v_ldexp_f64 v[0:1], v[0:1], 32
	v_cvt_f64_u32_e32 v[2:3], s22
	v_add_f64 v[6:7], v[0:1], v[2:3]
	s_waitcnt lgkmcnt(0)
	s_lshr_b32 s48, s0, 16
	s_and_b32 s49, s0, 0xffff
	v_cmp_gt_u16_e64 s[30:31], s0, 1
	v_div_scale_f64 v[0:1], s[0:1], v[6:7], v[6:7], 1.0
	v_rcp_f64_e32 v[2:3], v[0:1]
	s_mul_i32 s50, s48, s49
	v_mad_u32_u24 v4, v23, s49, v22
	s_cmp_lg_u64 s[16:17], 0
	v_fma_f64 v[8:9], -v[0:1], v[2:3], 1.0
	v_fmac_f64_e32 v[2:3], v[2:3], v[8:9]
	v_fma_f64 v[8:9], -v[0:1], v[2:3], 1.0
	v_fmac_f64_e32 v[2:3], v[2:3], v[8:9]
	v_div_scale_f64 v[8:9], vcc, 1.0, v[6:7], 1.0
	v_mul_f64 v[10:11], v[8:9], v[2:3]
	v_fma_f64 v[0:1], -v[0:1], v[10:11], v[8:9]
	s_cselect_b64 s[6:7], -1, 0
	s_nop 0
	v_div_fmas_f64 v[0:1], v[0:1], v[2:3], v[10:11]
	v_div_fixup_f64 v[8:9], v[0:1], v[6:7], 1.0
	v_add_u32_e32 v0, s50, v4
	v_ashrrev_i32_e32 v1, 31, v0
	s_ashr_i32 s51, s50, 31
	v_subrev_co_u32_e32 v10, vcc, s50, v0
	v_cndmask_b32_e64 v0, 0, 1, s[6:7]
	v_cmp_gt_i64_e64 s[6:7], s[22:23], 0
	v_mov_b32_e32 v5, 0
	v_mov_b32_e32 v2, s51
	v_cndmask_b32_e64 v26, 0, 1, s[6:7]
	v_cmp_ne_u32_e64 s[6:7], 1, v0
	v_mbcnt_lo_u32_b32 v0, -1, 0
	v_cmp_gt_u16_e64 s[34:35], s48, 1
	v_lshl_add_u32 v24, v4, 4, 0
	v_cmp_eq_u32_e64 s[0:1], 0, v23
	v_cmp_ne_u32_e64 s[2:3], 0, v23
	v_lshl_add_u32 v25, v22, 4, 0
	v_cmp_gt_i64_e64 s[4:5], s[22:23], v[4:5]
	v_subb_co_u32_e32 v11, vcc, v1, v2, vcc
	v_mbcnt_hi_u32_b32 v27, -1, v0
	s_branch .LBB24_4
.LBB24_2:                               ;   in Loop: Header=BB24_4 Depth=1
	s_or_b64 exec, exec, s[10:11]
.LBB24_3:                               ;   in Loop: Header=BB24_4 Depth=1
	s_add_i32 s28, s33, s28
	s_ashr_i32 s29, s28, 31
	v_pk_mov_b32 v[0:1], s[20:21], s[20:21] op_sel:[0,1]
	v_cmp_ge_i64_e32 vcc, s[28:29], v[0:1]
	s_barrier
	s_cbranch_vccnz .LBB24_47
.LBB24_4:                               ; =>This Loop Header: Depth=1
                                        ;     Child Loop BB24_8 Depth 2
                                        ;     Child Loop BB24_19 Depth 2
	;; [unrolled: 1-line block ×6, first 2 shown]
	s_mul_i32 s8, s28, s23
	s_mul_hi_u32 s9, s28, s22
	s_add_i32 s8, s9, s8
	s_mul_i32 s9, s29, s22
	s_add_i32 s9, s8, s9
	s_lshl_b64 s[10:11], s[28:29], 3
	s_add_u32 s36, s12, s10
	s_addc_u32 s37, s13, s11
	s_add_u32 s10, s14, s10
	s_mul_i32 s8, s28, s22
	s_addc_u32 s11, s15, s11
	s_load_dwordx2 s[36:37], s[36:37], 0x0
	s_lshl_b64 s[40:41], s[8:9], 3
	s_load_dwordx2 s[38:39], s[10:11], 0x0
	s_add_u32 s29, s26, s40
	s_addc_u32 s52, s27, s41
	s_add_u32 s53, s24, s40
	s_addc_u32 s54, s25, s41
	s_and_b64 vcc, exec, s[6:7]
	v_cmp_ne_u32_e64 s[8:9], 1, v26
	s_cbranch_vccnz .LBB24_14
; %bb.5:                                ;   in Loop: Header=BB24_4 Depth=1
	v_pk_mov_b32 v[0:1], 0, 0
	s_mov_b64 s[42:43], 0
	s_and_b64 vcc, exec, s[8:9]
	v_pk_mov_b32 v[2:3], v[0:1], v[0:1] op_sel:[0,1]
	s_cbranch_vccnz .LBB24_15
; %bb.6:                                ;   in Loop: Header=BB24_4 Depth=1
	v_pk_mov_b32 v[12:13], 0, 0
	s_mov_b32 s44, 0
	v_pk_mov_b32 v[0:1], v[12:13], v[12:13] op_sel:[0,1]
	v_pk_mov_b32 v[2:3], v[12:13], v[12:13] op_sel:[0,1]
	s_branch .LBB24_8
.LBB24_7:                               ;   in Loop: Header=BB24_8 Depth=2
	s_or_b64 exec, exec, s[10:11]
	s_waitcnt vmcnt(0)
	v_mul_f64 v[16:17], v[14:15], v[20:21]
	v_fmac_f64_e32 v[0:1], v[14:15], v[20:21]
	s_waitcnt lgkmcnt(0)
	v_add_f64 v[14:15], v[18:19], -s[36:37]
	v_mul_f64 v[14:15], v[14:15], v[16:17]
	s_add_i32 s44, s44, s50
	v_fmac_f64_e32 v[2:3], s[38:39], v[14:15]
	s_ashr_i32 s45, s44, 31
	v_pk_mov_b32 v[14:15], s[22:23], s[22:23] op_sel:[0,1]
	v_cmp_ge_i64_e32 vcc, s[44:45], v[14:15]
	s_cbranch_vccnz .LBB24_15
.LBB24_8:                               ;   Parent Loop BB24_4 Depth=1
                                        ; =>  This Inner Loop Header: Depth=2
	v_add_u32_e32 v14, s44, v4
	v_ashrrev_i32_e32 v15, 31, v14
	v_cmp_gt_i64_e32 vcc, s[22:23], v[14:15]
	v_lshlrev_b64 v[16:17], 3, v[14:15]
	v_pk_mov_b32 v[14:15], v[12:13], v[12:13] op_sel:[0,1]
	s_and_saveexec_b64 s[46:47], vcc
	s_cbranch_execnz .LBB24_11
; %bb.9:                                ;   in Loop: Header=BB24_8 Depth=2
	s_or_b64 exec, exec, s[46:47]
	v_pk_mov_b32 v[18:19], v[12:13], v[12:13] op_sel:[0,1]
	s_and_saveexec_b64 s[46:47], vcc
	s_cbranch_execnz .LBB24_12
.LBB24_10:                              ;   in Loop: Header=BB24_8 Depth=2
	s_or_b64 exec, exec, s[46:47]
	v_pk_mov_b32 v[20:21], 0, 0
	s_and_saveexec_b64 s[10:11], vcc
	s_cbranch_execz .LBB24_7
	s_branch .LBB24_13
.LBB24_11:                              ;   in Loop: Header=BB24_8 Depth=2
	v_mov_b32_e32 v15, s17
	v_add_co_u32_e64 v14, s[10:11], s16, v16
	v_addc_co_u32_e64 v15, s[10:11], v15, v17, s[10:11]
	global_load_dwordx2 v[14:15], v[14:15], off
	s_or_b64 exec, exec, s[46:47]
	v_pk_mov_b32 v[18:19], v[12:13], v[12:13] op_sel:[0,1]
	s_and_saveexec_b64 s[46:47], vcc
	s_cbranch_execz .LBB24_10
.LBB24_12:                              ;   in Loop: Header=BB24_8 Depth=2
	v_mov_b32_e32 v19, s52
	v_add_co_u32_e64 v18, s[10:11], s29, v16
	v_addc_co_u32_e64 v19, s[10:11], v19, v17, s[10:11]
	global_load_dwordx2 v[18:19], v[18:19], off
	s_or_b64 exec, exec, s[46:47]
	v_pk_mov_b32 v[20:21], 0, 0
	s_and_saveexec_b64 s[10:11], vcc
	s_cbranch_execz .LBB24_7
.LBB24_13:                              ;   in Loop: Header=BB24_8 Depth=2
	v_mov_b32_e32 v20, s54
	v_add_co_u32_e32 v16, vcc, s53, v16
	v_addc_co_u32_e32 v17, vcc, v20, v17, vcc
	global_load_dwordx2 v[20:21], v[16:17], off
	s_branch .LBB24_7
.LBB24_14:                              ;   in Loop: Header=BB24_4 Depth=1
	s_mov_b64 s[42:43], -1
                                        ; implicit-def: $vgpr0_vgpr1
.LBB24_15:                              ;   in Loop: Header=BB24_4 Depth=1
	s_andn2_b64 vcc, exec, s[42:43]
	s_cbranch_vccnz .LBB24_23
; %bb.16:                               ;   in Loop: Header=BB24_4 Depth=1
	v_pk_mov_b32 v[0:1], 0, 0
	s_and_b64 vcc, exec, s[8:9]
	v_pk_mov_b32 v[2:3], v[0:1], v[0:1] op_sel:[0,1]
	s_cbranch_vccnz .LBB24_23
; %bb.17:                               ;   in Loop: Header=BB24_4 Depth=1
	v_pk_mov_b32 v[12:13], 0, 0
	s_mov_b32 s10, 0
	v_pk_mov_b32 v[0:1], v[12:13], v[12:13] op_sel:[0,1]
	v_pk_mov_b32 v[2:3], v[12:13], v[12:13] op_sel:[0,1]
	s_branch .LBB24_19
.LBB24_18:                              ;   in Loop: Header=BB24_19 Depth=2
	s_or_b64 exec, exec, s[8:9]
	s_waitcnt vmcnt(0) lgkmcnt(0)
	v_add_f64 v[14:15], v[14:15], -s[36:37]
	v_mul_f64 v[14:15], v[14:15], v[18:19]
	s_add_i32 s10, s10, s50
	v_fmac_f64_e32 v[2:3], s[38:39], v[14:15]
	s_ashr_i32 s11, s10, 31
	v_pk_mov_b32 v[14:15], s[22:23], s[22:23] op_sel:[0,1]
	v_cmp_ge_i64_e32 vcc, s[10:11], v[14:15]
	v_add_f64 v[0:1], v[0:1], v[18:19]
	s_cbranch_vccnz .LBB24_23
.LBB24_19:                              ;   Parent Loop BB24_4 Depth=1
                                        ; =>  This Inner Loop Header: Depth=2
	v_add_u32_e32 v14, s10, v4
	v_ashrrev_i32_e32 v15, 31, v14
	v_cmp_gt_i64_e32 vcc, s[22:23], v[14:15]
	v_lshlrev_b64 v[16:17], 3, v[14:15]
	v_pk_mov_b32 v[14:15], v[12:13], v[12:13] op_sel:[0,1]
	s_and_saveexec_b64 s[42:43], vcc
	s_cbranch_execz .LBB24_21
; %bb.20:                               ;   in Loop: Header=BB24_19 Depth=2
	v_mov_b32_e32 v15, s52
	v_add_co_u32_e64 v14, s[8:9], s29, v16
	v_addc_co_u32_e64 v15, s[8:9], v15, v17, s[8:9]
	global_load_dwordx2 v[14:15], v[14:15], off
.LBB24_21:                              ;   in Loop: Header=BB24_19 Depth=2
	s_or_b64 exec, exec, s[42:43]
	v_pk_mov_b32 v[18:19], v[12:13], v[12:13] op_sel:[0,1]
	s_and_saveexec_b64 s[8:9], vcc
	s_cbranch_execz .LBB24_18
; %bb.22:                               ;   in Loop: Header=BB24_19 Depth=2
	v_mov_b32_e32 v18, s54
	v_add_co_u32_e32 v16, vcc, s53, v16
	v_addc_co_u32_e32 v17, vcc, v18, v17, vcc
	global_load_dwordx2 v[18:19], v[16:17], off
	s_branch .LBB24_18
.LBB24_23:                              ;   in Loop: Header=BB24_4 Depth=1
	s_andn2_b64 vcc, exec, s[30:31]
	s_cbranch_vccnz .LBB24_26
; %bb.24:                               ;   in Loop: Header=BB24_4 Depth=1
	v_and_b32_e32 v12, 64, v27
	v_add_u32_e32 v12, 64, v12
	s_mov_b32 s8, s49
.LBB24_25:                              ;   Parent Loop BB24_4 Depth=1
                                        ; =>  This Inner Loop Header: Depth=2
	s_lshr_b32 s9, s8, 1
	v_xor_b32_e32 v13, s9, v27
	v_cmp_lt_i32_e32 vcc, v13, v12
	v_cndmask_b32_e32 v13, v27, v13, vcc
	v_lshlrev_b32_e32 v13, 2, v13
	ds_bpermute_b32 v14, v13, v0
	ds_bpermute_b32 v15, v13, v1
	;; [unrolled: 1-line block ×4, first 2 shown]
	s_cmp_lt_u32 s8, 4
	s_mov_b32 s8, s9
	s_waitcnt lgkmcnt(0)
	v_add_f64 v[0:1], v[0:1], v[14:15]
	v_add_f64 v[2:3], v[2:3], v[16:17]
	s_cbranch_scc0 .LBB24_25
.LBB24_26:                              ;   in Loop: Header=BB24_4 Depth=1
	s_andn2_b64 vcc, exec, s[34:35]
	s_mov_b32 s42, s48
	s_cbranch_vccnz .LBB24_38
.LBB24_27:                              ;   Parent Loop BB24_4 Depth=1
                                        ; =>  This Inner Loop Header: Depth=2
	s_lshr_b32 s43, s42, 1
	s_and_b32 s10, s42, 0xfffe
	v_cmp_le_u32_e64 s[8:9], s43, v23
	v_cmp_gt_u32_e64 s[10:11], s10, v23
	v_cmp_gt_u32_e32 vcc, s43, v23
	s_and_b64 s[10:11], s[8:9], s[10:11]
	s_and_saveexec_b64 s[8:9], s[10:11]
	s_cbranch_execz .LBB24_29
; %bb.28:                               ;   in Loop: Header=BB24_27 Depth=2
	v_subrev_u32_e32 v12, s43, v23
	v_mad_i32_i24 v12, v12, s49, v22
	v_lshl_add_u32 v12, v12, 4, 0
	ds_write2_b64 v12, v[0:1], v[2:3] offset1:1
.LBB24_29:                              ;   in Loop: Header=BB24_27 Depth=2
	s_or_b64 exec, exec, s[8:9]
	s_waitcnt lgkmcnt(0)
	s_barrier
	s_and_saveexec_b64 s[8:9], vcc
	s_cbranch_execz .LBB24_31
; %bb.30:                               ;   in Loop: Header=BB24_27 Depth=2
	ds_read2_b64 v[12:15], v24 offset1:1
	s_waitcnt lgkmcnt(0)
	v_add_f64 v[0:1], v[0:1], v[12:13]
	v_add_f64 v[2:3], v[2:3], v[14:15]
.LBB24_31:                              ;   in Loop: Header=BB24_27 Depth=2
	s_or_b64 exec, exec, s[8:9]
	s_cmp_lt_u32 s42, 4
	s_barrier
	s_cbranch_scc1 .LBB24_33
; %bb.32:                               ;   in Loop: Header=BB24_27 Depth=2
	s_mov_b32 s42, s43
	s_branch .LBB24_27
.LBB24_33:                              ;   in Loop: Header=BB24_4 Depth=1
	s_and_saveexec_b64 s[8:9], s[0:1]
	s_cbranch_execz .LBB24_35
; %bb.34:                               ;   in Loop: Header=BB24_4 Depth=1
	ds_write2_b64 v25, v[0:1], v[2:3] offset1:1
.LBB24_35:                              ;   in Loop: Header=BB24_4 Depth=1
	s_or_b64 exec, exec, s[8:9]
	s_waitcnt lgkmcnt(0)
	s_barrier
	s_and_saveexec_b64 s[8:9], s[2:3]
	s_cbranch_execz .LBB24_37
; %bb.36:                               ;   in Loop: Header=BB24_4 Depth=1
	ds_read2_b64 v[0:3], v25 offset1:1
.LBB24_37:                              ;   in Loop: Header=BB24_4 Depth=1
	s_or_b64 exec, exec, s[8:9]
.LBB24_38:                              ;   in Loop: Header=BB24_4 Depth=1
	s_add_u32 s42, s18, s40
	s_addc_u32 s43, s19, s41
	s_and_b64 vcc, exec, s[6:7]
	s_waitcnt lgkmcnt(0)
	v_mul_f64 v[12:13], v[8:9], s[38:39]
	s_cbranch_vccnz .LBB24_43
; %bb.39:                               ;   in Loop: Header=BB24_4 Depth=1
	s_and_saveexec_b64 s[10:11], s[4:5]
	s_cbranch_execz .LBB24_42
; %bb.40:                               ;   in Loop: Header=BB24_4 Depth=1
	s_mov_b64 s[40:41], 0
	v_pk_mov_b32 v[14:15], v[10:11], v[10:11] op_sel:[0,1]
	v_pk_mov_b32 v[16:17], v[4:5], v[4:5] op_sel:[0,1]
.LBB24_41:                              ;   Parent Loop BB24_4 Depth=1
                                        ; =>  This Inner Loop Header: Depth=2
	v_lshlrev_b64 v[16:17], 3, v[16:17]
	v_mov_b32_e32 v19, s52
	v_add_co_u32_e32 v18, vcc, s29, v16
	v_addc_co_u32_e32 v19, vcc, v19, v17, vcc
	v_mov_b32_e32 v21, s54
	v_add_co_u32_e32 v20, vcc, s53, v16
	v_addc_co_u32_e32 v21, vcc, v21, v17, vcc
	;; [unrolled: 3-line block ×3, first 2 shown]
	global_load_dwordx2 v[20:21], v[20:21], off
	s_nop 0
	global_load_dwordx2 v[18:19], v[18:19], off
	s_nop 0
	global_load_dwordx2 v[28:29], v[28:29], off
	v_mov_b32_e32 v32, s51
	v_add_co_u32_e32 v14, vcc, s50, v14
	v_addc_co_u32_e32 v15, vcc, v15, v32, vcc
	v_mov_b32_e32 v31, s43
	v_add_co_u32_e64 v30, s[8:9], s42, v16
	v_cmp_le_i64_e32 vcc, s[22:23], v[14:15]
	v_addc_co_u32_e64 v31, s[8:9], v31, v17, s[8:9]
	v_ashrrev_i32_e32 v17, 31, v14
	v_mov_b32_e32 v16, v14
	s_or_b64 s[40:41], vcc, s[40:41]
	s_waitcnt vmcnt(2)
	v_mul_f64 v[20:21], v[20:21], v[6:7]
	s_waitcnt vmcnt(1)
	v_add_f64 v[18:19], v[18:19], -s[36:37]
	s_waitcnt vmcnt(0)
	v_fma_f64 v[20:21], v[20:21], v[28:29], -v[0:1]
	v_mul_f64 v[18:19], s[38:39], v[18:19]
	v_fma_f64 v[18:19], -v[2:3], v[18:19], v[20:21]
	v_mul_f64 v[18:19], v[12:13], v[18:19]
	global_store_dwordx2 v[30:31], v[18:19], off
	s_andn2_b64 exec, exec, s[40:41]
	s_cbranch_execnz .LBB24_41
.LBB24_42:                              ;   in Loop: Header=BB24_4 Depth=1
	s_or_b64 exec, exec, s[10:11]
	s_cbranch_execnz .LBB24_3
	s_branch .LBB24_44
.LBB24_43:                              ;   in Loop: Header=BB24_4 Depth=1
.LBB24_44:                              ;   in Loop: Header=BB24_4 Depth=1
	s_and_saveexec_b64 s[10:11], s[4:5]
	s_cbranch_execz .LBB24_2
; %bb.45:                               ;   in Loop: Header=BB24_4 Depth=1
	s_mov_b64 s[40:41], 0
	v_pk_mov_b32 v[14:15], v[10:11], v[10:11] op_sel:[0,1]
	v_pk_mov_b32 v[16:17], v[4:5], v[4:5] op_sel:[0,1]
.LBB24_46:                              ;   Parent Loop BB24_4 Depth=1
                                        ; =>  This Inner Loop Header: Depth=2
	v_lshlrev_b64 v[16:17], 3, v[16:17]
	v_mov_b32_e32 v19, s52
	v_add_co_u32_e32 v18, vcc, s29, v16
	v_addc_co_u32_e32 v19, vcc, v19, v17, vcc
	v_mov_b32_e32 v21, s54
	v_add_co_u32_e32 v20, vcc, s53, v16
	v_addc_co_u32_e32 v21, vcc, v21, v17, vcc
	global_load_dwordx2 v[18:19], v[18:19], off
	s_nop 0
	global_load_dwordx2 v[20:21], v[20:21], off
	v_mov_b32_e32 v30, s51
	v_add_co_u32_e32 v14, vcc, s50, v14
	v_addc_co_u32_e32 v15, vcc, v15, v30, vcc
	v_mov_b32_e32 v29, s43
	v_add_co_u32_e64 v28, s[8:9], s42, v16
	v_cmp_le_i64_e32 vcc, s[22:23], v[14:15]
	v_addc_co_u32_e64 v29, s[8:9], v29, v17, s[8:9]
	v_ashrrev_i32_e32 v17, 31, v14
	v_mov_b32_e32 v16, v14
	s_or_b64 s[40:41], vcc, s[40:41]
	s_waitcnt vmcnt(1)
	v_add_f64 v[18:19], v[18:19], -s[36:37]
	s_waitcnt vmcnt(0)
	v_fma_f64 v[20:21], v[20:21], v[6:7], -v[0:1]
	v_mul_f64 v[18:19], s[38:39], v[18:19]
	v_fma_f64 v[18:19], -v[2:3], v[18:19], v[20:21]
	v_mul_f64 v[18:19], v[12:13], v[18:19]
	global_store_dwordx2 v[28:29], v[18:19], off
	s_andn2_b64 exec, exec, s[40:41]
	s_cbranch_execnz .LBB24_46
	s_branch .LBB24_2
.LBB24_47:
	s_endpgm
	.section	.rodata,"a",@progbits
	.p2align	6, 0x0
	.amdhsa_kernel _ZN2at6native12_GLOBAL__N_118cuComputeGradInputIddLb0EEEvPKT_S5_llPKT0_S8_S5_PS3_
		.amdhsa_group_segment_fixed_size 0
		.amdhsa_private_segment_fixed_size 0
		.amdhsa_kernarg_size 320
		.amdhsa_user_sgpr_count 6
		.amdhsa_user_sgpr_private_segment_buffer 1
		.amdhsa_user_sgpr_dispatch_ptr 0
		.amdhsa_user_sgpr_queue_ptr 0
		.amdhsa_user_sgpr_kernarg_segment_ptr 1
		.amdhsa_user_sgpr_dispatch_id 0
		.amdhsa_user_sgpr_flat_scratch_init 0
		.amdhsa_user_sgpr_kernarg_preload_length 0
		.amdhsa_user_sgpr_kernarg_preload_offset 0
		.amdhsa_user_sgpr_private_segment_size 0
		.amdhsa_uses_dynamic_stack 0
		.amdhsa_system_sgpr_private_segment_wavefront_offset 0
		.amdhsa_system_sgpr_workgroup_id_x 1
		.amdhsa_system_sgpr_workgroup_id_y 1
		.amdhsa_system_sgpr_workgroup_id_z 0
		.amdhsa_system_sgpr_workgroup_info 0
		.amdhsa_system_vgpr_workitem_id 1
		.amdhsa_next_free_vgpr 33
		.amdhsa_next_free_sgpr 55
		.amdhsa_accum_offset 36
		.amdhsa_reserve_vcc 1
		.amdhsa_reserve_flat_scratch 0
		.amdhsa_float_round_mode_32 0
		.amdhsa_float_round_mode_16_64 0
		.amdhsa_float_denorm_mode_32 3
		.amdhsa_float_denorm_mode_16_64 3
		.amdhsa_dx10_clamp 1
		.amdhsa_ieee_mode 1
		.amdhsa_fp16_overflow 0
		.amdhsa_tg_split 0
		.amdhsa_exception_fp_ieee_invalid_op 0
		.amdhsa_exception_fp_denorm_src 0
		.amdhsa_exception_fp_ieee_div_zero 0
		.amdhsa_exception_fp_ieee_overflow 0
		.amdhsa_exception_fp_ieee_underflow 0
		.amdhsa_exception_fp_ieee_inexact 0
		.amdhsa_exception_int_div_zero 0
	.end_amdhsa_kernel
	.section	.text._ZN2at6native12_GLOBAL__N_118cuComputeGradInputIddLb0EEEvPKT_S5_llPKT0_S8_S5_PS3_,"axG",@progbits,_ZN2at6native12_GLOBAL__N_118cuComputeGradInputIddLb0EEEvPKT_S5_llPKT0_S8_S5_PS3_,comdat
.Lfunc_end24:
	.size	_ZN2at6native12_GLOBAL__N_118cuComputeGradInputIddLb0EEEvPKT_S5_llPKT0_S8_S5_PS3_, .Lfunc_end24-_ZN2at6native12_GLOBAL__N_118cuComputeGradInputIddLb0EEEvPKT_S5_llPKT0_S8_S5_PS3_
                                        ; -- End function
	.section	.AMDGPU.csdata,"",@progbits
; Kernel info:
; codeLenInByte = 1828
; NumSgprs: 59
; NumVgprs: 33
; NumAgprs: 0
; TotalNumVgprs: 33
; ScratchSize: 0
; MemoryBound: 0
; FloatMode: 240
; IeeeMode: 1
; LDSByteSize: 0 bytes/workgroup (compile time only)
; SGPRBlocks: 7
; VGPRBlocks: 4
; NumSGPRsForWavesPerEU: 59
; NumVGPRsForWavesPerEU: 33
; AccumOffset: 36
; Occupancy: 8
; WaveLimiterHint : 0
; COMPUTE_PGM_RSRC2:SCRATCH_EN: 0
; COMPUTE_PGM_RSRC2:USER_SGPR: 6
; COMPUTE_PGM_RSRC2:TRAP_HANDLER: 0
; COMPUTE_PGM_RSRC2:TGID_X_EN: 1
; COMPUTE_PGM_RSRC2:TGID_Y_EN: 1
; COMPUTE_PGM_RSRC2:TGID_Z_EN: 0
; COMPUTE_PGM_RSRC2:TIDIG_COMP_CNT: 1
; COMPUTE_PGM_RSRC3_GFX90A:ACCUM_OFFSET: 8
; COMPUTE_PGM_RSRC3_GFX90A:TG_SPLIT: 0
	.section	.text._ZN2at6native12_GLOBAL__N_128layer_norm_grad_input_kernelIddLb0EEEvPKT_S5_PKT0_S8_S5_PS3_i,"axG",@progbits,_ZN2at6native12_GLOBAL__N_128layer_norm_grad_input_kernelIddLb0EEEvPKT_S5_PKT0_S8_S5_PS3_i,comdat
	.globl	_ZN2at6native12_GLOBAL__N_128layer_norm_grad_input_kernelIddLb0EEEvPKT_S5_PKT0_S8_S5_PS3_i ; -- Begin function _ZN2at6native12_GLOBAL__N_128layer_norm_grad_input_kernelIddLb0EEEvPKT_S5_PKT0_S8_S5_PS3_i
	.p2align	8
	.type	_ZN2at6native12_GLOBAL__N_128layer_norm_grad_input_kernelIddLb0EEEvPKT_S5_PKT0_S8_S5_PS3_i,@function
_ZN2at6native12_GLOBAL__N_128layer_norm_grad_input_kernelIddLb0EEEvPKT_S5_PKT0_S8_S5_PS3_i: ; @_ZN2at6native12_GLOBAL__N_128layer_norm_grad_input_kernelIddLb0EEEvPKT_S5_PKT0_S8_S5_PS3_i
; %bb.0:
	s_load_dword s22, s[4:5], 0x30
	s_load_dwordx2 s[16:17], s[4:5], 0x20
	s_load_dwordx8 s[8:15], s[4:5], 0x0
	s_mov_b32 s7, 0
	s_lshl_b64 s[2:3], s[6:7], 3
	s_waitcnt lgkmcnt(0)
	s_ashr_i32 s0, s22, 31
	s_mul_hi_u32 s1, s22, s6
	s_mul_i32 s0, s0, s6
	s_add_i32 s1, s1, s0
	s_mul_i32 s0, s22, s6
	s_add_u32 s6, s12, s2
	s_addc_u32 s7, s13, s3
	s_add_u32 s2, s14, s2
	s_addc_u32 s3, s15, s3
	s_load_dwordx2 s[6:7], s[6:7], 0x0
	s_lshl_b64 s[14:15], s[0:1], 3
	s_load_dwordx2 s[12:13], s[2:3], 0x0
	s_add_u32 s23, s10, s14
	v_lshlrev_b32_e32 v6, 2, v0
	s_addc_u32 s25, s11, s15
	s_add_u32 s24, s8, s14
	v_or_b32_e32 v1, 3, v6
	v_pk_mov_b32 v[4:5], 0, 0
	s_addc_u32 s26, s9, s15
	v_cmp_gt_u32_e32 vcc, s22, v1
	s_mov_b64 s[18:19], 0
	v_pk_mov_b32 v[2:3], v[4:5], v[4:5] op_sel:[0,1]
	s_and_saveexec_b64 s[2:3], vcc
	s_cbranch_execz .LBB25_12
; %bb.1:
	s_load_dword s0, s[4:5], 0x44
	s_cmp_lg_u64 s[16:17], 0
	s_cselect_b64 s[20:21], -1, 0
	v_pk_mov_b32 v[4:5], 0, 0
	v_cndmask_b32_e64 v2, 0, 1, s[20:21]
	s_waitcnt lgkmcnt(0)
	s_and_b32 s0, s0, 0xffff
	s_lshl_b32 s27, s0, 2
	s_add_u32 s28, s16, 8
	s_addc_u32 s29, s17, 0
	s_add_u32 s30, s16, 16
	s_addc_u32 s31, s17, 0
	s_add_u32 s33, s16, 24
	v_mov_b32_e32 v7, 0
	s_addc_u32 s34, s17, 0
	v_mov_b32_e32 v1, s25
	v_mov_b32_e32 v34, s26
	v_cmp_ne_u32_e64 s[0:1], 1, v2
	v_pk_mov_b32 v[2:3], v[4:5], v[4:5] op_sel:[0,1]
	s_branch .LBB25_3
.LBB25_2:                               ;   in Loop: Header=BB25_3 Depth=1
	global_load_dwordx2 v[26:27], v[16:17], off offset:24
	global_load_dwordx2 v[36:37], v[12:13], off offset:24
	s_waitcnt vmcnt(6)
	v_mul_f64 v[12:13], v[10:11], v[18:19]
	v_fmac_f64_e32 v[4:5], v[10:11], v[18:19]
	v_add_f64 v[10:11], v[14:15], -s[6:7]
	s_waitcnt vmcnt(4)
	v_mul_f64 v[14:15], v[8:9], v[22:23]
	v_add_f64 v[16:17], v[28:29], -s[6:7]
	v_mul_f64 v[10:11], v[10:11], v[12:13]
	s_waitcnt vmcnt(2)
	v_mul_f64 v[18:19], v[24:25], v[30:31]
	v_add_f64 v[28:29], v[32:33], -s[6:7]
	v_add_u32_e32 v6, s27, v6
	v_fmac_f64_e32 v[4:5], v[8:9], v[22:23]
	v_mul_f64 v[8:9], v[16:17], v[14:15]
	v_fmac_f64_e32 v[2:3], s[12:13], v[10:11]
	v_mul_f64 v[12:13], v[28:29], v[18:19]
	v_add_u32_e32 v14, 3, v6
	v_fmac_f64_e32 v[2:3], s[12:13], v[8:9]
	v_fmac_f64_e32 v[4:5], v[24:25], v[30:31]
	v_cmp_le_u32_e32 vcc, s22, v14
	v_fmac_f64_e32 v[2:3], s[12:13], v[12:13]
	s_or_b64 s[18:19], vcc, s[18:19]
	s_waitcnt vmcnt(1)
	v_mul_f64 v[8:9], v[20:21], v[26:27]
	s_waitcnt vmcnt(0)
	v_add_f64 v[10:11], v[36:37], -s[6:7]
	v_mul_f64 v[8:9], v[10:11], v[8:9]
	v_fmac_f64_e32 v[4:5], v[20:21], v[26:27]
	v_fmac_f64_e32 v[2:3], s[12:13], v[8:9]
	s_andn2_b64 exec, exec, s[18:19]
	s_cbranch_execz .LBB25_11
.LBB25_3:                               ; =>This Inner Loop Header: Depth=1
	v_mov_b32_e32 v8, 0
	v_mov_b32_e32 v9, 0x3ff00000
	s_and_b64 vcc, exec, s[20:21]
	v_lshlrev_b64 v[26:27], 3, v[6:7]
	v_pk_mov_b32 v[10:11], v[8:9], v[8:9] op_sel:[0,1]
	s_cbranch_vccz .LBB25_5
; %bb.4:                                ;   in Loop: Header=BB25_3 Depth=1
	v_mov_b32_e32 v11, s17
	v_add_co_u32_e32 v10, vcc, s16, v26
	v_addc_co_u32_e32 v11, vcc, v11, v27, vcc
	global_load_dwordx2 v[10:11], v[10:11], off
.LBB25_5:                               ;   in Loop: Header=BB25_3 Depth=1
	v_add_co_u32_e32 v12, vcc, s23, v26
	v_addc_co_u32_e32 v13, vcc, v1, v27, vcc
	v_add_co_u32_e32 v16, vcc, s24, v26
	v_addc_co_u32_e32 v17, vcc, v34, v27, vcc
	global_load_dwordx2 v[14:15], v[12:13], off
	global_load_dwordx2 v[18:19], v[16:17], off
	s_and_b64 vcc, exec, s[0:1]
	s_cbranch_vccnz .LBB25_7
; %bb.6:                                ;   in Loop: Header=BB25_3 Depth=1
	v_mov_b32_e32 v9, s29
	v_add_co_u32_e32 v8, vcc, s28, v26
	v_addc_co_u32_e32 v9, vcc, v9, v27, vcc
	global_load_dwordx2 v[8:9], v[8:9], off
.LBB25_7:                               ;   in Loop: Header=BB25_3 Depth=1
	s_nop 0
	global_load_dwordx2 v[28:29], v[12:13], off offset:8
	global_load_dwordx2 v[22:23], v[16:17], off offset:8
	v_mov_b32_e32 v20, 0
	v_mov_b32_e32 v21, 0x3ff00000
	s_and_b64 vcc, exec, s[0:1]
	v_pk_mov_b32 v[24:25], v[20:21], v[20:21] op_sel:[0,1]
	s_cbranch_vccnz .LBB25_9
; %bb.8:                                ;   in Loop: Header=BB25_3 Depth=1
	v_mov_b32_e32 v25, s31
	v_add_co_u32_e32 v24, vcc, s30, v26
	v_addc_co_u32_e32 v25, vcc, v25, v27, vcc
	global_load_dwordx2 v[24:25], v[24:25], off
.LBB25_9:                               ;   in Loop: Header=BB25_3 Depth=1
	s_nop 0
	global_load_dwordx2 v[32:33], v[12:13], off offset:16
	global_load_dwordx2 v[30:31], v[16:17], off offset:16
	s_and_b64 vcc, exec, s[0:1]
	s_cbranch_vccnz .LBB25_2
; %bb.10:                               ;   in Loop: Header=BB25_3 Depth=1
	v_mov_b32_e32 v21, s34
	v_add_co_u32_e32 v20, vcc, s33, v26
	v_addc_co_u32_e32 v21, vcc, v21, v27, vcc
	global_load_dwordx2 v[20:21], v[20:21], off
	s_branch .LBB25_2
.LBB25_11:
	s_or_b64 exec, exec, s[18:19]
.LBB25_12:
	s_or_b64 exec, exec, s[2:3]
	v_cmp_gt_u32_e32 vcc, s22, v6
	s_and_saveexec_b64 s[2:3], vcc
	s_cbranch_execz .LBB25_19
; %bb.13:
	v_mov_b32_e32 v7, 0
	v_lshlrev_b64 v[10:11], 3, v[6:7]
	v_mov_b32_e32 v1, s17
	v_add_co_u32_e32 v8, vcc, s16, v10
	v_addc_co_u32_e32 v9, vcc, v1, v11, vcc
	v_mov_b32_e32 v1, s15
	v_add_co_u32_e32 v7, vcc, s14, v10
	v_addc_co_u32_e32 v1, vcc, v1, v11, vcc
	v_mov_b32_e32 v11, s11
	v_add_co_u32_e32 v10, vcc, s10, v7
	s_cmp_lg_u64 s[16:17], 0
	v_addc_co_u32_e32 v11, vcc, v11, v1, vcc
	v_mov_b32_e32 v13, s9
	v_add_co_u32_e32 v12, vcc, s8, v7
	s_cselect_b64 s[0:1], -1, 0
	v_addc_co_u32_e32 v13, vcc, v13, v1, vcc
	v_cndmask_b32_e64 v1, 0, 1, s[0:1]
	s_mov_b64 s[18:19], 0
	v_cmp_ne_u32_e64 s[0:1], 1, v1
	s_branch .LBB25_16
.LBB25_14:                              ;   in Loop: Header=BB25_16 Depth=1
	global_load_dwordx2 v[14:15], v[8:9], off
.LBB25_15:                              ;   in Loop: Header=BB25_16 Depth=1
	global_load_dwordx2 v[16:17], v[12:13], off
	global_load_dwordx2 v[18:19], v[10:11], off
	v_add_co_u32_e32 v8, vcc, 8, v8
	v_addc_co_u32_e32 v9, vcc, 0, v9, vcc
	v_add_co_u32_e32 v10, vcc, 8, v10
	v_add_u32_e32 v6, 1, v6
	v_addc_co_u32_e32 v11, vcc, 0, v11, vcc
	v_cmp_le_u32_e32 vcc, s22, v6
	s_or_b64 s[18:19], vcc, s[18:19]
	v_add_co_u32_e32 v12, vcc, 8, v12
	v_addc_co_u32_e32 v13, vcc, 0, v13, vcc
	s_waitcnt vmcnt(1)
	v_mul_f64 v[20:21], v[14:15], v[16:17]
	v_fmac_f64_e32 v[4:5], v[14:15], v[16:17]
	s_waitcnt vmcnt(0) lgkmcnt(0)
	v_add_f64 v[14:15], v[18:19], -s[6:7]
	v_mul_f64 v[14:15], v[14:15], v[20:21]
	v_fmac_f64_e32 v[2:3], s[12:13], v[14:15]
	s_andn2_b64 exec, exec, s[18:19]
	s_cbranch_execz .LBB25_18
.LBB25_16:                              ; =>This Inner Loop Header: Depth=1
	s_and_b64 vcc, exec, s[0:1]
	s_cbranch_vccz .LBB25_14
; %bb.17:                               ;   in Loop: Header=BB25_16 Depth=1
	v_mov_b32_e32 v14, 0
	v_mov_b32_e32 v15, 0x3ff00000
	s_branch .LBB25_15
.LBB25_18:
	s_or_b64 exec, exec, s[18:19]
.LBB25_19:
	s_or_b64 exec, exec, s[2:3]
	v_mbcnt_lo_u32_b32 v1, -1, 0
	v_mbcnt_hi_u32_b32 v12, -1, v1
	v_and_b32_e32 v13, 63, v12
	v_cmp_gt_u32_e32 vcc, 32, v13
	v_cndmask_b32_e64 v1, 0, 1, vcc
	v_lshlrev_b32_e32 v1, 5, v1
	v_add_lshl_u32 v1, v1, v12, 2
	ds_bpermute_b32 v6, v1, v4
	ds_bpermute_b32 v7, v1, v5
	v_cmp_gt_u32_e32 vcc, 48, v13
	v_cndmask_b32_e64 v8, 0, 1, vcc
	v_cmp_gt_u32_e32 vcc, 56, v13
	v_and_b32_e32 v14, 63, v0
	s_waitcnt lgkmcnt(0)
	v_add_f64 v[4:5], v[4:5], v[6:7]
	v_lshlrev_b32_e32 v6, 4, v8
	v_add_lshl_u32 v8, v6, v12, 2
	ds_bpermute_b32 v6, v8, v4
	ds_bpermute_b32 v7, v8, v5
	s_waitcnt lgkmcnt(0)
	s_barrier
	v_add_f64 v[4:5], v[4:5], v[6:7]
	v_cndmask_b32_e64 v6, 0, 1, vcc
	v_lshlrev_b32_e32 v6, 3, v6
	v_add_lshl_u32 v9, v6, v12, 2
	ds_bpermute_b32 v6, v9, v4
	ds_bpermute_b32 v7, v9, v5
	v_cmp_gt_u32_e32 vcc, 60, v13
	s_waitcnt lgkmcnt(0)
	v_add_f64 v[4:5], v[4:5], v[6:7]
	v_cndmask_b32_e64 v6, 0, 1, vcc
	v_lshlrev_b32_e32 v6, 2, v6
	v_add_lshl_u32 v10, v6, v12, 2
	ds_bpermute_b32 v6, v10, v4
	ds_bpermute_b32 v7, v10, v5
	v_cmp_gt_u32_e32 vcc, 62, v13
	s_waitcnt lgkmcnt(0)
	v_add_f64 v[4:5], v[4:5], v[6:7]
	v_cndmask_b32_e64 v6, 0, 1, vcc
	v_lshlrev_b32_e32 v6, 1, v6
	v_add_lshl_u32 v11, v6, v12, 2
	ds_bpermute_b32 v6, v11, v4
	ds_bpermute_b32 v7, v11, v5
	v_cmp_ne_u32_e32 vcc, 63, v13
	v_lshrrev_b32_e32 v13, 3, v0
	s_waitcnt lgkmcnt(0)
	v_add_f64 v[4:5], v[4:5], v[6:7]
	v_addc_co_u32_e32 v6, vcc, 0, v12, vcc
	v_lshlrev_b32_e32 v12, 2, v6
	ds_bpermute_b32 v6, v12, v4
	ds_bpermute_b32 v7, v12, v5
	v_cmp_eq_u32_e32 vcc, 0, v14
	s_and_saveexec_b64 s[0:1], vcc
	s_cbranch_execz .LBB25_21
; %bb.20:
	v_add_u32_e32 v15, 0, v13
	s_waitcnt lgkmcnt(0)
	v_add_f64 v[4:5], v[4:5], v[6:7]
	ds_write_b64 v15, v[4:5]
.LBB25_21:
	s_or_b64 exec, exec, s[0:1]
	s_waitcnt lgkmcnt(0)
	s_barrier
	s_load_dword s10, s[4:5], 0x44
	v_pk_mov_b32 v[4:5], 0, 0
	v_lshl_add_u32 v14, v14, 3, 0
	s_waitcnt lgkmcnt(0)
	s_bfe_u32 s0, s10, 0xa0006
	v_cmp_gt_u32_e64 s[0:1], s0, v0
	s_and_saveexec_b64 s[2:3], s[0:1]
	s_cbranch_execz .LBB25_23
; %bb.22:
	ds_read_b64 v[4:5], v14
.LBB25_23:
	s_or_b64 exec, exec, s[2:3]
	v_cmp_gt_u32_e64 s[2:3], 64, v0
	s_and_saveexec_b64 s[8:9], s[2:3]
	s_cbranch_execz .LBB25_25
; %bb.24:
	s_waitcnt lgkmcnt(0)
	ds_bpermute_b32 v6, v1, v4
	ds_bpermute_b32 v7, v1, v5
	s_waitcnt lgkmcnt(0)
	v_add_f64 v[4:5], v[4:5], v[6:7]
	ds_bpermute_b32 v6, v8, v4
	ds_bpermute_b32 v7, v8, v5
	s_waitcnt lgkmcnt(0)
	v_add_f64 v[4:5], v[4:5], v[6:7]
	;; [unrolled: 4-line block ×6, first 2 shown]
.LBB25_25:
	s_or_b64 exec, exec, s[8:9]
	ds_bpermute_b32 v6, v1, v2
	ds_bpermute_b32 v7, v1, v3
	s_waitcnt lgkmcnt(0)
	s_barrier
	v_add_f64 v[2:3], v[2:3], v[6:7]
	ds_bpermute_b32 v6, v8, v2
	ds_bpermute_b32 v7, v8, v3
	s_waitcnt lgkmcnt(0)
	v_add_f64 v[2:3], v[2:3], v[6:7]
	ds_bpermute_b32 v6, v9, v2
	ds_bpermute_b32 v7, v9, v3
	s_waitcnt lgkmcnt(0)
	;; [unrolled: 4-line block ×4, first 2 shown]
	v_add_f64 v[2:3], v[2:3], v[6:7]
	ds_bpermute_b32 v6, v12, v2
	ds_bpermute_b32 v7, v12, v3
	s_and_saveexec_b64 s[8:9], vcc
	s_cbranch_execz .LBB25_27
; %bb.26:
	v_add_u32_e32 v13, 0, v13
	s_waitcnt lgkmcnt(0)
	v_add_f64 v[2:3], v[2:3], v[6:7]
	ds_write_b64 v13, v[2:3]
.LBB25_27:
	s_or_b64 exec, exec, s[8:9]
	v_pk_mov_b32 v[2:3], 0, 0
	s_waitcnt lgkmcnt(0)
	s_barrier
	s_and_saveexec_b64 s[8:9], s[0:1]
	s_cbranch_execnz .LBB25_38
; %bb.28:
	s_or_b64 exec, exec, s[8:9]
	s_and_saveexec_b64 s[0:1], s[2:3]
	s_cbranch_execnz .LBB25_39
.LBB25_29:
	s_or_b64 exec, exec, s[0:1]
	v_cmp_eq_u32_e32 vcc, 0, v0
	s_and_saveexec_b64 s[0:1], vcc
	s_cbranch_execz .LBB25_31
.LBB25_30:
	v_mov_b32_e32 v1, 0
	s_waitcnt lgkmcnt(0)
	ds_write2_b64 v1, v[4:5], v[2:3] offset1:1
.LBB25_31:
	s_or_b64 exec, exec, s[0:1]
	v_cmp_gt_i32_e32 vcc, s22, v0
	s_waitcnt lgkmcnt(0)
	s_barrier
	s_and_saveexec_b64 s[0:1], vcc
	s_cbranch_execz .LBB25_37
; %bb.32:
	v_cvt_f64_i32_e32 v[6:7], s22
	v_div_scale_f64 v[8:9], s[0:1], v[6:7], v[6:7], 1.0
	v_rcp_f64_e32 v[10:11], v[8:9]
	s_load_dwordx2 s[0:1], s[4:5], 0x28
	s_and_b32 s8, s10, 0xffff
	v_mov_b32_e32 v1, 0
	v_fma_f64 v[12:13], -v[8:9], v[10:11], 1.0
	v_fmac_f64_e32 v[10:11], v[10:11], v[12:13]
	v_fma_f64 v[12:13], -v[8:9], v[10:11], 1.0
	v_fmac_f64_e32 v[10:11], v[10:11], v[12:13]
	v_div_scale_f64 v[12:13], vcc, 1.0, v[6:7], 1.0
	s_waitcnt lgkmcnt(0)
	s_add_u32 s4, s0, s14
	ds_read2_b64 v[2:5], v1 offset1:1
	v_mul_f64 v[14:15], v[12:13], v[10:11]
	s_addc_u32 s5, s1, s15
	v_fma_f64 v[8:9], -v[8:9], v[14:15], v[12:13]
	s_cmp_lg_u64 s[16:17], 0
	v_div_fmas_f64 v[8:9], v[8:9], v[10:11], v[14:15]
	s_cselect_b64 s[0:1], -1, 0
	v_div_fixup_f64 v[8:9], v[8:9], v[6:7], 1.0
	v_cndmask_b32_e64 v1, 0, 1, s[0:1]
	v_mul_f64 v[8:9], v[8:9], s[12:13]
	s_mov_b64 s[2:3], 0
	v_mov_b32_e32 v18, s25
	v_mov_b32_e32 v19, s26
	v_cmp_ne_u32_e64 s[0:1], 1, v1
	v_mov_b32_e32 v20, s5
	s_branch .LBB25_35
.LBB25_33:                              ;   in Loop: Header=BB25_35 Depth=1
	v_mov_b32_e32 v1, s17
	v_add_co_u32_e32 v16, vcc, s16, v10
	v_addc_co_u32_e32 v17, vcc, v1, v11, vcc
	global_load_dwordx2 v[16:17], v[16:17], off
.LBB25_34:                              ;   in Loop: Header=BB25_35 Depth=1
	s_waitcnt vmcnt(1)
	v_add_f64 v[12:13], v[12:13], -s[6:7]
	v_mul_f64 v[12:13], s[12:13], v[12:13]
	s_waitcnt vmcnt(0)
	v_mul_f64 v[16:17], v[16:17], v[6:7]
	s_waitcnt lgkmcnt(0)
	v_mul_f64 v[12:13], v[4:5], v[12:13]
	v_add_co_u32_e32 v10, vcc, s4, v10
	v_fma_f64 v[12:13], v[14:15], v[16:17], -v[12:13]
	v_addc_co_u32_e32 v11, vcc, v20, v11, vcc
	v_add_u32_e32 v0, s8, v0
	v_add_f64 v[12:13], v[12:13], -v[2:3]
	v_cmp_le_i32_e32 vcc, s22, v0
	v_mul_f64 v[12:13], v[8:9], v[12:13]
	s_or_b64 s[2:3], vcc, s[2:3]
	global_store_dwordx2 v[10:11], v[12:13], off
	s_andn2_b64 exec, exec, s[2:3]
	s_cbranch_execz .LBB25_37
.LBB25_35:                              ; =>This Inner Loop Header: Depth=1
	v_ashrrev_i32_e32 v1, 31, v0
	v_lshlrev_b64 v[10:11], 3, v[0:1]
	v_add_co_u32_e32 v12, vcc, s23, v10
	v_addc_co_u32_e32 v13, vcc, v18, v11, vcc
	v_add_co_u32_e32 v14, vcc, s24, v10
	v_addc_co_u32_e32 v15, vcc, v19, v11, vcc
	global_load_dwordx2 v[12:13], v[12:13], off
	s_and_b64 vcc, exec, s[0:1]
	global_load_dwordx2 v[14:15], v[14:15], off
	s_cbranch_vccz .LBB25_33
; %bb.36:                               ;   in Loop: Header=BB25_35 Depth=1
	v_mov_b32_e32 v16, 0
	v_mov_b32_e32 v17, 0x3ff00000
	s_branch .LBB25_34
.LBB25_37:
	s_endpgm
.LBB25_38:
	ds_read_b64 v[2:3], v14
	s_or_b64 exec, exec, s[8:9]
	s_and_saveexec_b64 s[0:1], s[2:3]
	s_cbranch_execz .LBB25_29
.LBB25_39:
	s_waitcnt lgkmcnt(0)
	ds_bpermute_b32 v6, v1, v2
	ds_bpermute_b32 v7, v1, v3
	s_waitcnt lgkmcnt(0)
	v_add_f64 v[2:3], v[2:3], v[6:7]
	ds_bpermute_b32 v6, v8, v2
	ds_bpermute_b32 v7, v8, v3
	s_waitcnt lgkmcnt(0)
	v_add_f64 v[2:3], v[2:3], v[6:7]
	;; [unrolled: 4-line block ×6, first 2 shown]
	s_or_b64 exec, exec, s[0:1]
	v_cmp_eq_u32_e32 vcc, 0, v0
	s_and_saveexec_b64 s[0:1], vcc
	s_cbranch_execnz .LBB25_30
	s_branch .LBB25_31
	.section	.rodata,"a",@progbits
	.p2align	6, 0x0
	.amdhsa_kernel _ZN2at6native12_GLOBAL__N_128layer_norm_grad_input_kernelIddLb0EEEvPKT_S5_PKT0_S8_S5_PS3_i
		.amdhsa_group_segment_fixed_size 0
		.amdhsa_private_segment_fixed_size 0
		.amdhsa_kernarg_size 312
		.amdhsa_user_sgpr_count 6
		.amdhsa_user_sgpr_private_segment_buffer 1
		.amdhsa_user_sgpr_dispatch_ptr 0
		.amdhsa_user_sgpr_queue_ptr 0
		.amdhsa_user_sgpr_kernarg_segment_ptr 1
		.amdhsa_user_sgpr_dispatch_id 0
		.amdhsa_user_sgpr_flat_scratch_init 0
		.amdhsa_user_sgpr_kernarg_preload_length 0
		.amdhsa_user_sgpr_kernarg_preload_offset 0
		.amdhsa_user_sgpr_private_segment_size 0
		.amdhsa_uses_dynamic_stack 0
		.amdhsa_system_sgpr_private_segment_wavefront_offset 0
		.amdhsa_system_sgpr_workgroup_id_x 1
		.amdhsa_system_sgpr_workgroup_id_y 0
		.amdhsa_system_sgpr_workgroup_id_z 0
		.amdhsa_system_sgpr_workgroup_info 0
		.amdhsa_system_vgpr_workitem_id 0
		.amdhsa_next_free_vgpr 38
		.amdhsa_next_free_sgpr 35
		.amdhsa_accum_offset 40
		.amdhsa_reserve_vcc 1
		.amdhsa_reserve_flat_scratch 0
		.amdhsa_float_round_mode_32 0
		.amdhsa_float_round_mode_16_64 0
		.amdhsa_float_denorm_mode_32 3
		.amdhsa_float_denorm_mode_16_64 3
		.amdhsa_dx10_clamp 1
		.amdhsa_ieee_mode 1
		.amdhsa_fp16_overflow 0
		.amdhsa_tg_split 0
		.amdhsa_exception_fp_ieee_invalid_op 0
		.amdhsa_exception_fp_denorm_src 0
		.amdhsa_exception_fp_ieee_div_zero 0
		.amdhsa_exception_fp_ieee_overflow 0
		.amdhsa_exception_fp_ieee_underflow 0
		.amdhsa_exception_fp_ieee_inexact 0
		.amdhsa_exception_int_div_zero 0
	.end_amdhsa_kernel
	.section	.text._ZN2at6native12_GLOBAL__N_128layer_norm_grad_input_kernelIddLb0EEEvPKT_S5_PKT0_S8_S5_PS3_i,"axG",@progbits,_ZN2at6native12_GLOBAL__N_128layer_norm_grad_input_kernelIddLb0EEEvPKT_S5_PKT0_S8_S5_PS3_i,comdat
.Lfunc_end25:
	.size	_ZN2at6native12_GLOBAL__N_128layer_norm_grad_input_kernelIddLb0EEEvPKT_S5_PKT0_S8_S5_PS3_i, .Lfunc_end25-_ZN2at6native12_GLOBAL__N_128layer_norm_grad_input_kernelIddLb0EEEvPKT_S5_PKT0_S8_S5_PS3_i
                                        ; -- End function
	.section	.AMDGPU.csdata,"",@progbits
; Kernel info:
; codeLenInByte = 2420
; NumSgprs: 39
; NumVgprs: 38
; NumAgprs: 0
; TotalNumVgprs: 38
; ScratchSize: 0
; MemoryBound: 0
; FloatMode: 240
; IeeeMode: 1
; LDSByteSize: 0 bytes/workgroup (compile time only)
; SGPRBlocks: 4
; VGPRBlocks: 4
; NumSGPRsForWavesPerEU: 39
; NumVGPRsForWavesPerEU: 38
; AccumOffset: 40
; Occupancy: 8
; WaveLimiterHint : 0
; COMPUTE_PGM_RSRC2:SCRATCH_EN: 0
; COMPUTE_PGM_RSRC2:USER_SGPR: 6
; COMPUTE_PGM_RSRC2:TRAP_HANDLER: 0
; COMPUTE_PGM_RSRC2:TGID_X_EN: 1
; COMPUTE_PGM_RSRC2:TGID_Y_EN: 0
; COMPUTE_PGM_RSRC2:TGID_Z_EN: 0
; COMPUTE_PGM_RSRC2:TIDIG_COMP_CNT: 0
; COMPUTE_PGM_RSRC3_GFX90A:ACCUM_OFFSET: 9
; COMPUTE_PGM_RSRC3_GFX90A:TG_SPLIT: 0
	.section	.text._ZN2at6native12_GLOBAL__N_133GammaBetaBackwardSimpleCUDAKernelIddLb0EEEvllPKT_S5_PKT0_S8_PS3_S9_,"axG",@progbits,_ZN2at6native12_GLOBAL__N_133GammaBetaBackwardSimpleCUDAKernelIddLb0EEEvllPKT_S5_PKT0_S8_PS3_S9_,comdat
	.globl	_ZN2at6native12_GLOBAL__N_133GammaBetaBackwardSimpleCUDAKernelIddLb0EEEvllPKT_S5_PKT0_S8_PS3_S9_ ; -- Begin function _ZN2at6native12_GLOBAL__N_133GammaBetaBackwardSimpleCUDAKernelIddLb0EEEvllPKT_S5_PKT0_S8_PS3_S9_
	.p2align	8
	.type	_ZN2at6native12_GLOBAL__N_133GammaBetaBackwardSimpleCUDAKernelIddLb0EEEvllPKT_S5_PKT0_S8_PS3_S9_,@function
_ZN2at6native12_GLOBAL__N_133GammaBetaBackwardSimpleCUDAKernelIddLb0EEEvllPKT_S5_PKT0_S8_PS3_S9_: ; @_ZN2at6native12_GLOBAL__N_133GammaBetaBackwardSimpleCUDAKernelIddLb0EEEvllPKT_S5_PKT0_S8_PS3_S9_
; %bb.0:
	s_load_dword s0, s[4:5], 0x4c
	s_load_dwordx16 s[8:23], s[4:5], 0x0
	v_mov_b32_e32 v1, 0
	v_mov_b32_e32 v2, s6
	s_waitcnt lgkmcnt(0)
	s_and_b32 s0, s0, 0xffff
	v_mad_u64_u32 v[0:1], s[0:1], s0, v2, v[0:1]
	v_cmp_gt_i64_e32 vcc, s[10:11], v[0:1]
	s_and_saveexec_b64 s[0:1], vcc
	s_cbranch_execz .LBB26_12
; %bb.1:
	v_cmp_lt_i64_e64 s[0:1], s[8:9], 1
	v_pk_mov_b32 v[4:5], 0, 0
	s_and_b64 vcc, exec, s[0:1]
	v_lshlrev_b64 v[0:1], 3, v[0:1]
	v_pk_mov_b32 v[2:3], v[4:5], v[4:5] op_sel:[0,1]
	s_cbranch_vccnz .LBB26_8
; %bb.2:
	s_cmp_lg_u64 s[20:21], 0
	s_cselect_b64 s[0:1], -1, 0
	s_cmp_lg_u64 s[22:23], 0
	s_cselect_b64 s[2:3], -1, 0
	v_cndmask_b32_e64 v2, 0, 1, s[0:1]
	s_lshl_b64 s[4:5], s[10:11], 3
	v_pk_mov_b32 v[6:7], 0, 0
	v_cmp_ne_u32_e64 s[0:1], 1, v2
	v_cndmask_b32_e64 v2, 0, 1, s[2:3]
	v_cmp_ne_u32_e64 s[2:3], 1, v2
	v_mov_b32_e32 v14, s5
	v_pk_mov_b32 v[8:9], v[0:1], v[0:1] op_sel:[0,1]
	v_pk_mov_b32 v[4:5], v[6:7], v[6:7] op_sel:[0,1]
	v_pk_mov_b32 v[2:3], v[6:7], v[6:7] op_sel:[0,1]
	s_branch .LBB26_4
.LBB26_3:                               ;   in Loop: Header=BB26_4 Depth=1
	s_add_u32 s8, s8, -1
	s_addc_u32 s9, s9, -1
	s_add_u32 s18, s18, 8
	s_addc_u32 s19, s19, 0
	s_add_u32 s16, s16, 8
	s_addc_u32 s17, s17, 0
	v_add_co_u32_e32 v8, vcc, s4, v8
	v_add_f64 v[4:5], v[4:5], v[10:11]
	s_waitcnt vmcnt(0)
	v_add_f64 v[2:3], v[2:3], v[12:13]
	s_cmp_eq_u64 s[8:9], 0
	v_addc_co_u32_e32 v9, vcc, v9, v14, vcc
	s_cbranch_scc1 .LBB26_8
.LBB26_4:                               ; =>This Inner Loop Header: Depth=1
	s_and_b64 vcc, exec, s[0:1]
	v_pk_mov_b32 v[10:11], v[6:7], v[6:7] op_sel:[0,1]
	s_cbranch_vccnz .LBB26_6
; %bb.5:                                ;   in Loop: Header=BB26_4 Depth=1
	v_mov_b32_e32 v11, s13
	v_add_co_u32_e32 v10, vcc, s12, v8
	v_addc_co_u32_e32 v11, vcc, v11, v9, vcc
	v_mov_b32_e32 v13, s15
	v_add_co_u32_e32 v12, vcc, s14, v8
	v_addc_co_u32_e32 v13, vcc, v13, v9, vcc
	global_load_dwordx2 v[16:17], v[12:13], off
	global_load_dwordx2 v[18:19], v[10:11], off
	s_load_dwordx2 s[6:7], s[16:17], 0x0
	s_load_dwordx2 s[10:11], s[18:19], 0x0
	s_waitcnt vmcnt(1) lgkmcnt(0)
	v_add_f64 v[10:11], v[16:17], -s[6:7]
	s_waitcnt vmcnt(0)
	v_mul_f64 v[10:11], v[18:19], v[10:11]
	v_mul_f64 v[10:11], s[10:11], v[10:11]
.LBB26_6:                               ;   in Loop: Header=BB26_4 Depth=1
	s_and_b64 vcc, exec, s[2:3]
	v_pk_mov_b32 v[12:13], v[6:7], v[6:7] op_sel:[0,1]
	s_cbranch_vccnz .LBB26_3
; %bb.7:                                ;   in Loop: Header=BB26_4 Depth=1
	v_mov_b32_e32 v13, s13
	v_add_co_u32_e32 v12, vcc, s12, v8
	v_addc_co_u32_e32 v13, vcc, v13, v9, vcc
	global_load_dwordx2 v[12:13], v[12:13], off
	s_branch .LBB26_3
.LBB26_8:
	s_cmp_lg_u64 s[20:21], 0
	s_cbranch_scc0 .LBB26_10
; %bb.9:
	v_mov_b32_e32 v7, s21
	v_add_co_u32_e32 v6, vcc, s20, v0
	v_addc_co_u32_e32 v7, vcc, v7, v1, vcc
	global_store_dwordx2 v[6:7], v[4:5], off
.LBB26_10:
	s_cmp_eq_u64 s[22:23], 0
	s_cbranch_scc1 .LBB26_12
; %bb.11:
	v_mov_b32_e32 v4, s23
	v_add_co_u32_e32 v0, vcc, s22, v0
	v_addc_co_u32_e32 v1, vcc, v4, v1, vcc
	global_store_dwordx2 v[0:1], v[2:3], off
.LBB26_12:
	s_endpgm
	.section	.rodata,"a",@progbits
	.p2align	6, 0x0
	.amdhsa_kernel _ZN2at6native12_GLOBAL__N_133GammaBetaBackwardSimpleCUDAKernelIddLb0EEEvllPKT_S5_PKT0_S8_PS3_S9_
		.amdhsa_group_segment_fixed_size 0
		.amdhsa_private_segment_fixed_size 0
		.amdhsa_kernarg_size 320
		.amdhsa_user_sgpr_count 6
		.amdhsa_user_sgpr_private_segment_buffer 1
		.amdhsa_user_sgpr_dispatch_ptr 0
		.amdhsa_user_sgpr_queue_ptr 0
		.amdhsa_user_sgpr_kernarg_segment_ptr 1
		.amdhsa_user_sgpr_dispatch_id 0
		.amdhsa_user_sgpr_flat_scratch_init 0
		.amdhsa_user_sgpr_kernarg_preload_length 0
		.amdhsa_user_sgpr_kernarg_preload_offset 0
		.amdhsa_user_sgpr_private_segment_size 0
		.amdhsa_uses_dynamic_stack 0
		.amdhsa_system_sgpr_private_segment_wavefront_offset 0
		.amdhsa_system_sgpr_workgroup_id_x 1
		.amdhsa_system_sgpr_workgroup_id_y 0
		.amdhsa_system_sgpr_workgroup_id_z 0
		.amdhsa_system_sgpr_workgroup_info 0
		.amdhsa_system_vgpr_workitem_id 0
		.amdhsa_next_free_vgpr 20
		.amdhsa_next_free_sgpr 24
		.amdhsa_accum_offset 20
		.amdhsa_reserve_vcc 1
		.amdhsa_reserve_flat_scratch 0
		.amdhsa_float_round_mode_32 0
		.amdhsa_float_round_mode_16_64 0
		.amdhsa_float_denorm_mode_32 3
		.amdhsa_float_denorm_mode_16_64 3
		.amdhsa_dx10_clamp 1
		.amdhsa_ieee_mode 1
		.amdhsa_fp16_overflow 0
		.amdhsa_tg_split 0
		.amdhsa_exception_fp_ieee_invalid_op 0
		.amdhsa_exception_fp_denorm_src 0
		.amdhsa_exception_fp_ieee_div_zero 0
		.amdhsa_exception_fp_ieee_overflow 0
		.amdhsa_exception_fp_ieee_underflow 0
		.amdhsa_exception_fp_ieee_inexact 0
		.amdhsa_exception_int_div_zero 0
	.end_amdhsa_kernel
	.section	.text._ZN2at6native12_GLOBAL__N_133GammaBetaBackwardSimpleCUDAKernelIddLb0EEEvllPKT_S5_PKT0_S8_PS3_S9_,"axG",@progbits,_ZN2at6native12_GLOBAL__N_133GammaBetaBackwardSimpleCUDAKernelIddLb0EEEvllPKT_S5_PKT0_S8_PS3_S9_,comdat
.Lfunc_end26:
	.size	_ZN2at6native12_GLOBAL__N_133GammaBetaBackwardSimpleCUDAKernelIddLb0EEEvllPKT_S5_PKT0_S8_PS3_S9_, .Lfunc_end26-_ZN2at6native12_GLOBAL__N_133GammaBetaBackwardSimpleCUDAKernelIddLb0EEEvllPKT_S5_PKT0_S8_PS3_S9_
                                        ; -- End function
	.section	.AMDGPU.csdata,"",@progbits
; Kernel info:
; codeLenInByte = 452
; NumSgprs: 28
; NumVgprs: 20
; NumAgprs: 0
; TotalNumVgprs: 20
; ScratchSize: 0
; MemoryBound: 1
; FloatMode: 240
; IeeeMode: 1
; LDSByteSize: 0 bytes/workgroup (compile time only)
; SGPRBlocks: 3
; VGPRBlocks: 2
; NumSGPRsForWavesPerEU: 28
; NumVGPRsForWavesPerEU: 20
; AccumOffset: 20
; Occupancy: 8
; WaveLimiterHint : 0
; COMPUTE_PGM_RSRC2:SCRATCH_EN: 0
; COMPUTE_PGM_RSRC2:USER_SGPR: 6
; COMPUTE_PGM_RSRC2:TRAP_HANDLER: 0
; COMPUTE_PGM_RSRC2:TGID_X_EN: 1
; COMPUTE_PGM_RSRC2:TGID_Y_EN: 0
; COMPUTE_PGM_RSRC2:TGID_Z_EN: 0
; COMPUTE_PGM_RSRC2:TIDIG_COMP_CNT: 0
; COMPUTE_PGM_RSRC3_GFX90A:ACCUM_OFFSET: 4
; COMPUTE_PGM_RSRC3_GFX90A:TG_SPLIT: 0
	.section	.text._ZN2at6native12_GLOBAL__N_135GammaBetaBackwardCUDAKernelTemplateIddLj64ELj1ELj32ELb1ELb1ELb0EEEvllPKT_S5_PKT0_S8_PS3_S9_,"axG",@progbits,_ZN2at6native12_GLOBAL__N_135GammaBetaBackwardCUDAKernelTemplateIddLj64ELj1ELj32ELb1ELb1ELb0EEEvllPKT_S5_PKT0_S8_PS3_S9_,comdat
	.globl	_ZN2at6native12_GLOBAL__N_135GammaBetaBackwardCUDAKernelTemplateIddLj64ELj1ELj32ELb1ELb1ELb0EEEvllPKT_S5_PKT0_S8_PS3_S9_ ; -- Begin function _ZN2at6native12_GLOBAL__N_135GammaBetaBackwardCUDAKernelTemplateIddLj64ELj1ELj32ELb1ELb1ELb0EEEvllPKT_S5_PKT0_S8_PS3_S9_
	.p2align	8
	.type	_ZN2at6native12_GLOBAL__N_135GammaBetaBackwardCUDAKernelTemplateIddLj64ELj1ELj32ELb1ELb1ELb0EEEvllPKT_S5_PKT0_S8_PS3_S9_,@function
_ZN2at6native12_GLOBAL__N_135GammaBetaBackwardCUDAKernelTemplateIddLj64ELj1ELj32ELb1ELb1ELb0EEEvllPKT_S5_PKT0_S8_PS3_S9_: ; @_ZN2at6native12_GLOBAL__N_135GammaBetaBackwardCUDAKernelTemplateIddLj64ELj1ELj32ELb1ELb1ELb0EEEvllPKT_S5_PKT0_S8_PS3_S9_
; %bb.0:
	s_load_dwordx4 s[16:19], s[4:5], 0x0
	s_lshl_b32 s24, s7, 5
	s_mov_b32 s25, 0
	s_mov_b32 s2, s7
	v_bfe_u32 v66, v0, 10, 10
	s_waitcnt lgkmcnt(0)
	v_pk_mov_b32 v[2:3], s[16:17], s[16:17] op_sel:[0,1]
	v_cmp_lt_i64_e32 vcc, s[24:25], v[2:3]
	s_cbranch_vccnz .LBB27_2
; %bb.1:
	s_add_u32 s26, s4, 64
	s_addc_u32 s27, s5, 0
	s_mov_b64 s[0:1], 0
	s_mov_b64 s[8:9], 0
	v_bfe_u32 v2, v0, 10, 10
	s_branch .LBB27_3
.LBB27_2:
	s_mov_b64 s[0:1], -1
                                        ; implicit-def: $sgpr8_sgpr9
                                        ; implicit-def: $sgpr26_sgpr27
                                        ; implicit-def: $vgpr2
.LBB27_3:
	s_load_dwordx4 s[20:23], s[4:5], 0x30
	v_and_b32_e32 v67, 0x3ff, v0
	s_andn2_b64 vcc, exec, s[0:1]
	v_pk_mov_b32 v[8:9], s[8:9], s[8:9] op_sel:[0,1]
	v_pk_mov_b32 v[0:1], s[8:9], s[8:9] op_sel:[0,1]
	s_cbranch_vccnz .LBB27_11
; %bb.4:
	s_load_dword s0, s[4:5], 0x4c
	s_load_dword s3, s[4:5], 0x44
	s_load_dwordx8 s[8:15], s[4:5], 0x10
	v_mbcnt_lo_u32_b32 v4, -1, 0
	s_add_u32 s26, s4, 64
	v_mbcnt_hi_u32_b32 v4, -1, v4
	s_addc_u32 s27, s5, 0
	s_waitcnt lgkmcnt(0)
	s_and_b32 s0, s0, 0xffff
	v_lshlrev_b32_e32 v3, 5, v66
	v_lshlrev_b32_e32 v4, 2, v4
	v_mad_u32_u24 v0, v66, s0, v67
	v_and_b32_e32 v68, 0x100, v4
	v_mov_b32_e32 v4, s25
	v_add_co_u32_e32 v6, vcc, s24, v3
	v_and_b32_e32 v2, 63, v0
	v_addc_co_u32_e32 v7, vcc, 0, v4, vcc
	v_cmp_gt_u32_e64 s[0:1], 32, v2
	v_add_co_u32_e32 v2, vcc, v6, v2
	v_addc_co_u32_e32 v3, vcc, 0, v7, vcc
	v_mul_lo_u32 v8, s19, v6
	v_mul_lo_u32 v9, s18, v7
	v_mad_u64_u32 v[6:7], s[30:31], s18, v6, 0
	v_mov_b32_e32 v1, 0
	v_lshl_add_u32 v0, s6, 6, v67
	s_lshl_b32 s4, s3, 5
	v_add3_u32 v7, v7, v9, v8
	v_lshlrev_b64 v[6:7], 3, v[6:7]
	v_lshlrev_b64 v[0:1], 3, v[0:1]
	s_mul_i32 s3, s19, s4
	s_mul_hi_u32 s7, s18, s4
	s_mov_b32 s5, 0
	v_add_co_u32_e32 v6, vcc, v6, v0
	s_add_i32 s31, s7, s3
	s_mul_i32 s30, s18, s4
	v_pk_mov_b32 v[10:11], 0, 0
	v_or_b32_e32 v69, 4, v68
	v_or_b32_e32 v70, 8, v68
	v_or_b32_e32 v71, 12, v68
	v_or_b32_e32 v72, 16, v68
	v_or_b32_e32 v73, 20, v68
	v_or_b32_e32 v74, 24, v68
	v_or_b32_e32 v75, 28, v68
	v_or_b32_e32 v76, 32, v68
	v_or_b32_e32 v77, 36, v68
	v_or_b32_e32 v78, 40, v68
	v_or_b32_e32 v79, 44, v68
	v_or_b32_e32 v80, 48, v68
	v_or_b32_e32 v81, 52, v68
	v_or_b32_e32 v82, 56, v68
	v_or_b32_e32 v83, 60, v68
	v_or_b32_e32 v84, 64, v68
	v_or_b32_e32 v85, 0x44, v68
	v_or_b32_e32 v86, 0x48, v68
	v_or_b32_e32 v87, 0x4c, v68
	v_or_b32_e32 v88, 0x50, v68
	v_or_b32_e32 v89, 0x54, v68
	v_or_b32_e32 v90, 0x58, v68
	v_or_b32_e32 v91, 0x5c, v68
	v_or_b32_e32 v92, 0x60, v68
	v_or_b32_e32 v93, 0x64, v68
	v_or_b32_e32 v94, 0x68, v68
	v_or_b32_e32 v95, 0x6c, v68
	v_or_b32_e32 v96, 0x70, v68
	v_or_b32_e32 v97, 0x74, v68
	v_or_b32_e32 v98, 0x78, v68
	v_or_b32_e32 v99, 0x7c, v68
	v_lshlrev_b64 v[4:5], 3, v[2:3]
	s_lshl_b64 s[28:29], s[4:5], 3
	v_addc_co_u32_e32 v7, vcc, v7, v1, vcc
	s_lshl_b64 s[30:31], s[30:31], 3
	s_lshl_b64 s[34:35], s[18:19], 3
	v_pk_mov_b32 v[0:1], v[10:11], v[10:11] op_sel:[0,1]
	v_pk_mov_b32 v[8:9], v[10:11], v[10:11] op_sel:[0,1]
	s_branch .LBB27_7
.LBB27_5:                               ;   in Loop: Header=BB27_7 Depth=1
	s_or_b64 exec, exec, s[38:39]
.LBB27_6:                               ;   in Loop: Header=BB27_7 Depth=1
	s_or_b64 exec, exec, s[36:37]
	v_mov_b32_e32 v16, s11
	v_add_co_u32_e32 v20, vcc, s10, v6
	v_addc_co_u32_e32 v21, vcc, v16, v7, vcc
	v_mov_b32_e32 v16, s9
	v_add_co_u32_e32 v18, vcc, s8, v6
	v_addc_co_u32_e32 v19, vcc, v16, v7, vcc
	global_load_dwordx2 v[30:31], v[20:21], off
	v_mov_b32_e32 v100, s35
	v_add_co_u32_e32 v20, vcc, s34, v20
	v_addc_co_u32_e32 v21, vcc, v21, v100, vcc
	v_add_co_u32_e32 v22, vcc, s34, v18
	v_addc_co_u32_e32 v23, vcc, v19, v100, vcc
	global_load_dwordx2 v[16:17], v[18:19], off
	global_load_dwordx2 v[32:33], v[20:21], off
	s_waitcnt vmcnt(4)
	ds_bpermute_b32 v44, v68, v14
	global_load_dwordx2 v[18:19], v[22:23], off
	v_add_co_u32_e32 v22, vcc, s34, v22
	v_addc_co_u32_e32 v23, vcc, v23, v100, vcc
	v_add_co_u32_e32 v24, vcc, s34, v20
	v_addc_co_u32_e32 v25, vcc, v21, v100, vcc
	v_add_co_u32_e32 v26, vcc, s34, v22
	global_load_dwordx2 v[34:35], v[24:25], off
	global_load_dwordx2 v[20:21], v[22:23], off
	v_addc_co_u32_e32 v27, vcc, v23, v100, vcc
	v_add_co_u32_e32 v24, vcc, s34, v24
	v_addc_co_u32_e32 v25, vcc, v25, v100, vcc
	v_add_co_u32_e32 v28, vcc, s34, v24
	v_addc_co_u32_e32 v29, vcc, v25, v100, vcc
	global_load_dwordx2 v[36:37], v[24:25], off
	global_load_dwordx2 v[22:23], v[26:27], off
	v_add_co_u32_e32 v26, vcc, s34, v26
	global_load_dwordx2 v[38:39], v[28:29], off
	v_addc_co_u32_e32 v27, vcc, v27, v100, vcc
	global_load_dwordx2 v[24:25], v[26:27], off
	v_add_co_u32_e32 v40, vcc, s34, v26
	v_addc_co_u32_e32 v41, vcc, v27, v100, vcc
	v_add_co_u32_e32 v28, vcc, s34, v28
	v_addc_co_u32_e32 v29, vcc, v29, v100, vcc
	global_load_dwordx2 v[42:43], v[28:29], off
	global_load_dwordx2 v[26:27], v[40:41], off
	ds_bpermute_b32 v45, v68, v15
	s_waitcnt vmcnt(12)
	ds_bpermute_b32 v46, v68, v12
	ds_bpermute_b32 v47, v68, v13
	;; [unrolled: 1-line block ×8, first 2 shown]
	v_add_co_u32_e32 v58, vcc, s34, v28
	v_addc_co_u32_e32 v59, vcc, v29, v100, vcc
	v_add_co_u32_e32 v40, vcc, s34, v40
	v_addc_co_u32_e32 v41, vcc, v41, v100, vcc
	global_load_dwordx2 v[52:53], v[58:59], off
	global_load_dwordx2 v[28:29], v[40:41], off
	ds_bpermute_b32 v56, v74, v12
	ds_bpermute_b32 v57, v74, v13
	;; [unrolled: 1-line block ×4, first 2 shown]
	s_add_u32 s24, s24, s4
	s_addc_u32 s25, s25, 0
	s_waitcnt vmcnt(13) lgkmcnt(12)
	v_add_f64 v[30:31], v[30:31], -v[44:45]
	ds_bpermute_b32 v44, v71, v12
	ds_bpermute_b32 v45, v71, v13
	s_waitcnt vmcnt(12)
	v_mul_f64 v[30:31], v[16:17], v[30:31]
	s_waitcnt lgkmcnt(12)
	v_fmac_f64_e32 v[0:1], v[30:31], v[46:47]
	s_waitcnt vmcnt(11) lgkmcnt(10)
	v_add_f64 v[30:31], v[32:33], -v[48:49]
	s_waitcnt vmcnt(10)
	v_mul_f64 v[30:31], v[18:19], v[30:31]
	ds_bpermute_b32 v32, v70, v12
	ds_bpermute_b32 v33, v70, v13
	s_waitcnt lgkmcnt(10)
	v_fmac_f64_e32 v[0:1], v[30:31], v[50:51]
	ds_bpermute_b32 v46, v72, v14
	ds_bpermute_b32 v47, v72, v15
	v_add_f64 v[8:9], v[8:9], v[16:17]
	v_add_f64 v[8:9], v[8:9], v[18:19]
	ds_bpermute_b32 v16, v98, v14
	ds_bpermute_b32 v17, v98, v15
	s_waitcnt vmcnt(9) lgkmcnt(12)
	v_add_f64 v[30:31], v[34:35], -v[54:55]
	ds_bpermute_b32 v34, v71, v14
	ds_bpermute_b32 v35, v71, v15
	s_waitcnt vmcnt(8)
	v_mul_f64 v[30:31], v[20:21], v[30:31]
	s_waitcnt lgkmcnt(6)
	v_fmac_f64_e32 v[0:1], v[30:31], v[32:33]
	ds_bpermute_b32 v32, v72, v12
	ds_bpermute_b32 v33, v72, v13
	;; [unrolled: 1-line block ×4, first 2 shown]
	v_add_f64 v[8:9], v[8:9], v[20:21]
	ds_bpermute_b32 v18, v98, v12
	s_waitcnt vmcnt(7) lgkmcnt(5)
	v_add_f64 v[30:31], v[36:37], -v[34:35]
	s_waitcnt vmcnt(6)
	v_mul_f64 v[30:31], v[22:23], v[30:31]
	ds_bpermute_b32 v34, v73, v14
	ds_bpermute_b32 v35, v73, v15
	v_fmac_f64_e32 v[0:1], v[30:31], v[44:45]
	s_waitcnt vmcnt(5)
	v_add_f64 v[30:31], v[38:39], -v[46:47]
	ds_bpermute_b32 v36, v73, v12
	s_waitcnt vmcnt(4)
	v_mul_f64 v[30:31], v[24:25], v[30:31]
	ds_bpermute_b32 v37, v73, v13
	s_waitcnt lgkmcnt(7)
	v_fmac_f64_e32 v[0:1], v[30:31], v[32:33]
	v_add_co_u32_e32 v32, vcc, s34, v58
	v_addc_co_u32_e32 v33, vcc, v59, v100, vcc
	global_load_dwordx2 v[58:59], v[32:33], off
	s_waitcnt vmcnt(4) lgkmcnt(2)
	v_add_f64 v[30:31], v[42:43], -v[34:35]
	v_add_co_u32_e32 v34, vcc, s34, v40
	s_waitcnt vmcnt(3)
	v_mul_f64 v[30:31], v[26:27], v[30:31]
	v_addc_co_u32_e32 v35, vcc, v41, v100, vcc
	s_waitcnt lgkmcnt(0)
	v_fmac_f64_e32 v[0:1], v[30:31], v[36:37]
	global_load_dwordx2 v[30:31], v[34:35], off
	v_add_co_u32_e32 v34, vcc, s34, v34
	v_addc_co_u32_e32 v35, vcc, v35, v100, vcc
	v_add_co_u32_e32 v36, vcc, s34, v32
	v_addc_co_u32_e32 v37, vcc, v33, v100, vcc
	;; [unrolled: 2-line block ×3, first 2 shown]
	global_load_dwordx2 v[60:61], v[36:37], off
	global_load_dwordx2 v[32:33], v[34:35], off
	v_add_co_u32_e32 v36, vcc, s34, v36
	v_addc_co_u32_e32 v37, vcc, v37, v100, vcc
	v_add_co_u32_e32 v40, vcc, s34, v36
	v_addc_co_u32_e32 v41, vcc, v37, v100, vcc
	global_load_dwordx2 v[62:63], v[36:37], off
	global_load_dwordx2 v[34:35], v[38:39], off
	v_add_co_u32_e32 v38, vcc, s34, v38
	v_addc_co_u32_e32 v39, vcc, v39, v100, vcc
	global_load_dwordx2 v[64:65], v[40:41], off
	v_add_co_u32_e32 v40, vcc, s34, v40
	v_addc_co_u32_e32 v41, vcc, v41, v100, vcc
	v_add_co_u32_e32 v42, vcc, s34, v38
	v_addc_co_u32_e32 v43, vcc, v39, v100, vcc
	;; [unrolled: 2-line block ×3, first 2 shown]
	global_load_dwordx2 v[36:37], v[38:39], off
	global_load_dwordx2 v[104:105], v[44:45], off
	;; [unrolled: 1-line block ×3, first 2 shown]
	s_waitcnt vmcnt(11)
	v_add_f64 v[52:53], v[52:53], -v[54:55]
	global_load_dwordx2 v[38:39], v[42:43], off
	v_add_co_u32_e32 v42, vcc, s34, v42
	v_addc_co_u32_e32 v43, vcc, v43, v100, vcc
	v_add_co_u32_e32 v44, vcc, s34, v44
	v_addc_co_u32_e32 v45, vcc, v45, v100, vcc
	;; [unrolled: 2-line block ×4, first 2 shown]
	global_load_dwordx2 v[40:41], v[42:43], off
	global_load_dwordx2 v[106:107], v[44:45], off
	;; [unrolled: 1-line block ×3, first 2 shown]
	ds_bpermute_b32 v54, v75, v14
	global_load_dwordx2 v[42:43], v[46:47], off
	v_add_co_u32_e32 v46, vcc, s34, v46
	v_addc_co_u32_e32 v47, vcc, v47, v100, vcc
	v_add_co_u32_e32 v50, vcc, s34, v46
	v_addc_co_u32_e32 v51, vcc, v47, v100, vcc
	v_add_co_u32_e32 v48, vcc, s34, v48
	global_load_dwordx2 v[44:45], v[46:47], off
	v_addc_co_u32_e32 v49, vcc, v49, v100, vcc
	global_load_dwordx2 v[110:111], v[48:49], off
	global_load_dwordx2 v[46:47], v[50:51], off
	v_add_co_u32_e32 v50, vcc, s34, v50
	v_addc_co_u32_e32 v51, vcc, v51, v100, vcc
	v_add_co_u32_e32 v112, vcc, s34, v48
	v_addc_co_u32_e32 v113, vcc, v49, v100, vcc
	global_load_dwordx2 v[114:115], v[112:113], off
	global_load_dwordx2 v[48:49], v[50:51], off
	v_add_co_u32_e32 v116, vcc, s34, v50
	v_addc_co_u32_e32 v117, vcc, v51, v100, vcc
	v_add_co_u32_e32 v112, vcc, s34, v112
	v_addc_co_u32_e32 v113, vcc, v113, v100, vcc
	global_load_dwordx2 v[118:119], v[112:113], off
	global_load_dwordx2 v[50:51], v[116:117], off
	ds_bpermute_b32 v55, v75, v15
	s_waitcnt vmcnt(22)
	v_mul_f64 v[52:53], v[28:29], v[52:53]
	v_fmac_f64_e32 v[0:1], v[52:53], v[56:57]
	ds_bpermute_b32 v52, v75, v12
	ds_bpermute_b32 v53, v75, v13
	;; [unrolled: 1-line block ×4, first 2 shown]
	s_waitcnt vmcnt(21) lgkmcnt(4)
	v_add_f64 v[54:55], v[58:59], -v[54:55]
	s_waitcnt vmcnt(20)
	v_mul_f64 v[54:55], v[30:31], v[54:55]
	s_waitcnt lgkmcnt(2)
	v_fmac_f64_e32 v[0:1], v[54:55], v[52:53]
	ds_bpermute_b32 v52, v76, v12
	ds_bpermute_b32 v53, v76, v13
	s_waitcnt vmcnt(19) lgkmcnt(2)
	v_add_f64 v[54:55], v[60:61], -v[56:57]
	ds_bpermute_b32 v56, v77, v14
	ds_bpermute_b32 v57, v77, v15
	;; [unrolled: 1-line block ×6, first 2 shown]
	s_waitcnt vmcnt(18)
	v_mul_f64 v[54:55], v[32:33], v[54:55]
	s_waitcnt lgkmcnt(6)
	v_fmac_f64_e32 v[0:1], v[54:55], v[52:53]
	ds_bpermute_b32 v54, v78, v12
	ds_bpermute_b32 v55, v78, v13
	s_waitcnt vmcnt(17) lgkmcnt(6)
	v_add_f64 v[52:53], v[62:63], -v[56:57]
	ds_bpermute_b32 v56, v79, v14
	ds_bpermute_b32 v57, v79, v15
	s_waitcnt vmcnt(16)
	v_mul_f64 v[52:53], v[34:35], v[52:53]
	s_waitcnt lgkmcnt(6)
	v_fmac_f64_e32 v[0:1], v[52:53], v[58:59]
	s_waitcnt vmcnt(15) lgkmcnt(4)
	v_add_f64 v[52:53], v[64:65], -v[60:61]
	ds_bpermute_b32 v58, v79, v12
	ds_bpermute_b32 v59, v79, v13
	;; [unrolled: 1-line block ×4, first 2 shown]
	s_waitcnt vmcnt(14)
	v_mul_f64 v[52:53], v[36:37], v[52:53]
	s_waitcnt lgkmcnt(6)
	v_fmac_f64_e32 v[0:1], v[52:53], v[54:55]
	ds_bpermute_b32 v54, v80, v12
	ds_bpermute_b32 v55, v80, v13
	s_waitcnt vmcnt(12) lgkmcnt(6)
	v_add_f64 v[52:53], v[102:103], -v[56:57]
	ds_bpermute_b32 v56, v81, v14
	ds_bpermute_b32 v57, v81, v15
	s_waitcnt vmcnt(11)
	v_mul_f64 v[52:53], v[38:39], v[52:53]
	s_waitcnt lgkmcnt(6)
	v_fmac_f64_e32 v[0:1], v[52:53], v[58:59]
	s_waitcnt lgkmcnt(4)
	v_add_f64 v[52:53], v[104:105], -v[60:61]
	ds_bpermute_b32 v58, v81, v12
	ds_bpermute_b32 v59, v81, v13
	;; [unrolled: 1-line block ×4, first 2 shown]
	s_waitcnt vmcnt(10)
	v_mul_f64 v[52:53], v[40:41], v[52:53]
	s_waitcnt lgkmcnt(6)
	v_fmac_f64_e32 v[0:1], v[52:53], v[54:55]
	ds_bpermute_b32 v54, v82, v12
	ds_bpermute_b32 v55, v82, v13
	s_waitcnt vmcnt(9) lgkmcnt(6)
	v_add_f64 v[52:53], v[106:107], -v[56:57]
	ds_bpermute_b32 v56, v83, v14
	ds_bpermute_b32 v57, v83, v15
	s_waitcnt vmcnt(7)
	v_mul_f64 v[52:53], v[42:43], v[52:53]
	s_waitcnt lgkmcnt(6)
	v_fmac_f64_e32 v[0:1], v[52:53], v[58:59]
	s_waitcnt lgkmcnt(4)
	v_add_f64 v[52:53], v[108:109], -v[60:61]
	ds_bpermute_b32 v58, v83, v12
	ds_bpermute_b32 v59, v83, v13
	ds_bpermute_b32 v60, v84, v14
	ds_bpermute_b32 v61, v84, v15
	s_waitcnt vmcnt(6)
	v_mul_f64 v[52:53], v[44:45], v[52:53]
	s_waitcnt lgkmcnt(6)
	v_fmac_f64_e32 v[0:1], v[52:53], v[54:55]
	ds_bpermute_b32 v54, v84, v12
	ds_bpermute_b32 v55, v84, v13
	s_waitcnt vmcnt(5) lgkmcnt(6)
	v_add_f64 v[52:53], v[110:111], -v[56:57]
	s_waitcnt vmcnt(4)
	v_mul_f64 v[52:53], v[46:47], v[52:53]
	ds_bpermute_b32 v56, v85, v14
	ds_bpermute_b32 v57, v85, v15
	s_waitcnt lgkmcnt(6)
	v_fmac_f64_e32 v[0:1], v[52:53], v[58:59]
	s_waitcnt vmcnt(3) lgkmcnt(4)
	v_add_f64 v[52:53], v[114:115], -v[60:61]
	ds_bpermute_b32 v58, v85, v12
	ds_bpermute_b32 v59, v85, v13
	s_waitcnt vmcnt(2)
	v_mul_f64 v[52:53], v[48:49], v[52:53]
	s_waitcnt lgkmcnt(4)
	v_fmac_f64_e32 v[0:1], v[52:53], v[54:55]
	v_add_co_u32_e32 v54, vcc, s34, v116
	v_addc_co_u32_e32 v55, vcc, v117, v100, vcc
	s_waitcnt vmcnt(1) lgkmcnt(2)
	v_add_f64 v[52:53], v[118:119], -v[56:57]
	v_add_co_u32_e32 v56, vcc, s34, v112
	s_waitcnt vmcnt(0)
	v_mul_f64 v[52:53], v[50:51], v[52:53]
	v_addc_co_u32_e32 v57, vcc, v113, v100, vcc
	s_waitcnt lgkmcnt(0)
	v_fmac_f64_e32 v[0:1], v[52:53], v[58:59]
	global_load_dwordx2 v[102:103], v[56:57], off
	global_load_dwordx2 v[52:53], v[54:55], off
	v_add_co_u32_e32 v58, vcc, s34, v54
	v_addc_co_u32_e32 v59, vcc, v55, v100, vcc
	v_add_co_u32_e32 v56, vcc, s34, v56
	v_addc_co_u32_e32 v57, vcc, v57, v100, vcc
	global_load_dwordx2 v[104:105], v[56:57], off
	global_load_dwordx2 v[54:55], v[58:59], off
	v_add_co_u32_e32 v58, vcc, s34, v58
	v_addc_co_u32_e32 v59, vcc, v59, v100, vcc
	v_add_co_u32_e32 v60, vcc, s34, v56
	v_addc_co_u32_e32 v61, vcc, v57, v100, vcc
	global_load_dwordx2 v[106:107], v[60:61], off
	global_load_dwordx2 v[56:57], v[58:59], off
	v_add_co_u32_e32 v60, vcc, s34, v60
	v_addc_co_u32_e32 v61, vcc, v61, v100, vcc
	global_load_dwordx2 v[108:109], v[60:61], off
	v_add_co_u32_e32 v62, vcc, s34, v58
	v_addc_co_u32_e32 v63, vcc, v59, v100, vcc
	;; [unrolled: 3-line block ×3, first 2 shown]
	v_add_co_u32_e32 v64, vcc, s34, v60
	v_addc_co_u32_e32 v65, vcc, v61, v100, vcc
	global_load_dwordx2 v[110:111], v[64:65], off
	global_load_dwordx2 v[60:61], v[62:63], off
	v_add_co_u32_e32 v112, vcc, s34, v62
	v_addc_co_u32_e32 v113, vcc, v63, v100, vcc
	v_add_co_u32_e32 v64, vcc, s34, v64
	v_addc_co_u32_e32 v65, vcc, v65, v100, vcc
	global_load_dwordx2 v[114:115], v[64:65], off
	global_load_dwordx2 v[62:63], v[112:113], off
	v_add_co_u32_e32 v112, vcc, s34, v112
	v_addc_co_u32_e32 v113, vcc, v113, v100, vcc
	;; [unrolled: 6-line block ×3, first 2 shown]
	v_add_co_u32_e32 v116, vcc, s34, v116
	v_addc_co_u32_e32 v117, vcc, v117, v100, vcc
	global_load_dwordx2 v[120:121], v[116:117], off
	global_load_dwordx2 v[122:123], v[112:113], off
	v_add_f64 v[8:9], v[8:9], v[22:23]
	v_add_f64 v[8:9], v[8:9], v[24:25]
	;; [unrolled: 1-line block ×14, first 2 shown]
	s_waitcnt vmcnt(15)
	v_add_f64 v[102:103], v[102:103], -v[124:125]
	ds_bpermute_b32 v124, v86, v12
	ds_bpermute_b32 v125, v86, v13
	s_waitcnt vmcnt(14)
	v_mul_f64 v[102:103], v[52:53], v[102:103]
	v_add_f64 v[8:9], v[8:9], v[50:51]
	v_add_f64 v[8:9], v[8:9], v[52:53]
	ds_bpermute_b32 v19, v98, v13
	s_waitcnt lgkmcnt(1)
	v_fmac_f64_e32 v[0:1], v[102:103], v[124:125]
	ds_bpermute_b32 v102, v87, v14
	ds_bpermute_b32 v103, v87, v15
	ds_bpermute_b32 v124, v87, v12
	ds_bpermute_b32 v125, v87, v13
	s_waitcnt vmcnt(12)
	v_add_f64 v[8:9], v[8:9], v[54:55]
	s_waitcnt lgkmcnt(2)
	v_add_f64 v[102:103], v[104:105], -v[102:103]
	v_mul_f64 v[102:103], v[54:55], v[102:103]
	s_waitcnt lgkmcnt(0)
	v_fmac_f64_e32 v[0:1], v[102:103], v[124:125]
	ds_bpermute_b32 v102, v88, v14
	ds_bpermute_b32 v103, v88, v15
	;; [unrolled: 1-line block ×6, first 2 shown]
	s_waitcnt vmcnt(11) lgkmcnt(4)
	v_add_f64 v[102:103], v[106:107], -v[102:103]
	v_add_co_u32_e32 v106, vcc, s34, v116
	s_waitcnt vmcnt(10)
	v_mul_f64 v[102:103], v[56:57], v[102:103]
	v_addc_co_u32_e32 v107, vcc, v117, v100, vcc
	s_waitcnt lgkmcnt(2)
	v_fmac_f64_e32 v[0:1], v[102:103], v[104:105]
	s_waitcnt vmcnt(9) lgkmcnt(0)
	v_add_f64 v[102:103], v[108:109], -v[124:125]
	global_load_dwordx2 v[108:109], v[106:107], off
	v_add_co_u32_e32 v112, vcc, s34, v112
	v_addc_co_u32_e32 v113, vcc, v113, v100, vcc
	global_load_dwordx2 v[116:117], v[112:113], off
	ds_bpermute_b32 v104, v89, v12
	ds_bpermute_b32 v105, v89, v13
	s_waitcnt vmcnt(10)
	v_mul_f64 v[102:103], v[58:59], v[102:103]
	ds_bpermute_b32 v124, v94, v14
	ds_bpermute_b32 v125, v94, v15
	v_add_f64 v[8:9], v[8:9], v[56:57]
	s_waitcnt lgkmcnt(2)
	v_fmac_f64_e32 v[0:1], v[102:103], v[104:105]
	ds_bpermute_b32 v102, v90, v14
	ds_bpermute_b32 v103, v90, v15
	;; [unrolled: 1-line block ×4, first 2 shown]
	v_add_f64 v[8:9], v[8:9], v[58:59]
	s_waitcnt vmcnt(8)
	v_add_f64 v[8:9], v[8:9], v[60:61]
	s_waitcnt lgkmcnt(2)
	v_add_f64 v[102:103], v[110:111], -v[102:103]
	v_mul_f64 v[102:103], v[60:61], v[102:103]
	s_waitcnt lgkmcnt(0)
	v_fmac_f64_e32 v[0:1], v[102:103], v[104:105]
	ds_bpermute_b32 v102, v91, v14
	ds_bpermute_b32 v103, v91, v15
	;; [unrolled: 1-line block ×6, first 2 shown]
	s_waitcnt vmcnt(7) lgkmcnt(4)
	v_add_f64 v[102:103], v[114:115], -v[102:103]
	s_waitcnt vmcnt(6)
	v_mul_f64 v[102:103], v[62:63], v[102:103]
	s_waitcnt lgkmcnt(2)
	v_fmac_f64_e32 v[0:1], v[102:103], v[104:105]
	ds_bpermute_b32 v104, v92, v12
	s_waitcnt vmcnt(5) lgkmcnt(1)
	v_add_f64 v[102:103], v[118:119], -v[110:111]
	ds_bpermute_b32 v105, v92, v13
	ds_bpermute_b32 v110, v93, v14
	;; [unrolled: 1-line block ×5, first 2 shown]
	s_waitcnt vmcnt(4)
	v_mul_f64 v[102:103], v[64:65], v[102:103]
	s_waitcnt lgkmcnt(4)
	v_fmac_f64_e32 v[0:1], v[102:103], v[104:105]
	s_waitcnt vmcnt(3) lgkmcnt(2)
	v_add_f64 v[102:103], v[120:121], -v[110:111]
	s_waitcnt vmcnt(2)
	v_mul_f64 v[102:103], v[122:123], v[102:103]
	s_waitcnt lgkmcnt(0)
	v_fmac_f64_e32 v[0:1], v[102:103], v[114:115]
	v_add_co_u32_e32 v102, vcc, s34, v106
	v_addc_co_u32_e32 v103, vcc, v107, v100, vcc
	global_load_dwordx2 v[104:105], v[102:103], off
	v_add_co_u32_e32 v106, vcc, s34, v112
	v_addc_co_u32_e32 v107, vcc, v113, v100, vcc
	global_load_dwordx2 v[110:111], v[106:107], off
	v_add_co_u32_e32 v106, vcc, s34, v106
	v_addc_co_u32_e32 v107, vcc, v107, v100, vcc
	v_add_co_u32_e32 v102, vcc, s34, v102
	v_addc_co_u32_e32 v103, vcc, v103, v100, vcc
	global_load_dwordx2 v[112:113], v[102:103], off
	global_load_dwordx2 v[114:115], v[106:107], off
	v_add_co_u32_e32 v106, vcc, s34, v106
	v_addc_co_u32_e32 v107, vcc, v107, v100, vcc
	v_add_co_u32_e32 v102, vcc, s34, v102
	v_addc_co_u32_e32 v103, vcc, v103, v100, vcc
	global_load_dwordx2 v[118:119], v[102:103], off
	global_load_dwordx2 v[120:121], v[106:107], off
	v_add_co_u32_e32 v106, vcc, s34, v106
	v_addc_co_u32_e32 v107, vcc, v107, v100, vcc
	v_add_co_u32_e32 v102, vcc, s34, v102
	v_addc_co_u32_e32 v103, vcc, v103, v100, vcc
	v_add_f64 v[8:9], v[8:9], v[62:63]
	s_waitcnt vmcnt(7)
	v_add_f64 v[108:109], v[108:109], -v[124:125]
	ds_bpermute_b32 v124, v94, v12
	ds_bpermute_b32 v125, v94, v13
	v_add_f64 v[8:9], v[8:9], v[64:65]
	v_add_f64 v[8:9], v[8:9], v[122:123]
	s_waitcnt vmcnt(6)
	v_mul_f64 v[108:109], v[116:117], v[108:109]
	v_add_f64 v[8:9], v[8:9], v[116:117]
	s_waitcnt lgkmcnt(0)
	v_fmac_f64_e32 v[0:1], v[108:109], v[124:125]
	v_add_co_u32_e32 v108, vcc, s34, v106
	v_addc_co_u32_e32 v109, vcc, v107, v100, vcc
	v_add_co_u32_e32 v124, vcc, s34, v102
	v_addc_co_u32_e32 v125, vcc, v103, v100, vcc
	global_load_dwordx2 v[100:101], v[102:103], off
	global_load_dwordx2 v[126:127], v[106:107], off
                                        ; kill: killed $vgpr102 killed $vgpr103
                                        ; kill: killed $vgpr106 killed $vgpr107
	s_nop 0
	global_load_dwordx2 v[102:103], v[124:125], off
	global_load_dwordx2 v[106:107], v[108:109], off
	ds_bpermute_b32 v108, v95, v14
	ds_bpermute_b32 v109, v95, v15
	v_add_co_u32_e32 v4, vcc, s28, v4
	s_waitcnt vmcnt(9) lgkmcnt(0)
	v_add_f64 v[104:105], v[104:105], -v[108:109]
	ds_bpermute_b32 v108, v95, v12
	ds_bpermute_b32 v109, v95, v13
	s_waitcnt vmcnt(8)
	v_mul_f64 v[104:105], v[110:111], v[104:105]
	v_add_f64 v[8:9], v[8:9], v[110:111]
	s_waitcnt lgkmcnt(0)
	v_fmac_f64_e32 v[0:1], v[104:105], v[108:109]
	ds_bpermute_b32 v104, v96, v14
	ds_bpermute_b32 v105, v96, v15
	;; [unrolled: 1-line block ×4, first 2 shown]
	s_waitcnt vmcnt(7) lgkmcnt(2)
	v_add_f64 v[104:105], v[112:113], -v[104:105]
	s_waitcnt vmcnt(6)
	v_mul_f64 v[104:105], v[114:115], v[104:105]
	s_waitcnt lgkmcnt(0)
	v_fmac_f64_e32 v[0:1], v[104:105], v[108:109]
	ds_bpermute_b32 v104, v97, v14
	ds_bpermute_b32 v105, v97, v15
	;; [unrolled: 1-line block ×8, first 2 shown]
	s_waitcnt vmcnt(5) lgkmcnt(6)
	v_add_f64 v[104:105], v[118:119], -v[104:105]
	s_waitcnt vmcnt(4)
	v_mul_f64 v[104:105], v[120:121], v[104:105]
	s_waitcnt lgkmcnt(4)
	v_fmac_f64_e32 v[0:1], v[104:105], v[108:109]
	v_add_f64 v[8:9], v[8:9], v[114:115]
	v_add_f64 v[8:9], v[8:9], v[120:121]
	s_waitcnt vmcnt(3)
	v_add_f64 v[16:17], v[100:101], -v[16:17]
	s_waitcnt vmcnt(2)
	v_mul_f64 v[16:17], v[126:127], v[16:17]
	v_fmac_f64_e32 v[0:1], v[16:17], v[18:19]
	v_add_f64 v[8:9], v[8:9], v[126:127]
	s_waitcnt vmcnt(1) lgkmcnt(2)
	v_add_f64 v[14:15], v[102:103], -v[14:15]
	s_waitcnt vmcnt(0)
	v_mul_f64 v[14:15], v[106:107], v[14:15]
	s_waitcnt lgkmcnt(0)
	v_fmac_f64_e32 v[0:1], v[14:15], v[12:13]
	v_mov_b32_e32 v12, s29
	v_addc_co_u32_e32 v5, vcc, v5, v12, vcc
	v_mov_b32_e32 v12, s5
	v_add_co_u32_e32 v2, vcc, s4, v2
	v_addc_co_u32_e32 v3, vcc, v3, v12, vcc
	v_mov_b32_e32 v12, s31
	v_add_co_u32_e32 v6, vcc, s30, v6
	v_addc_co_u32_e32 v7, vcc, v7, v12, vcc
	v_pk_mov_b32 v[12:13], s[16:17], s[16:17] op_sel:[0,1]
	v_cmp_lt_i64_e32 vcc, s[24:25], v[12:13]
	v_add_f64 v[8:9], v[8:9], v[106:107]
	s_cbranch_vccz .LBB27_10
.LBB27_7:                               ; =>This Inner Loop Header: Depth=1
	v_pk_mov_b32 v[12:13], v[10:11], v[10:11] op_sel:[0,1]
	v_pk_mov_b32 v[14:15], v[10:11], v[10:11] op_sel:[0,1]
	s_and_saveexec_b64 s[36:37], s[0:1]
	s_cbranch_execz .LBB27_6
; %bb.8:                                ;   in Loop: Header=BB27_7 Depth=1
	v_pk_mov_b32 v[14:15], 0, 0
	v_cmp_gt_i64_e32 vcc, s[16:17], v[2:3]
	v_pk_mov_b32 v[12:13], v[14:15], v[14:15] op_sel:[0,1]
	s_and_saveexec_b64 s[38:39], vcc
	s_cbranch_execz .LBB27_5
; %bb.9:                                ;   in Loop: Header=BB27_7 Depth=1
	v_mov_b32_e32 v12, s15
	v_add_co_u32_e32 v16, vcc, s14, v4
	v_addc_co_u32_e32 v17, vcc, v12, v5, vcc
	v_mov_b32_e32 v12, s13
	v_add_co_u32_e32 v18, vcc, s12, v4
	v_addc_co_u32_e32 v19, vcc, v12, v5, vcc
	global_load_dwordx2 v[14:15], v[18:19], off
	global_load_dwordx2 v[12:13], v[16:17], off
	s_branch .LBB27_5
.LBB27_10:
	v_mov_b32_e32 v2, v66
.LBB27_11:
	s_mov_b32 s7, 0
	s_lshl_b64 s[0:1], s[6:7], 6
	v_mov_b32_e32 v4, s1
	s_load_dword s1, s[26:27], 0xc
	v_add_co_u32_e32 v10, vcc, s0, v67
	v_mov_b32_e32 v3, 0
	v_addc_co_u32_e32 v11, vcc, 0, v4, vcc
	s_waitcnt lgkmcnt(0)
	s_lshr_b32 s0, s1, 16
	v_mov_b32_e32 v4, s2
	v_mad_u64_u32 v[4:5], s[0:1], s0, v4, v[2:3]
	s_cmp_eq_u64 s[20:21], 0
	v_mul_lo_u32 v5, v5, s18
	v_mul_lo_u32 v6, v4, s19
	v_lshlrev_b64 v[2:3], 3, v[10:11]
	s_cbranch_scc1 .LBB27_13
; %bb.12:
	v_mad_u64_u32 v[10:11], s[0:1], v4, s18, 0
	v_add3_u32 v11, v11, v6, v5
	v_lshlrev_b64 v[10:11], 3, v[10:11]
	v_mov_b32_e32 v7, s21
	v_add_co_u32_e32 v10, vcc, s20, v10
	v_addc_co_u32_e32 v7, vcc, v7, v11, vcc
	v_add_co_u32_e32 v10, vcc, v10, v2
	v_addc_co_u32_e32 v11, vcc, v7, v3, vcc
	global_store_dwordx2 v[10:11], v[0:1], off
.LBB27_13:
	s_cmp_eq_u64 s[22:23], 0
	s_cbranch_scc1 .LBB27_15
; %bb.14:
	v_mad_u64_u32 v[0:1], s[0:1], v4, s18, 0
	v_add3_u32 v1, v1, v6, v5
	v_lshlrev_b64 v[0:1], 3, v[0:1]
	v_mov_b32_e32 v4, s23
	v_add_co_u32_e32 v0, vcc, s22, v0
	v_addc_co_u32_e32 v1, vcc, v4, v1, vcc
	v_add_co_u32_e32 v0, vcc, v0, v2
	v_addc_co_u32_e32 v1, vcc, v1, v3, vcc
	global_store_dwordx2 v[0:1], v[8:9], off
.LBB27_15:
	s_endpgm
	.section	.rodata,"a",@progbits
	.p2align	6, 0x0
	.amdhsa_kernel _ZN2at6native12_GLOBAL__N_135GammaBetaBackwardCUDAKernelTemplateIddLj64ELj1ELj32ELb1ELb1ELb0EEEvllPKT_S5_PKT0_S8_PS3_S9_
		.amdhsa_group_segment_fixed_size 0
		.amdhsa_private_segment_fixed_size 0
		.amdhsa_kernarg_size 320
		.amdhsa_user_sgpr_count 6
		.amdhsa_user_sgpr_private_segment_buffer 1
		.amdhsa_user_sgpr_dispatch_ptr 0
		.amdhsa_user_sgpr_queue_ptr 0
		.amdhsa_user_sgpr_kernarg_segment_ptr 1
		.amdhsa_user_sgpr_dispatch_id 0
		.amdhsa_user_sgpr_flat_scratch_init 0
		.amdhsa_user_sgpr_kernarg_preload_length 0
		.amdhsa_user_sgpr_kernarg_preload_offset 0
		.amdhsa_user_sgpr_private_segment_size 0
		.amdhsa_uses_dynamic_stack 0
		.amdhsa_system_sgpr_private_segment_wavefront_offset 0
		.amdhsa_system_sgpr_workgroup_id_x 1
		.amdhsa_system_sgpr_workgroup_id_y 1
		.amdhsa_system_sgpr_workgroup_id_z 0
		.amdhsa_system_sgpr_workgroup_info 0
		.amdhsa_system_vgpr_workitem_id 1
		.amdhsa_next_free_vgpr 128
		.amdhsa_next_free_sgpr 40
		.amdhsa_accum_offset 128
		.amdhsa_reserve_vcc 1
		.amdhsa_reserve_flat_scratch 0
		.amdhsa_float_round_mode_32 0
		.amdhsa_float_round_mode_16_64 0
		.amdhsa_float_denorm_mode_32 3
		.amdhsa_float_denorm_mode_16_64 3
		.amdhsa_dx10_clamp 1
		.amdhsa_ieee_mode 1
		.amdhsa_fp16_overflow 0
		.amdhsa_tg_split 0
		.amdhsa_exception_fp_ieee_invalid_op 0
		.amdhsa_exception_fp_denorm_src 0
		.amdhsa_exception_fp_ieee_div_zero 0
		.amdhsa_exception_fp_ieee_overflow 0
		.amdhsa_exception_fp_ieee_underflow 0
		.amdhsa_exception_fp_ieee_inexact 0
		.amdhsa_exception_int_div_zero 0
	.end_amdhsa_kernel
	.section	.text._ZN2at6native12_GLOBAL__N_135GammaBetaBackwardCUDAKernelTemplateIddLj64ELj1ELj32ELb1ELb1ELb0EEEvllPKT_S5_PKT0_S8_PS3_S9_,"axG",@progbits,_ZN2at6native12_GLOBAL__N_135GammaBetaBackwardCUDAKernelTemplateIddLj64ELj1ELj32ELb1ELb1ELb0EEEvllPKT_S5_PKT0_S8_PS3_S9_,comdat
.Lfunc_end27:
	.size	_ZN2at6native12_GLOBAL__N_135GammaBetaBackwardCUDAKernelTemplateIddLj64ELj1ELj32ELb1ELb1ELb0EEEvllPKT_S5_PKT0_S8_PS3_S9_, .Lfunc_end27-_ZN2at6native12_GLOBAL__N_135GammaBetaBackwardCUDAKernelTemplateIddLj64ELj1ELj32ELb1ELb1ELb0EEEvllPKT_S5_PKT0_S8_PS3_S9_
                                        ; -- End function
	.section	.AMDGPU.csdata,"",@progbits
; Kernel info:
; codeLenInByte = 4268
; NumSgprs: 44
; NumVgprs: 128
; NumAgprs: 0
; TotalNumVgprs: 128
; ScratchSize: 0
; MemoryBound: 0
; FloatMode: 240
; IeeeMode: 1
; LDSByteSize: 0 bytes/workgroup (compile time only)
; SGPRBlocks: 5
; VGPRBlocks: 15
; NumSGPRsForWavesPerEU: 44
; NumVGPRsForWavesPerEU: 128
; AccumOffset: 128
; Occupancy: 4
; WaveLimiterHint : 0
; COMPUTE_PGM_RSRC2:SCRATCH_EN: 0
; COMPUTE_PGM_RSRC2:USER_SGPR: 6
; COMPUTE_PGM_RSRC2:TRAP_HANDLER: 0
; COMPUTE_PGM_RSRC2:TGID_X_EN: 1
; COMPUTE_PGM_RSRC2:TGID_Y_EN: 1
; COMPUTE_PGM_RSRC2:TGID_Z_EN: 0
; COMPUTE_PGM_RSRC2:TIDIG_COMP_CNT: 1
; COMPUTE_PGM_RSRC3_GFX90A:ACCUM_OFFSET: 31
; COMPUTE_PGM_RSRC3_GFX90A:TG_SPLIT: 0
	.section	.text._ZN2at6native12_GLOBAL__N_135GammaBetaBackwardCUDAKernelTemplateIddLj64ELj1ELj32ELb1ELb0ELb0EEEvllPKT_S5_PKT0_S8_PS3_S9_,"axG",@progbits,_ZN2at6native12_GLOBAL__N_135GammaBetaBackwardCUDAKernelTemplateIddLj64ELj1ELj32ELb1ELb0ELb0EEEvllPKT_S5_PKT0_S8_PS3_S9_,comdat
	.globl	_ZN2at6native12_GLOBAL__N_135GammaBetaBackwardCUDAKernelTemplateIddLj64ELj1ELj32ELb1ELb0ELb0EEEvllPKT_S5_PKT0_S8_PS3_S9_ ; -- Begin function _ZN2at6native12_GLOBAL__N_135GammaBetaBackwardCUDAKernelTemplateIddLj64ELj1ELj32ELb1ELb0ELb0EEEvllPKT_S5_PKT0_S8_PS3_S9_
	.p2align	8
	.type	_ZN2at6native12_GLOBAL__N_135GammaBetaBackwardCUDAKernelTemplateIddLj64ELj1ELj32ELb1ELb0ELb0EEEvllPKT_S5_PKT0_S8_PS3_S9_,@function
_ZN2at6native12_GLOBAL__N_135GammaBetaBackwardCUDAKernelTemplateIddLj64ELj1ELj32ELb1ELb0ELb0EEEvllPKT_S5_PKT0_S8_PS3_S9_: ; @_ZN2at6native12_GLOBAL__N_135GammaBetaBackwardCUDAKernelTemplateIddLj64ELj1ELj32ELb1ELb0ELb0EEEvllPKT_S5_PKT0_S8_PS3_S9_
; %bb.0:
	s_load_dwordx8 s[12:19], s[4:5], 0x0
	s_load_dwordx4 s[20:23], s[4:5], 0x20
	s_mov_b32 s8, s7
	s_lshl_b32 s7, s6, 6
	v_mov_b32_e32 v132, v0
	s_or_b32 s24, s7, 63
	s_mov_b32 s25, 0
	s_waitcnt lgkmcnt(0)
	v_pk_mov_b32 v[0:1], s[14:15], s[14:15] op_sel:[0,1]
	v_cmp_ge_i64_e32 vcc, s[24:25], v[0:1]
	s_lshl_b32 s24, s8, 5
	v_pk_mov_b32 v[0:1], s[12:13], s[12:13] op_sel:[0,1]
	v_cmp_lt_i64_e64 s[0:1], s[24:25], v[0:1]
	v_cndmask_b32_e64 v0, 0, 1, s[0:1]
	v_cmp_ne_u32_e64 s[0:1], 1, v0
	s_cbranch_vccz .LBB28_145
; %bb.1:
	v_pk_mov_b32 v[136:137], 0, 0
	v_accvgpr_write_b32 a2, v136
	s_mov_b64 s[26:27], 0
	s_and_b64 vcc, exec, s[0:1]
	v_accvgpr_write_b32 a3, v137
	s_cbranch_vccnz .LBB28_146
; %bb.2:
	v_bfe_u32 v0, v132, 10, 10
	v_lshlrev_b32_e32 v2, 5, v0
	v_accvgpr_write_b32 a1, v0
	v_mov_b32_e32 v1, s25
	v_add_co_u32_e32 v0, vcc, s24, v2
	v_addc_co_u32_e32 v121, vcc, 0, v1, vcc
	v_add_co_u32_e32 v1, vcc, 31, v0
	v_addc_co_u32_e32 v3, vcc, 0, v121, vcc
	v_mul_lo_u32 v6, s15, v1
	v_mul_lo_u32 v3, s14, v3
	v_mad_u64_u32 v[4:5], s[2:3], s14, v1, 0
	v_add3_u32 v5, v5, v3, v6
	v_lshlrev_b64 v[6:7], 3, v[4:5]
	v_mov_b32_e32 v125, s17
	v_add_co_u32_e32 v4, vcc, s16, v6
	v_addc_co_u32_e32 v1, vcc, v125, v7, vcc
	v_mov_b32_e32 v127, s19
	v_add_co_u32_e32 v6, vcc, s18, v6
	v_addc_co_u32_e32 v3, vcc, v127, v7, vcc
	v_add_co_u32_e32 v5, vcc, 30, v0
	v_addc_co_u32_e32 v7, vcc, 0, v121, vcc
	v_mul_lo_u32 v10, s15, v5
	v_mul_lo_u32 v7, s14, v7
	v_mad_u64_u32 v[8:9], s[2:3], s14, v5, 0
	v_add3_u32 v9, v9, v7, v10
	v_lshlrev_b64 v[10:11], 3, v[8:9]
	v_add_co_u32_e32 v8, vcc, s16, v10
	v_addc_co_u32_e32 v5, vcc, v125, v11, vcc
	v_add_co_u32_e32 v10, vcc, s18, v10
	v_addc_co_u32_e32 v7, vcc, v127, v11, vcc
	v_add_co_u32_e32 v9, vcc, 29, v0
	v_addc_co_u32_e32 v11, vcc, 0, v121, vcc
	v_mul_lo_u32 v14, s15, v9
	v_mul_lo_u32 v11, s14, v11
	v_mad_u64_u32 v[12:13], s[2:3], s14, v9, 0
	v_add3_u32 v13, v13, v11, v14
	v_lshlrev_b64 v[14:15], 3, v[12:13]
	v_add_co_u32_e32 v12, vcc, s16, v14
	v_addc_co_u32_e32 v9, vcc, v125, v15, vcc
	;; [unrolled: 11-line block ×29, first 2 shown]
	v_add_co_u32_e32 v122, vcc, s18, v122
	v_pk_mov_b32 v[128:129], s[14:15], s[14:15] op_sel:[0,1]
	v_addc_co_u32_e32 v119, vcc, v127, v123, vcc
	v_mad_u64_u32 v[128:129], s[2:3], s14, v0, v[128:129]
	v_mul_lo_u32 v121, s14, v121
	v_mul_lo_u32 v123, s15, v0
	v_add3_u32 v129, v123, v129, v121
	v_lshlrev_b64 v[128:129], 3, v[128:129]
	v_mad_u64_u32 v[130:131], s[2:3], s14, v0, 0
	v_add_co_u32_e32 v124, vcc, s16, v128
	v_add3_u32 v131, v131, v121, v123
	v_addc_co_u32_e32 v121, vcc, v125, v129, vcc
	s_load_dword s10, s[4:5], 0x44
	v_add_co_u32_e32 v126, vcc, s18, v128
	v_addc_co_u32_e32 v123, vcc, v127, v129, vcc
	v_lshlrev_b64 v[130:131], 3, v[130:131]
	v_add_co_u32_e32 v128, vcc, s16, v130
	v_addc_co_u32_e32 v125, vcc, v125, v131, vcc
	s_add_u32 s28, s4, 64
	v_add_co_u32_e32 v130, vcc, s18, v130
	s_addc_u32 s29, s5, 0
	s_waitcnt lgkmcnt(0)
	s_lshl_b32 s33, s10, 5
	v_mbcnt_lo_u32_b32 v0, -1, 0
	v_addc_co_u32_e32 v127, vcc, v127, v131, vcc
	v_and_b32_e32 v131, 0x3ff, v132
	s_mul_i32 s10, s15, s33
	s_mul_hi_u32 s11, s14, s33
	v_mbcnt_hi_u32_b32 v0, -1, v0
	v_pk_mov_b32 v[138:139], 0, 0
	v_accvgpr_write_b32 a0, v132
	v_add_u32_e32 v132, s7, v131
	v_mov_b32_e32 v133, 0
	s_add_i32 s11, s11, s10
	s_mul_i32 s10, s14, s33
	v_lshlrev_b32_e32 v0, 2, v0
	v_accvgpr_write_b32 a2, v138
	s_mov_b32 s9, 0
	v_cmp_gt_i64_e64 s[2:3], s[14:15], v[132:133]
	s_mov_b64 s[30:31], 31
	s_lshl_b64 s[34:35], s[10:11], 3
	v_and_b32_e32 v0, 0x100, v0
	s_mov_b64 s[36:37], s[24:25]
	v_mov_b32_e32 v129, v133
	v_accvgpr_write_b32 a5, v133
	v_lshlrev_b64 v[134:135], 3, v[132:133]
	v_accvgpr_write_b32 a3, v139
.LBB28_3:                               ; =>This Inner Loop Header: Depth=1
	s_add_u32 s10, s24, s30
	s_addc_u32 s11, 0, s31
	v_pk_mov_b32 v[132:133], s[12:13], s[12:13] op_sel:[0,1]
	v_cmp_ge_i64_e32 vcc, s[10:11], v[132:133]
	v_mov_b32_e32 v132, s25
	v_add_co_u32_e64 v144, s[10:11], s24, v2
	v_addc_co_u32_e64 v145, s[10:11], v132, v129, s[10:11]
	s_cbranch_vccz .LBB28_73
; %bb.4:                                ;   in Loop: Header=BB28_3 Depth=1
	s_load_dword s10, s[28:29], 0xc
	v_accvgpr_read_b32 v132, a1
	v_pk_mov_b32 v[250:251], 0, 0
	v_pk_mov_b32 v[148:149], v[250:251], v[250:251] op_sel:[0,1]
	v_pk_mov_b32 v[146:147], v[250:251], v[250:251] op_sel:[0,1]
	s_waitcnt lgkmcnt(0)
	s_and_b32 s10, s10, 0xffff
	v_mad_u32_u24 v132, v132, s10, v131
	v_and_b32_e32 v132, 63, v132
	v_cmp_gt_u32_e32 vcc, 32, v132
	s_and_saveexec_b64 s[10:11], vcc
	s_cbranch_execz .LBB28_8
; %bb.5:                                ;   in Loop: Header=BB28_3 Depth=1
	v_add_co_u32_e32 v132, vcc, v144, v132
	v_addc_co_u32_e32 v133, vcc, 0, v145, vcc
	v_pk_mov_b32 v[146:147], 0, 0
	v_cmp_gt_i64_e32 vcc, s[12:13], v[132:133]
	v_pk_mov_b32 v[148:149], v[146:147], v[146:147] op_sel:[0,1]
	s_and_saveexec_b64 s[38:39], vcc
	s_cbranch_execz .LBB28_7
; %bb.6:                                ;   in Loop: Header=BB28_3 Depth=1
	v_lshlrev_b64 v[132:133], 3, v[132:133]
	v_mov_b32_e32 v137, s23
	v_add_co_u32_e32 v136, vcc, s22, v132
	v_addc_co_u32_e32 v137, vcc, v137, v133, vcc
	v_mov_b32_e32 v140, s21
	v_add_co_u32_e32 v132, vcc, s20, v132
	v_addc_co_u32_e32 v133, vcc, v140, v133, vcc
	global_load_dwordx2 v[146:147], v[132:133], off
	global_load_dwordx2 v[148:149], v[136:137], off
.LBB28_7:                               ;   in Loop: Header=BB28_3 Depth=1
	s_or_b64 exec, exec, s[38:39]
.LBB28_8:                               ;   in Loop: Header=BB28_3 Depth=1
	s_or_b64 exec, exec, s[10:11]
	v_cmp_gt_i64_e32 vcc, s[12:13], v[144:145]
	s_and_b64 s[38:39], s[2:3], vcc
	v_pk_mov_b32 v[136:137], v[250:251], v[250:251] op_sel:[0,1]
	s_and_saveexec_b64 s[10:11], s[38:39]
	s_cbranch_execz .LBB28_10
; %bb.9:                                ;   in Loop: Header=BB28_3 Depth=1
	v_add_co_u32_e32 v132, vcc, v128, v134
	v_addc_co_u32_e32 v133, vcc, v125, v135, vcc
	global_load_dwordx2 v[250:251], v[132:133], off
	v_add_co_u32_e32 v132, vcc, v130, v134
	v_addc_co_u32_e32 v133, vcc, v127, v135, vcc
	global_load_dwordx2 v[136:137], v[132:133], off
.LBB28_10:                              ;   in Loop: Header=BB28_3 Depth=1
	s_or_b64 exec, exec, s[10:11]
	v_add_co_u32_e32 v132, vcc, 1, v144
	v_addc_co_u32_e32 v133, vcc, 0, v145, vcc
	v_cmp_gt_i64_e32 vcc, s[12:13], v[132:133]
	v_pk_mov_b32 v[246:247], 0, 0
	s_and_b64 s[38:39], s[2:3], vcc
	v_pk_mov_b32 v[174:175], v[246:247], v[246:247] op_sel:[0,1]
	v_pk_mov_b32 v[178:179], v[246:247], v[246:247] op_sel:[0,1]
	s_and_saveexec_b64 s[10:11], s[38:39]
	s_cbranch_execz .LBB28_12
; %bb.11:                               ;   in Loop: Header=BB28_3 Depth=1
	v_add_co_u32_e32 v132, vcc, v124, v134
	v_addc_co_u32_e32 v133, vcc, v121, v135, vcc
	global_load_dwordx2 v[174:175], v[132:133], off
	v_add_co_u32_e32 v132, vcc, v126, v134
	v_addc_co_u32_e32 v133, vcc, v123, v135, vcc
	global_load_dwordx2 v[178:179], v[132:133], off
.LBB28_12:                              ;   in Loop: Header=BB28_3 Depth=1
	s_or_b64 exec, exec, s[10:11]
	v_add_co_u32_e32 v132, vcc, 2, v144
	v_addc_co_u32_e32 v133, vcc, 0, v145, vcc
	v_cmp_gt_i64_e32 vcc, s[12:13], v[132:133]
	s_and_b64 s[38:39], s[2:3], vcc
	v_pk_mov_b32 v[176:177], v[246:247], v[246:247] op_sel:[0,1]
	s_and_saveexec_b64 s[10:11], s[38:39]
	s_cbranch_execz .LBB28_14
; %bb.13:                               ;   in Loop: Header=BB28_3 Depth=1
	v_add_co_u32_e32 v132, vcc, v120, v134
	v_addc_co_u32_e32 v133, vcc, v117, v135, vcc
	global_load_dwordx2 v[246:247], v[132:133], off
	v_add_co_u32_e32 v132, vcc, v122, v134
	v_addc_co_u32_e32 v133, vcc, v119, v135, vcc
	global_load_dwordx2 v[176:177], v[132:133], off
.LBB28_14:                              ;   in Loop: Header=BB28_3 Depth=1
	s_or_b64 exec, exec, s[10:11]
	v_add_co_u32_e32 v132, vcc, 3, v144
	v_addc_co_u32_e32 v133, vcc, 0, v145, vcc
	v_cmp_gt_i64_e32 vcc, s[12:13], v[132:133]
	v_pk_mov_b32 v[238:239], 0, 0
	s_and_b64 s[38:39], s[2:3], vcc
	v_pk_mov_b32 v[160:161], v[238:239], v[238:239] op_sel:[0,1]
	v_pk_mov_b32 v[168:169], v[238:239], v[238:239] op_sel:[0,1]
	s_and_saveexec_b64 s[10:11], s[38:39]
	s_cbranch_execz .LBB28_16
; %bb.15:                               ;   in Loop: Header=BB28_3 Depth=1
	v_add_co_u32_e32 v132, vcc, v116, v134
	v_addc_co_u32_e32 v133, vcc, v113, v135, vcc
	global_load_dwordx2 v[160:161], v[132:133], off
	v_add_co_u32_e32 v132, vcc, v118, v134
	v_addc_co_u32_e32 v133, vcc, v115, v135, vcc
	global_load_dwordx2 v[168:169], v[132:133], off
.LBB28_16:                              ;   in Loop: Header=BB28_3 Depth=1
	s_or_b64 exec, exec, s[10:11]
	v_add_co_u32_e32 v132, vcc, 4, v144
	v_addc_co_u32_e32 v133, vcc, 0, v145, vcc
	v_cmp_gt_i64_e32 vcc, s[12:13], v[132:133]
	s_and_b64 s[38:39], s[2:3], vcc
	v_pk_mov_b32 v[166:167], v[238:239], v[238:239] op_sel:[0,1]
	s_and_saveexec_b64 s[10:11], s[38:39]
	s_cbranch_execz .LBB28_18
; %bb.17:                               ;   in Loop: Header=BB28_3 Depth=1
	v_add_co_u32_e32 v132, vcc, v112, v134
	v_addc_co_u32_e32 v133, vcc, v109, v135, vcc
	global_load_dwordx2 v[238:239], v[132:133], off
	v_add_co_u32_e32 v132, vcc, v114, v134
	v_addc_co_u32_e32 v133, vcc, v111, v135, vcc
	global_load_dwordx2 v[166:167], v[132:133], off
.LBB28_18:                              ;   in Loop: Header=BB28_3 Depth=1
	;; [unrolled: 34-line block ×11, first 2 shown]
	s_or_b64 exec, exec, s[10:11]
	v_add_co_u32_e32 v140, vcc, 23, v144
	v_addc_co_u32_e32 v141, vcc, 0, v145, vcc
	v_pk_mov_b32 v[158:159], 0, 0
	v_cmp_gt_i64_e32 vcc, s[12:13], v[140:141]
	v_accvgpr_write_b32 a22, v158
	s_and_b64 s[38:39], s[2:3], vcc
	v_pk_mov_b32 v[180:181], v[158:159], v[158:159] op_sel:[0,1]
	v_accvgpr_write_b32 a23, v159
	s_and_saveexec_b64 s[10:11], s[38:39]
	s_cbranch_execz .LBB28_56
; %bb.55:                               ;   in Loop: Header=BB28_3 Depth=1
	v_add_co_u32_e32 v140, vcc, v36, v134
	v_addc_co_u32_e32 v141, vcc, v33, v135, vcc
	global_load_dwordx2 v[180:181], v[140:141], off
	v_add_co_u32_e32 v140, vcc, v38, v134
	v_addc_co_u32_e32 v141, vcc, v35, v135, vcc
	global_load_dwordx2 a[22:23], v[140:141], off
.LBB28_56:                              ;   in Loop: Header=BB28_3 Depth=1
	s_or_b64 exec, exec, s[10:11]
	v_add_co_u32_e32 v140, vcc, 24, v144
	v_addc_co_u32_e32 v141, vcc, 0, v145, vcc
	v_cmp_gt_i64_e32 vcc, s[12:13], v[140:141]
	v_accvgpr_write_b32 a20, v158
	s_and_b64 s[38:39], s[2:3], vcc
	v_accvgpr_write_b32 a21, v159
	s_and_saveexec_b64 s[10:11], s[38:39]
	s_cbranch_execz .LBB28_58
; %bb.57:                               ;   in Loop: Header=BB28_3 Depth=1
	v_add_co_u32_e32 v140, vcc, v32, v134
	v_addc_co_u32_e32 v141, vcc, v29, v135, vcc
	global_load_dwordx2 v[158:159], v[140:141], off
	v_add_co_u32_e32 v140, vcc, v34, v134
	v_addc_co_u32_e32 v141, vcc, v31, v135, vcc
	global_load_dwordx2 a[20:21], v[140:141], off
.LBB28_58:                              ;   in Loop: Header=BB28_3 Depth=1
	s_or_b64 exec, exec, s[10:11]
	v_add_co_u32_e32 v140, vcc, 25, v144
	v_addc_co_u32_e32 v141, vcc, 0, v145, vcc
	v_pk_mov_b32 v[152:153], 0, 0
	v_cmp_gt_i64_e32 vcc, s[12:13], v[140:141]
	v_accvgpr_write_b32 a18, v152
	s_and_b64 s[38:39], s[2:3], vcc
	v_pk_mov_b32 v[170:171], v[152:153], v[152:153] op_sel:[0,1]
	v_accvgpr_write_b32 a19, v153
	s_and_saveexec_b64 s[10:11], s[38:39]
	s_cbranch_execz .LBB28_60
; %bb.59:                               ;   in Loop: Header=BB28_3 Depth=1
	v_add_co_u32_e32 v140, vcc, v28, v134
	v_addc_co_u32_e32 v141, vcc, v25, v135, vcc
	global_load_dwordx2 v[170:171], v[140:141], off
	v_add_co_u32_e32 v140, vcc, v30, v134
	v_addc_co_u32_e32 v141, vcc, v27, v135, vcc
	global_load_dwordx2 a[18:19], v[140:141], off
.LBB28_60:                              ;   in Loop: Header=BB28_3 Depth=1
	s_or_b64 exec, exec, s[10:11]
	v_add_co_u32_e32 v140, vcc, 26, v144
	v_addc_co_u32_e32 v141, vcc, 0, v145, vcc
	v_cmp_gt_i64_e32 vcc, s[12:13], v[140:141]
	v_accvgpr_write_b32 a14, v152
	s_and_b64 s[38:39], s[2:3], vcc
	v_accvgpr_write_b32 a15, v153
	s_and_saveexec_b64 s[10:11], s[38:39]
	s_cbranch_execz .LBB28_62
; %bb.61:                               ;   in Loop: Header=BB28_3 Depth=1
	v_add_co_u32_e32 v140, vcc, v24, v134
	v_addc_co_u32_e32 v141, vcc, v21, v135, vcc
	global_load_dwordx2 v[152:153], v[140:141], off
	v_add_co_u32_e32 v140, vcc, v26, v134
	v_addc_co_u32_e32 v141, vcc, v23, v135, vcc
	global_load_dwordx2 a[14:15], v[140:141], off
.LBB28_62:                              ;   in Loop: Header=BB28_3 Depth=1
	s_or_b64 exec, exec, s[10:11]
	v_add_co_u32_e32 v140, vcc, 27, v144
	v_addc_co_u32_e32 v141, vcc, 0, v145, vcc
	v_pk_mov_b32 v[150:151], 0, 0
	v_cmp_gt_i64_e32 vcc, s[12:13], v[140:141]
	v_accvgpr_write_b32 a12, v150
	s_and_b64 s[38:39], s[2:3], vcc
	v_pk_mov_b32 v[162:163], v[150:151], v[150:151] op_sel:[0,1]
	v_accvgpr_write_b32 a13, v151
	s_and_saveexec_b64 s[10:11], s[38:39]
	s_cbranch_execz .LBB28_64
; %bb.63:                               ;   in Loop: Header=BB28_3 Depth=1
	v_add_co_u32_e32 v140, vcc, v20, v134
	v_addc_co_u32_e32 v141, vcc, v17, v135, vcc
	global_load_dwordx2 v[162:163], v[140:141], off
	v_add_co_u32_e32 v140, vcc, v22, v134
	v_addc_co_u32_e32 v141, vcc, v19, v135, vcc
	global_load_dwordx2 a[12:13], v[140:141], off
.LBB28_64:                              ;   in Loop: Header=BB28_3 Depth=1
	s_or_b64 exec, exec, s[10:11]
	v_add_co_u32_e32 v140, vcc, 28, v144
	v_addc_co_u32_e32 v141, vcc, 0, v145, vcc
	v_cmp_gt_i64_e32 vcc, s[12:13], v[140:141]
	s_and_b64 s[38:39], s[2:3], vcc
	v_pk_mov_b32 v[186:187], v[150:151], v[150:151] op_sel:[0,1]
	s_and_saveexec_b64 s[10:11], s[38:39]
	s_cbranch_execz .LBB28_66
; %bb.65:                               ;   in Loop: Header=BB28_3 Depth=1
	v_add_co_u32_e32 v140, vcc, v16, v134
	v_addc_co_u32_e32 v141, vcc, v13, v135, vcc
	global_load_dwordx2 v[150:151], v[140:141], off
	v_add_co_u32_e32 v140, vcc, v18, v134
	v_addc_co_u32_e32 v141, vcc, v15, v135, vcc
	global_load_dwordx2 v[186:187], v[140:141], off
.LBB28_66:                              ;   in Loop: Header=BB28_3 Depth=1
	s_or_b64 exec, exec, s[10:11]
	v_add_co_u32_e32 v140, vcc, 29, v144
	v_addc_co_u32_e32 v141, vcc, 0, v145, vcc
	v_cmp_gt_i64_e32 vcc, s[12:13], v[140:141]
	v_pk_mov_b32 v[154:155], 0, 0
	s_and_b64 s[38:39], s[2:3], vcc
	v_pk_mov_b32 v[156:157], v[154:155], v[154:155] op_sel:[0,1]
	v_pk_mov_b32 v[184:185], v[154:155], v[154:155] op_sel:[0,1]
	s_and_saveexec_b64 s[10:11], s[38:39]
	s_cbranch_execz .LBB28_68
; %bb.67:                               ;   in Loop: Header=BB28_3 Depth=1
	v_add_co_u32_e32 v140, vcc, v12, v134
	v_addc_co_u32_e32 v141, vcc, v9, v135, vcc
	global_load_dwordx2 v[156:157], v[140:141], off
	v_add_co_u32_e32 v140, vcc, v14, v134
	v_addc_co_u32_e32 v141, vcc, v11, v135, vcc
	global_load_dwordx2 v[184:185], v[140:141], off
.LBB28_68:                              ;   in Loop: Header=BB28_3 Depth=1
	s_or_b64 exec, exec, s[10:11]
	v_add_co_u32_e32 v140, vcc, 30, v144
	v_addc_co_u32_e32 v141, vcc, 0, v145, vcc
	v_cmp_gt_i64_e32 vcc, s[12:13], v[140:141]
	v_accvgpr_write_b32 a16, v154
	s_and_b64 s[38:39], s[2:3], vcc
	v_accvgpr_write_b32 a17, v155
	s_and_saveexec_b64 s[10:11], s[38:39]
	s_cbranch_execz .LBB28_70
; %bb.69:                               ;   in Loop: Header=BB28_3 Depth=1
	v_add_co_u32_e32 v140, vcc, v8, v134
	v_addc_co_u32_e32 v141, vcc, v5, v135, vcc
	global_load_dwordx2 v[154:155], v[140:141], off
	v_add_co_u32_e32 v140, vcc, v10, v134
	v_addc_co_u32_e32 v141, vcc, v7, v135, vcc
	global_load_dwordx2 a[16:17], v[140:141], off
.LBB28_70:                              ;   in Loop: Header=BB28_3 Depth=1
	s_or_b64 exec, exec, s[10:11]
	v_add_co_u32_e32 v140, vcc, 31, v144
	v_addc_co_u32_e32 v141, vcc, 0, v145, vcc
	v_cmp_gt_i64_e32 vcc, s[12:13], v[140:141]
	v_pk_mov_b32 v[140:141], 0, 0
	s_waitcnt vmcnt(0)
	v_accvgpr_write_b32 a10, v186
	v_accvgpr_write_b32 a8, v184
	;; [unrolled: 1-line block ×5, first 2 shown]
	s_and_b64 s[40:41], s[2:3], vcc
	s_mov_b64 s[10:11], 0
	v_accvgpr_write_b32 a7, v141
	s_and_saveexec_b64 s[38:39], s[40:41]
	s_cbranch_execz .LBB28_72
; %bb.71:                               ;   in Loop: Header=BB28_3 Depth=1
	v_add_co_u32_e32 v140, vcc, v4, v134
	v_addc_co_u32_e32 v141, vcc, v1, v135, vcc
	v_add_co_u32_e32 v184, vcc, v6, v134
	v_addc_co_u32_e32 v185, vcc, v3, v135, vcc
	global_load_dwordx2 v[140:141], v[140:141], off
	s_nop 0
	global_load_dwordx2 a[6:7], v[184:185], off
.LBB28_72:                              ;   in Loop: Header=BB28_3 Depth=1
	s_or_b64 exec, exec, s[38:39]
	ds_bpermute_b32 v186, v0, v146
	ds_bpermute_b32 v187, v0, v147
	;; [unrolled: 1-line block ×4, first 2 shown]
	s_waitcnt lgkmcnt(2)
	v_add_f64 v[136:137], v[136:137], -v[186:187]
	v_mul_f64 v[136:137], v[250:251], v[136:137]
	s_waitcnt lgkmcnt(0)
	v_fma_f64 v[136:137], v[136:137], v[184:185], v[138:139]
	v_accvgpr_read_b32 v185, a3
	v_accvgpr_read_b32 v184, a2
	v_add_f64 v[184:185], v[184:185], v[250:251]
	ds_bpermute_b32 v250, v0, v146 offset:4
	ds_bpermute_b32 v251, v0, v147 offset:4
	ds_bpermute_b32 v186, v0, v148 offset:4
	ds_bpermute_b32 v187, v0, v149 offset:4
	s_waitcnt lgkmcnt(2)
	v_add_f64 v[178:179], v[178:179], -v[250:251]
	v_mul_f64 v[178:179], v[174:175], v[178:179]
	v_add_f64 v[174:175], v[184:185], v[174:175]
	ds_bpermute_b32 v184, v0, v146 offset:8
	ds_bpermute_b32 v185, v0, v147 offset:8
	s_waitcnt lgkmcnt(2)
	v_fmac_f64_e32 v[136:137], v[178:179], v[186:187]
	ds_bpermute_b32 v178, v0, v148 offset:8
	ds_bpermute_b32 v179, v0, v149 offset:8
	v_add_f64 v[174:175], v[174:175], v[246:247]
	s_waitcnt lgkmcnt(2)
	v_add_f64 v[176:177], v[176:177], -v[184:185]
	v_mul_f64 v[176:177], v[246:247], v[176:177]
	s_waitcnt lgkmcnt(0)
	v_fmac_f64_e32 v[136:137], v[176:177], v[178:179]
	ds_bpermute_b32 v178, v0, v146 offset:12
	ds_bpermute_b32 v179, v0, v147 offset:12
	;; [unrolled: 1-line block ×4, first 2 shown]
	s_waitcnt lgkmcnt(2)
	v_add_f64 v[168:169], v[168:169], -v[178:179]
	v_mul_f64 v[168:169], v[160:161], v[168:169]
	v_add_f64 v[160:161], v[174:175], v[160:161]
	ds_bpermute_b32 v174, v0, v146 offset:16
	ds_bpermute_b32 v175, v0, v147 offset:16
	s_waitcnt lgkmcnt(2)
	v_fmac_f64_e32 v[136:137], v[168:169], v[176:177]
	ds_bpermute_b32 v168, v0, v148 offset:16
	ds_bpermute_b32 v169, v0, v149 offset:16
	v_add_f64 v[160:161], v[160:161], v[238:239]
	s_waitcnt lgkmcnt(2)
	v_add_f64 v[166:167], v[166:167], -v[174:175]
	v_mul_f64 v[166:167], v[238:239], v[166:167]
	s_waitcnt lgkmcnt(0)
	v_fmac_f64_e32 v[136:137], v[166:167], v[168:169]
	ds_bpermute_b32 v168, v0, v146 offset:20
	ds_bpermute_b32 v169, v0, v147 offset:20
	;; [unrolled: 1-line block ×4, first 2 shown]
	s_waitcnt lgkmcnt(2)
	v_add_f64 v[142:143], v[142:143], -v[168:169]
	v_mul_f64 v[142:143], v[254:255], v[142:143]
	s_waitcnt lgkmcnt(0)
	v_fmac_f64_e32 v[136:137], v[142:143], v[166:167]
	ds_bpermute_b32 v166, v0, v146 offset:24
	ds_bpermute_b32 v167, v0, v147 offset:24
	v_add_f64 v[142:143], v[160:161], v[254:255]
	ds_bpermute_b32 v160, v0, v148 offset:24
	ds_bpermute_b32 v161, v0, v149 offset:24
	s_waitcnt lgkmcnt(2)
	v_add_f64 v[132:133], v[132:133], -v[166:167]
	v_mul_f64 v[132:133], v[230:231], v[132:133]
	s_waitcnt lgkmcnt(0)
	v_fmac_f64_e32 v[136:137], v[132:133], v[160:161]
	ds_bpermute_b32 v160, v0, v146 offset:28
	ds_bpermute_b32 v161, v0, v147 offset:28
	v_add_f64 v[132:133], v[142:143], v[230:231]
	ds_bpermute_b32 v142, v0, v148 offset:28
	ds_bpermute_b32 v143, v0, v149 offset:28
	v_add_f64 v[132:133], v[132:133], v[244:245]
	s_waitcnt lgkmcnt(2)
	v_add_f64 v[160:161], v[252:253], -v[160:161]
	v_mul_f64 v[160:161], v[244:245], v[160:161]
	v_add_f64 v[132:133], v[132:133], v[222:223]
	s_waitcnt lgkmcnt(0)
	v_fmac_f64_e32 v[136:137], v[160:161], v[142:143]
	ds_bpermute_b32 v160, v0, v146 offset:32
	ds_bpermute_b32 v161, v0, v147 offset:32
	ds_bpermute_b32 v142, v0, v148 offset:32
	ds_bpermute_b32 v143, v0, v149 offset:32
	v_add_f64 v[132:133], v[132:133], v[236:237]
	v_add_f64 v[132:133], v[132:133], v[214:215]
	s_waitcnt lgkmcnt(2)
	v_add_f64 v[160:161], v[248:249], -v[160:161]
	v_mul_f64 v[160:161], v[222:223], v[160:161]
	s_waitcnt lgkmcnt(0)
	v_fmac_f64_e32 v[136:137], v[160:161], v[142:143]
	ds_bpermute_b32 v160, v0, v146 offset:36
	ds_bpermute_b32 v161, v0, v147 offset:36
	ds_bpermute_b32 v142, v0, v148 offset:36
	ds_bpermute_b32 v143, v0, v149 offset:36
	v_add_f64 v[132:133], v[132:133], v[228:229]
	v_add_f64 v[132:133], v[132:133], v[206:207]
	s_waitcnt lgkmcnt(2)
	v_add_f64 v[160:161], v[242:243], -v[160:161]
	v_mul_f64 v[160:161], v[236:237], v[160:161]
	;; [unrolled: 11-line block ×11, first 2 shown]
	s_waitcnt lgkmcnt(0)
	v_fmac_f64_e32 v[136:137], v[160:161], v[142:143]
	ds_bpermute_b32 v160, v0, v146 offset:76
	ds_bpermute_b32 v161, v0, v147 offset:76
	ds_bpermute_b32 v142, v0, v148 offset:76
	ds_bpermute_b32 v143, v0, v149 offset:76
	s_waitcnt lgkmcnt(2)
	v_add_f64 v[160:161], v[202:203], -v[160:161]
	v_mul_f64 v[160:161], v[196:197], v[160:161]
	s_waitcnt lgkmcnt(0)
	v_fmac_f64_e32 v[136:137], v[160:161], v[142:143]
	ds_bpermute_b32 v160, v0, v146 offset:80
	ds_bpermute_b32 v161, v0, v147 offset:80
	ds_bpermute_b32 v142, v0, v148 offset:80
	ds_bpermute_b32 v143, v0, v149 offset:80
	s_waitcnt lgkmcnt(2)
	v_add_f64 v[160:161], v[200:201], -v[160:161]
	v_mul_f64 v[160:161], v[172:173], v[160:161]
	;; [unrolled: 9-line block ×4, first 2 shown]
	s_waitcnt lgkmcnt(0)
	v_fmac_f64_e32 v[136:137], v[160:161], v[142:143]
	ds_bpermute_b32 v160, v0, v146 offset:92
	ds_bpermute_b32 v161, v0, v147 offset:92
	;; [unrolled: 1-line block ×4, first 2 shown]
	v_accvgpr_read_b32 v165, a23
	v_accvgpr_read_b32 v164, a22
	s_waitcnt lgkmcnt(2)
	v_add_f64 v[160:161], v[164:165], -v[160:161]
	v_mul_f64 v[160:161], v[180:181], v[160:161]
	s_waitcnt lgkmcnt(0)
	v_fmac_f64_e32 v[136:137], v[160:161], v[142:143]
	ds_bpermute_b32 v160, v0, v146 offset:96
	ds_bpermute_b32 v161, v0, v147 offset:96
	ds_bpermute_b32 v142, v0, v148 offset:96
	ds_bpermute_b32 v143, v0, v149 offset:96
	v_accvgpr_read_b32 v165, a21
	v_accvgpr_read_b32 v164, a20
	s_waitcnt lgkmcnt(2)
	v_add_f64 v[160:161], v[164:165], -v[160:161]
	v_mul_f64 v[160:161], v[158:159], v[160:161]
	ds_bpermute_b32 v158, v0, v146 offset:100
	ds_bpermute_b32 v159, v0, v147 offset:100
	s_waitcnt lgkmcnt(2)
	v_fmac_f64_e32 v[136:137], v[160:161], v[142:143]
	ds_bpermute_b32 v142, v0, v148 offset:100
	ds_bpermute_b32 v143, v0, v149 offset:100
	v_accvgpr_read_b32 v161, a19
	v_accvgpr_read_b32 v160, a18
	s_waitcnt lgkmcnt(2)
	v_add_f64 v[158:159], v[160:161], -v[158:159]
	v_mul_f64 v[158:159], v[170:171], v[158:159]
	s_waitcnt lgkmcnt(0)
	v_fmac_f64_e32 v[136:137], v[158:159], v[142:143]
	ds_bpermute_b32 v158, v0, v146 offset:104
	ds_bpermute_b32 v159, v0, v147 offset:104
	ds_bpermute_b32 v142, v0, v148 offset:104
	ds_bpermute_b32 v143, v0, v149 offset:104
	v_accvgpr_read_b32 v161, a15
	v_accvgpr_read_b32 v160, a14
	s_waitcnt lgkmcnt(2)
	v_add_f64 v[158:159], v[160:161], -v[158:159]
	v_mul_f64 v[158:159], v[152:153], v[158:159]
	ds_bpermute_b32 v152, v0, v146 offset:108
	ds_bpermute_b32 v153, v0, v147 offset:108
	s_waitcnt lgkmcnt(2)
	v_fmac_f64_e32 v[136:137], v[158:159], v[142:143]
	ds_bpermute_b32 v142, v0, v148 offset:108
	ds_bpermute_b32 v143, v0, v149 offset:108
	;; [unrolled: 22-line block ×3, first 2 shown]
	v_accvgpr_read_b32 v153, a9
	v_accvgpr_read_b32 v152, a8
	s_waitcnt lgkmcnt(2)
	v_add_f64 v[150:151], v[152:153], -v[150:151]
	v_mul_f64 v[150:151], v[156:157], v[150:151]
	s_waitcnt lgkmcnt(0)
	v_fmac_f64_e32 v[136:137], v[150:151], v[142:143]
	ds_bpermute_b32 v150, v0, v146 offset:120
	ds_bpermute_b32 v151, v0, v147 offset:120
	;; [unrolled: 1-line block ×4, first 2 shown]
	v_accvgpr_read_b32 v153, a17
	v_accvgpr_read_b32 v152, a16
	s_waitcnt lgkmcnt(2)
	v_add_f64 v[150:151], v[152:153], -v[150:151]
	v_mul_f64 v[150:151], v[154:155], v[150:151]
	s_waitcnt lgkmcnt(0)
	v_fmac_f64_e32 v[136:137], v[150:151], v[142:143]
	ds_bpermute_b32 v142, v0, v148 offset:124
	ds_bpermute_b32 v143, v0, v149 offset:124
	;; [unrolled: 1-line block ×4, first 2 shown]
	s_and_b64 vcc, exec, s[10:11]
	s_cbranch_vccnz .LBB28_74
	s_branch .LBB28_143
.LBB28_73:                              ;   in Loop: Header=BB28_3 Depth=1
                                        ; implicit-def: $vgpr142_vgpr143
                                        ; implicit-def: $vgpr140_vgpr141
                                        ; implicit-def: $agpr6_agpr7
                                        ; implicit-def: $vgpr146
                                        ; implicit-def: $vgpr132_vgpr133
                                        ; implicit-def: $vgpr136_vgpr137
	s_cbranch_execz .LBB28_143
.LBB28_74:                              ;   in Loop: Header=BB28_3 Depth=1
	s_load_dword s10, s[28:29], 0x0
	v_accvgpr_read_b32 v133, a5
	v_pk_mov_b32 v[254:255], 0, 0
	s_waitcnt lgkmcnt(0)
	v_pk_mov_b32 v[146:147], v[254:255], v[254:255] op_sel:[0,1]
	v_pk_mov_b32 v[136:137], v[254:255], v[254:255] op_sel:[0,1]
	s_cmp_lt_u32 s6, s10
	s_cselect_b32 s10, 12, 18
	s_add_u32 s10, s28, s10
	s_addc_u32 s11, s29, 0
	global_load_ushort v132, v133, s[10:11]
	v_accvgpr_read_b32 v133, a1
	s_waitcnt vmcnt(0)
	v_mad_u32_u24 v132, v133, v132, v131
	v_and_b32_e32 v132, 63, v132
	v_cmp_gt_u32_e32 vcc, 32, v132
	s_and_saveexec_b64 s[10:11], vcc
	s_cbranch_execz .LBB28_78
; %bb.75:                               ;   in Loop: Header=BB28_3 Depth=1
	v_add_co_u32_e32 v132, vcc, v144, v132
	v_addc_co_u32_e32 v133, vcc, 0, v145, vcc
	v_pk_mov_b32 v[136:137], 0, 0
	v_cmp_gt_i64_e32 vcc, s[12:13], v[132:133]
	v_pk_mov_b32 v[146:147], v[136:137], v[136:137] op_sel:[0,1]
	s_and_saveexec_b64 s[38:39], vcc
	s_cbranch_execz .LBB28_77
; %bb.76:                               ;   in Loop: Header=BB28_3 Depth=1
	v_lshlrev_b64 v[132:133], 3, v[132:133]
	v_mov_b32_e32 v136, s23
	v_add_co_u32_e32 v140, vcc, s22, v132
	v_addc_co_u32_e32 v141, vcc, v136, v133, vcc
	v_mov_b32_e32 v136, s21
	v_add_co_u32_e32 v132, vcc, s20, v132
	v_addc_co_u32_e32 v133, vcc, v136, v133, vcc
	global_load_dwordx2 v[136:137], v[132:133], off
	global_load_dwordx2 v[146:147], v[140:141], off
.LBB28_77:                              ;   in Loop: Header=BB28_3 Depth=1
	s_or_b64 exec, exec, s[38:39]
.LBB28_78:                              ;   in Loop: Header=BB28_3 Depth=1
	s_or_b64 exec, exec, s[10:11]
	v_pk_mov_b32 v[166:167], v[254:255], v[254:255] op_sel:[0,1]
	s_and_saveexec_b64 s[10:11], s[2:3]
	s_cbranch_execz .LBB28_80
; %bb.79:                               ;   in Loop: Header=BB28_3 Depth=1
	v_add_co_u32_e32 v132, vcc, v128, v134
	v_addc_co_u32_e32 v133, vcc, v125, v135, vcc
	global_load_dwordx2 v[254:255], v[132:133], off
	v_add_co_u32_e32 v132, vcc, v130, v134
	v_addc_co_u32_e32 v133, vcc, v127, v135, vcc
	global_load_dwordx2 v[166:167], v[132:133], off
.LBB28_80:                              ;   in Loop: Header=BB28_3 Depth=1
	s_or_b64 exec, exec, s[10:11]
	v_pk_mov_b32 v[248:249], 0, 0
	v_pk_mov_b32 v[158:159], v[248:249], v[248:249] op_sel:[0,1]
	v_pk_mov_b32 v[162:163], v[248:249], v[248:249] op_sel:[0,1]
	s_and_saveexec_b64 s[10:11], s[2:3]
	s_cbranch_execz .LBB28_82
; %bb.81:                               ;   in Loop: Header=BB28_3 Depth=1
	v_add_co_u32_e32 v132, vcc, v124, v134
	v_addc_co_u32_e32 v133, vcc, v121, v135, vcc
	global_load_dwordx2 v[158:159], v[132:133], off
	v_add_co_u32_e32 v132, vcc, v126, v134
	v_addc_co_u32_e32 v133, vcc, v123, v135, vcc
	global_load_dwordx2 v[162:163], v[132:133], off
.LBB28_82:                              ;   in Loop: Header=BB28_3 Depth=1
	s_or_b64 exec, exec, s[10:11]
	v_pk_mov_b32 v[154:155], v[248:249], v[248:249] op_sel:[0,1]
	s_and_saveexec_b64 s[10:11], s[2:3]
	s_cbranch_execz .LBB28_84
; %bb.83:                               ;   in Loop: Header=BB28_3 Depth=1
	v_add_co_u32_e32 v132, vcc, v120, v134
	v_addc_co_u32_e32 v133, vcc, v117, v135, vcc
	global_load_dwordx2 v[248:249], v[132:133], off
	v_add_co_u32_e32 v132, vcc, v122, v134
	v_addc_co_u32_e32 v133, vcc, v119, v135, vcc
	global_load_dwordx2 v[154:155], v[132:133], off
.LBB28_84:                              ;   in Loop: Header=BB28_3 Depth=1
	s_or_b64 exec, exec, s[10:11]
	v_pk_mov_b32 v[240:241], 0, 0
	v_pk_mov_b32 v[252:253], v[240:241], v[240:241] op_sel:[0,1]
	v_pk_mov_b32 v[150:151], v[240:241], v[240:241] op_sel:[0,1]
	s_and_saveexec_b64 s[10:11], s[2:3]
	s_cbranch_execz .LBB28_86
; %bb.85:                               ;   in Loop: Header=BB28_3 Depth=1
	v_add_co_u32_e32 v132, vcc, v116, v134
	v_addc_co_u32_e32 v133, vcc, v113, v135, vcc
	global_load_dwordx2 v[252:253], v[132:133], off
	v_add_co_u32_e32 v132, vcc, v118, v134
	v_addc_co_u32_e32 v133, vcc, v115, v135, vcc
	global_load_dwordx2 v[150:151], v[132:133], off
.LBB28_86:                              ;   in Loop: Header=BB28_3 Depth=1
	;; [unrolled: 26-line block ×5, first 2 shown]
	s_or_b64 exec, exec, s[10:11]
	v_pk_mov_b32 v[226:227], v[216:217], v[216:217] op_sel:[0,1]
	s_and_saveexec_b64 s[10:11], s[2:3]
	s_cbranch_execz .LBB28_100
; %bb.99:                               ;   in Loop: Header=BB28_3 Depth=1
	v_add_co_u32_e32 v132, vcc, v88, v134
	v_addc_co_u32_e32 v133, vcc, v85, v135, vcc
	global_load_dwordx2 v[216:217], v[132:133], off
	v_add_co_u32_e32 v132, vcc, v90, v134
	v_addc_co_u32_e32 v133, vcc, v87, v135, vcc
	global_load_dwordx2 v[226:227], v[132:133], off
.LBB28_100:                             ;   in Loop: Header=BB28_3 Depth=1
	s_or_b64 exec, exec, s[10:11]
	v_pk_mov_b32 v[208:209], 0, 0
	v_pk_mov_b32 v[220:221], v[208:209], v[208:209] op_sel:[0,1]
	v_pk_mov_b32 v[222:223], v[208:209], v[208:209] op_sel:[0,1]
	s_and_saveexec_b64 s[10:11], s[2:3]
	s_cbranch_execz .LBB28_102
; %bb.101:                              ;   in Loop: Header=BB28_3 Depth=1
	v_add_co_u32_e32 v132, vcc, v84, v134
	v_addc_co_u32_e32 v133, vcc, v81, v135, vcc
	global_load_dwordx2 v[220:221], v[132:133], off
	v_add_co_u32_e32 v132, vcc, v86, v134
	v_addc_co_u32_e32 v133, vcc, v83, v135, vcc
	global_load_dwordx2 v[222:223], v[132:133], off
.LBB28_102:                             ;   in Loop: Header=BB28_3 Depth=1
	s_or_b64 exec, exec, s[10:11]
	v_pk_mov_b32 v[218:219], v[208:209], v[208:209] op_sel:[0,1]
	s_and_saveexec_b64 s[10:11], s[2:3]
	s_cbranch_execz .LBB28_104
; %bb.103:                              ;   in Loop: Header=BB28_3 Depth=1
	v_add_co_u32_e32 v132, vcc, v80, v134
	v_addc_co_u32_e32 v133, vcc, v77, v135, vcc
	global_load_dwordx2 v[208:209], v[132:133], off
	v_add_co_u32_e32 v132, vcc, v82, v134
	v_addc_co_u32_e32 v133, vcc, v79, v135, vcc
	global_load_dwordx2 v[218:219], v[132:133], off
.LBB28_104:                             ;   in Loop: Header=BB28_3 Depth=1
	s_or_b64 exec, exec, s[10:11]
	v_pk_mov_b32 v[200:201], 0, 0
	v_pk_mov_b32 v[212:213], v[200:201], v[200:201] op_sel:[0,1]
	v_pk_mov_b32 v[214:215], v[200:201], v[200:201] op_sel:[0,1]
	s_and_saveexec_b64 s[10:11], s[2:3]
	s_cbranch_execz .LBB28_106
; %bb.105:                              ;   in Loop: Header=BB28_3 Depth=1
	v_add_co_u32_e32 v132, vcc, v76, v134
	v_addc_co_u32_e32 v133, vcc, v73, v135, vcc
	global_load_dwordx2 v[212:213], v[132:133], off
	v_add_co_u32_e32 v132, vcc, v78, v134
	v_addc_co_u32_e32 v133, vcc, v75, v135, vcc
	global_load_dwordx2 v[214:215], v[132:133], off
.LBB28_106:                             ;   in Loop: Header=BB28_3 Depth=1
	s_or_b64 exec, exec, s[10:11]
	v_pk_mov_b32 v[210:211], v[200:201], v[200:201] op_sel:[0,1]
	s_and_saveexec_b64 s[10:11], s[2:3]
	s_cbranch_execz .LBB28_108
; %bb.107:                              ;   in Loop: Header=BB28_3 Depth=1
	v_add_co_u32_e32 v132, vcc, v72, v134
	v_addc_co_u32_e32 v133, vcc, v69, v135, vcc
	global_load_dwordx2 v[200:201], v[132:133], off
	v_add_co_u32_e32 v132, vcc, v74, v134
	v_addc_co_u32_e32 v133, vcc, v71, v135, vcc
	global_load_dwordx2 v[210:211], v[132:133], off
.LBB28_108:                             ;   in Loop: Header=BB28_3 Depth=1
	;; [unrolled: 26-line block ×3, first 2 shown]
	s_or_b64 exec, exec, s[10:11]
	v_pk_mov_b32 v[188:189], 0, 0
	v_pk_mov_b32 v[132:133], v[188:189], v[188:189] op_sel:[0,1]
	v_pk_mov_b32 v[142:143], v[188:189], v[188:189] op_sel:[0,1]
	s_and_saveexec_b64 s[10:11], s[2:3]
	s_cbranch_execz .LBB28_114
; %bb.113:                              ;   in Loop: Header=BB28_3 Depth=1
	v_add_co_u32_e32 v132, vcc, v60, v134
	v_addc_co_u32_e32 v133, vcc, v57, v135, vcc
	v_add_co_u32_e32 v140, vcc, v62, v134
	v_addc_co_u32_e32 v141, vcc, v59, v135, vcc
	global_load_dwordx2 v[132:133], v[132:133], off
	s_nop 0
	global_load_dwordx2 v[142:143], v[140:141], off
.LBB28_114:                             ;   in Loop: Header=BB28_3 Depth=1
	s_or_b64 exec, exec, s[10:11]
	v_pk_mov_b32 v[198:199], v[188:189], v[188:189] op_sel:[0,1]
	s_and_saveexec_b64 s[10:11], s[2:3]
	s_cbranch_execz .LBB28_116
; %bb.115:                              ;   in Loop: Header=BB28_3 Depth=1
	v_add_co_u32_e32 v140, vcc, v56, v134
	v_addc_co_u32_e32 v141, vcc, v53, v135, vcc
	global_load_dwordx2 v[188:189], v[140:141], off
	v_add_co_u32_e32 v140, vcc, v58, v134
	v_addc_co_u32_e32 v141, vcc, v55, v135, vcc
	global_load_dwordx2 v[198:199], v[140:141], off
.LBB28_116:                             ;   in Loop: Header=BB28_3 Depth=1
	s_or_b64 exec, exec, s[10:11]
	v_pk_mov_b32 v[180:181], 0, 0
	v_pk_mov_b32 v[192:193], v[180:181], v[180:181] op_sel:[0,1]
	v_pk_mov_b32 v[194:195], v[180:181], v[180:181] op_sel:[0,1]
	s_and_saveexec_b64 s[10:11], s[2:3]
	s_cbranch_execz .LBB28_118
; %bb.117:                              ;   in Loop: Header=BB28_3 Depth=1
	v_add_co_u32_e32 v140, vcc, v52, v134
	v_addc_co_u32_e32 v141, vcc, v49, v135, vcc
	global_load_dwordx2 v[192:193], v[140:141], off
	v_add_co_u32_e32 v140, vcc, v54, v134
	v_addc_co_u32_e32 v141, vcc, v51, v135, vcc
	global_load_dwordx2 v[194:195], v[140:141], off
.LBB28_118:                             ;   in Loop: Header=BB28_3 Depth=1
	s_or_b64 exec, exec, s[10:11]
	v_pk_mov_b32 v[190:191], v[180:181], v[180:181] op_sel:[0,1]
	s_and_saveexec_b64 s[10:11], s[2:3]
	s_cbranch_execz .LBB28_120
; %bb.119:                              ;   in Loop: Header=BB28_3 Depth=1
	v_add_co_u32_e32 v140, vcc, v48, v134
	v_addc_co_u32_e32 v141, vcc, v45, v135, vcc
	global_load_dwordx2 v[180:181], v[140:141], off
	v_add_co_u32_e32 v140, vcc, v50, v134
	v_addc_co_u32_e32 v141, vcc, v47, v135, vcc
	global_load_dwordx2 v[190:191], v[140:141], off
.LBB28_120:                             ;   in Loop: Header=BB28_3 Depth=1
	s_or_b64 exec, exec, s[10:11]
	v_pk_mov_b32 v[172:173], 0, 0
	v_pk_mov_b32 v[184:185], v[172:173], v[172:173] op_sel:[0,1]
	v_pk_mov_b32 v[186:187], v[172:173], v[172:173] op_sel:[0,1]
	s_and_saveexec_b64 s[10:11], s[2:3]
	s_cbranch_execz .LBB28_122
; %bb.121:                              ;   in Loop: Header=BB28_3 Depth=1
	v_add_co_u32_e32 v140, vcc, v44, v134
	v_addc_co_u32_e32 v141, vcc, v41, v135, vcc
	global_load_dwordx2 v[184:185], v[140:141], off
	v_add_co_u32_e32 v140, vcc, v46, v134
	v_addc_co_u32_e32 v141, vcc, v43, v135, vcc
	global_load_dwordx2 v[186:187], v[140:141], off
.LBB28_122:                             ;   in Loop: Header=BB28_3 Depth=1
	;; [unrolled: 26-line block ×3, first 2 shown]
	s_or_b64 exec, exec, s[10:11]
	v_accvgpr_write_b32 a20, v164
	v_accvgpr_write_b32 a21, v165
	s_and_saveexec_b64 s[10:11], s[2:3]
	s_cbranch_execz .LBB28_128
; %bb.127:                              ;   in Loop: Header=BB28_3 Depth=1
	v_add_co_u32_e32 v140, vcc, v32, v134
	v_addc_co_u32_e32 v141, vcc, v29, v135, vcc
	global_load_dwordx2 v[164:165], v[140:141], off
	v_add_co_u32_e32 v140, vcc, v34, v134
	v_addc_co_u32_e32 v141, vcc, v31, v135, vcc
	global_load_dwordx2 a[20:21], v[140:141], off
.LBB28_128:                             ;   in Loop: Header=BB28_3 Depth=1
	s_or_b64 exec, exec, s[10:11]
	v_pk_mov_b32 v[156:157], 0, 0
	v_accvgpr_write_b32 a18, v156
	v_pk_mov_b32 v[168:169], v[156:157], v[156:157] op_sel:[0,1]
	v_accvgpr_write_b32 a19, v157
	s_and_saveexec_b64 s[10:11], s[2:3]
	s_cbranch_execz .LBB28_130
; %bb.129:                              ;   in Loop: Header=BB28_3 Depth=1
	v_add_co_u32_e32 v140, vcc, v28, v134
	v_addc_co_u32_e32 v141, vcc, v25, v135, vcc
	global_load_dwordx2 v[168:169], v[140:141], off
	v_add_co_u32_e32 v140, vcc, v30, v134
	v_addc_co_u32_e32 v141, vcc, v27, v135, vcc
	global_load_dwordx2 a[18:19], v[140:141], off
.LBB28_130:                             ;   in Loop: Header=BB28_3 Depth=1
	s_or_b64 exec, exec, s[10:11]
	v_accvgpr_write_b32 a16, v156
	v_accvgpr_write_b32 a17, v157
	s_and_saveexec_b64 s[10:11], s[2:3]
	s_cbranch_execz .LBB28_132
; %bb.131:                              ;   in Loop: Header=BB28_3 Depth=1
	v_add_co_u32_e32 v140, vcc, v24, v134
	v_addc_co_u32_e32 v141, vcc, v21, v135, vcc
	global_load_dwordx2 v[156:157], v[140:141], off
	v_add_co_u32_e32 v140, vcc, v26, v134
	v_addc_co_u32_e32 v141, vcc, v23, v135, vcc
	global_load_dwordx2 a[16:17], v[140:141], off
.LBB28_132:                             ;   in Loop: Header=BB28_3 Depth=1
	s_or_b64 exec, exec, s[10:11]
	v_pk_mov_b32 v[148:149], 0, 0
	v_accvgpr_write_b32 a14, v148
	v_pk_mov_b32 v[160:161], v[148:149], v[148:149] op_sel:[0,1]
	v_accvgpr_write_b32 a15, v149
	s_and_saveexec_b64 s[10:11], s[2:3]
	s_cbranch_execz .LBB28_134
; %bb.133:                              ;   in Loop: Header=BB28_3 Depth=1
	v_add_co_u32_e32 v140, vcc, v20, v134
	v_addc_co_u32_e32 v141, vcc, v17, v135, vcc
	global_load_dwordx2 v[160:161], v[140:141], off
	v_add_co_u32_e32 v140, vcc, v22, v134
	v_addc_co_u32_e32 v141, vcc, v19, v135, vcc
	global_load_dwordx2 a[14:15], v[140:141], off
.LBB28_134:                             ;   in Loop: Header=BB28_3 Depth=1
	s_or_b64 exec, exec, s[10:11]
	v_pk_mov_b32 v[174:175], v[148:149], v[148:149] op_sel:[0,1]
	s_and_saveexec_b64 s[10:11], s[2:3]
	s_cbranch_execz .LBB28_136
; %bb.135:                              ;   in Loop: Header=BB28_3 Depth=1
	v_add_co_u32_e32 v140, vcc, v16, v134
	v_addc_co_u32_e32 v141, vcc, v13, v135, vcc
	global_load_dwordx2 v[148:149], v[140:141], off
	v_add_co_u32_e32 v140, vcc, v18, v134
	v_addc_co_u32_e32 v141, vcc, v15, v135, vcc
	global_load_dwordx2 v[174:175], v[140:141], off
.LBB28_136:                             ;   in Loop: Header=BB28_3 Depth=1
	s_or_b64 exec, exec, s[10:11]
	v_pk_mov_b32 v[144:145], 0, 0
	v_pk_mov_b32 v[152:153], v[144:145], v[144:145] op_sel:[0,1]
	v_pk_mov_b32 v[170:171], v[144:145], v[144:145] op_sel:[0,1]
	s_and_saveexec_b64 s[10:11], s[2:3]
	s_cbranch_execz .LBB28_138
; %bb.137:                              ;   in Loop: Header=BB28_3 Depth=1
	v_add_co_u32_e32 v140, vcc, v12, v134
	v_addc_co_u32_e32 v141, vcc, v9, v135, vcc
	global_load_dwordx2 v[152:153], v[140:141], off
	v_add_co_u32_e32 v140, vcc, v14, v134
	v_addc_co_u32_e32 v141, vcc, v11, v135, vcc
	global_load_dwordx2 v[170:171], v[140:141], off
.LBB28_138:                             ;   in Loop: Header=BB28_3 Depth=1
	s_or_b64 exec, exec, s[10:11]
	v_pk_mov_b32 v[140:141], v[144:145], v[144:145] op_sel:[0,1]
	s_and_saveexec_b64 s[10:11], s[2:3]
	s_cbranch_execz .LBB28_140
; %bb.139:                              ;   in Loop: Header=BB28_3 Depth=1
	v_add_co_u32_e32 v140, vcc, v8, v134
	v_addc_co_u32_e32 v141, vcc, v5, v135, vcc
	global_load_dwordx2 v[144:145], v[140:141], off
	v_add_co_u32_e32 v140, vcc, v10, v134
	v_addc_co_u32_e32 v141, vcc, v7, v135, vcc
	global_load_dwordx2 v[140:141], v[140:141], off
.LBB28_140:                             ;   in Loop: Header=BB28_3 Depth=1
	s_or_b64 exec, exec, s[10:11]
	s_waitcnt vmcnt(0)
	v_accvgpr_write_b32 a8, v140
	v_accvgpr_write_b32 a9, v141
	v_pk_mov_b32 v[140:141], 0, 0
	v_accvgpr_write_b32 a12, v174
	v_accvgpr_write_b32 a10, v170
	;; [unrolled: 1-line block ×6, first 2 shown]
	s_and_saveexec_b64 s[10:11], s[2:3]
	s_cbranch_execz .LBB28_142
; %bb.141:                              ;   in Loop: Header=BB28_3 Depth=1
	v_add_co_u32_e32 v140, vcc, v4, v134
	v_addc_co_u32_e32 v141, vcc, v1, v135, vcc
	v_add_co_u32_e32 v170, vcc, v6, v134
	v_addc_co_u32_e32 v171, vcc, v3, v135, vcc
	global_load_dwordx2 v[140:141], v[140:141], off
	s_nop 0
	global_load_dwordx2 a[6:7], v[170:171], off
.LBB28_142:                             ;   in Loop: Header=BB28_3 Depth=1
	s_or_b64 exec, exec, s[10:11]
	ds_bpermute_b32 v174, v0, v136
	ds_bpermute_b32 v175, v0, v137
	;; [unrolled: 1-line block ×4, first 2 shown]
	s_waitcnt lgkmcnt(2)
	v_add_f64 v[166:167], v[166:167], -v[174:175]
	ds_bpermute_b32 v174, v0, v136 offset:4
	ds_bpermute_b32 v175, v0, v137 offset:4
	v_mul_f64 v[166:167], v[254:255], v[166:167]
	s_waitcnt lgkmcnt(2)
	v_fmac_f64_e32 v[138:139], v[166:167], v[170:171]
	v_accvgpr_read_b32 v167, a3
	ds_bpermute_b32 v170, v0, v146 offset:4
	ds_bpermute_b32 v171, v0, v147 offset:4
	v_accvgpr_read_b32 v166, a2
	v_add_f64 v[166:167], v[166:167], v[254:255]
	s_waitcnt lgkmcnt(2)
	v_add_f64 v[162:163], v[162:163], -v[174:175]
	v_mul_f64 v[162:163], v[158:159], v[162:163]
	v_add_f64 v[158:159], v[166:167], v[158:159]
	ds_bpermute_b32 v166, v0, v136 offset:8
	ds_bpermute_b32 v167, v0, v137 offset:8
	s_waitcnt lgkmcnt(2)
	v_fmac_f64_e32 v[138:139], v[162:163], v[170:171]
	ds_bpermute_b32 v162, v0, v146 offset:8
	ds_bpermute_b32 v163, v0, v147 offset:8
	s_waitcnt lgkmcnt(2)
	v_add_f64 v[154:155], v[154:155], -v[166:167]
	v_mul_f64 v[154:155], v[248:249], v[154:155]
	s_waitcnt lgkmcnt(0)
	v_fmac_f64_e32 v[138:139], v[154:155], v[162:163]
	ds_bpermute_b32 v162, v0, v136 offset:12
	ds_bpermute_b32 v163, v0, v137 offset:12
	v_add_f64 v[154:155], v[158:159], v[248:249]
	ds_bpermute_b32 v158, v0, v146 offset:12
	ds_bpermute_b32 v159, v0, v147 offset:12
	s_waitcnt lgkmcnt(2)
	v_add_f64 v[150:151], v[150:151], -v[162:163]
	v_mul_f64 v[150:151], v[252:253], v[150:151]
	s_waitcnt lgkmcnt(0)
	v_fmac_f64_e32 v[138:139], v[150:151], v[158:159]
	ds_bpermute_b32 v158, v0, v136 offset:16
	ds_bpermute_b32 v159, v0, v137 offset:16
	v_add_f64 v[150:151], v[154:155], v[252:253]
	ds_bpermute_b32 v154, v0, v146 offset:16
	ds_bpermute_b32 v155, v0, v147 offset:16
	v_add_f64 v[150:151], v[150:151], v[240:241]
	s_waitcnt lgkmcnt(2)
	v_add_f64 v[158:159], v[250:251], -v[158:159]
	v_mul_f64 v[158:159], v[240:241], v[158:159]
	v_add_f64 v[150:151], v[150:151], v[244:245]
	s_waitcnt lgkmcnt(0)
	v_fmac_f64_e32 v[138:139], v[158:159], v[154:155]
	ds_bpermute_b32 v158, v0, v136 offset:20
	ds_bpermute_b32 v159, v0, v137 offset:20
	ds_bpermute_b32 v154, v0, v146 offset:20
	ds_bpermute_b32 v155, v0, v147 offset:20
	v_add_f64 v[150:151], v[150:151], v[232:233]
	v_add_f64 v[150:151], v[150:151], v[236:237]
	s_waitcnt lgkmcnt(2)
	v_add_f64 v[158:159], v[246:247], -v[158:159]
	v_mul_f64 v[158:159], v[244:245], v[158:159]
	s_waitcnt lgkmcnt(0)
	v_fmac_f64_e32 v[138:139], v[158:159], v[154:155]
	ds_bpermute_b32 v158, v0, v136 offset:24
	ds_bpermute_b32 v159, v0, v137 offset:24
	ds_bpermute_b32 v154, v0, v146 offset:24
	ds_bpermute_b32 v155, v0, v147 offset:24
	v_add_f64 v[150:151], v[150:151], v[224:225]
	v_add_f64 v[150:151], v[150:151], v[228:229]
	s_waitcnt lgkmcnt(2)
	v_add_f64 v[158:159], v[242:243], -v[158:159]
	v_mul_f64 v[158:159], v[232:233], v[158:159]
	;; [unrolled: 11-line block ×5, first 2 shown]
	s_waitcnt lgkmcnt(0)
	v_fmac_f64_e32 v[138:139], v[158:159], v[154:155]
	ds_bpermute_b32 v158, v0, v136 offset:40
	ds_bpermute_b32 v159, v0, v137 offset:40
	;; [unrolled: 1-line block ×4, first 2 shown]
	v_add_f64 v[150:151], v[150:151], v[196:197]
	s_waitcnt lgkmcnt(2)
	v_add_f64 v[158:159], v[226:227], -v[158:159]
	v_mul_f64 v[158:159], v[216:217], v[158:159]
	s_waitcnt lgkmcnt(0)
	v_fmac_f64_e32 v[138:139], v[158:159], v[154:155]
	ds_bpermute_b32 v158, v0, v136 offset:44
	ds_bpermute_b32 v159, v0, v137 offset:44
	ds_bpermute_b32 v154, v0, v146 offset:44
	ds_bpermute_b32 v155, v0, v147 offset:44
	s_waitcnt lgkmcnt(2)
	v_add_f64 v[158:159], v[222:223], -v[158:159]
	v_mul_f64 v[158:159], v[220:221], v[158:159]
	s_waitcnt lgkmcnt(0)
	v_fmac_f64_e32 v[138:139], v[158:159], v[154:155]
	ds_bpermute_b32 v158, v0, v136 offset:48
	ds_bpermute_b32 v159, v0, v137 offset:48
	ds_bpermute_b32 v154, v0, v146 offset:48
	ds_bpermute_b32 v155, v0, v147 offset:48
	;; [unrolled: 9-line block ×7, first 2 shown]
	s_waitcnt lgkmcnt(2)
	v_add_f64 v[142:143], v[142:143], -v[158:159]
	v_mul_f64 v[142:143], v[132:133], v[142:143]
	v_add_f64 v[132:133], v[150:151], v[132:133]
	ds_bpermute_b32 v150, v0, v136 offset:72
	ds_bpermute_b32 v151, v0, v137 offset:72
	s_waitcnt lgkmcnt(2)
	v_fmac_f64_e32 v[138:139], v[142:143], v[154:155]
	ds_bpermute_b32 v142, v0, v146 offset:72
	ds_bpermute_b32 v143, v0, v147 offset:72
	v_accvgpr_read_b32 v155, a21
	s_waitcnt lgkmcnt(2)
	v_add_f64 v[150:151], v[198:199], -v[150:151]
	v_mul_f64 v[150:151], v[188:189], v[150:151]
	v_accvgpr_read_b32 v154, a20
	s_waitcnt lgkmcnt(0)
	v_fmac_f64_e32 v[138:139], v[150:151], v[142:143]
	ds_bpermute_b32 v150, v0, v136 offset:76
	ds_bpermute_b32 v151, v0, v137 offset:76
	ds_bpermute_b32 v142, v0, v146 offset:76
	ds_bpermute_b32 v143, v0, v147 offset:76
	v_add_f64 v[132:133], v[132:133], v[188:189]
	v_add_f64 v[132:133], v[132:133], v[192:193]
	s_waitcnt lgkmcnt(2)
	v_add_f64 v[150:151], v[194:195], -v[150:151]
	v_mul_f64 v[150:151], v[192:193], v[150:151]
	s_waitcnt lgkmcnt(0)
	v_fmac_f64_e32 v[138:139], v[150:151], v[142:143]
	ds_bpermute_b32 v150, v0, v136 offset:80
	ds_bpermute_b32 v151, v0, v137 offset:80
	ds_bpermute_b32 v142, v0, v146 offset:80
	ds_bpermute_b32 v143, v0, v147 offset:80
	v_add_f64 v[132:133], v[132:133], v[180:181]
	v_add_f64 v[132:133], v[132:133], v[184:185]
	s_waitcnt lgkmcnt(2)
	v_add_f64 v[150:151], v[190:191], -v[150:151]
	v_mul_f64 v[150:151], v[180:181], v[150:151]
	;; [unrolled: 11-line block ×6, first 2 shown]
	s_waitcnt lgkmcnt(0)
	v_fmac_f64_e32 v[138:139], v[150:151], v[142:143]
	ds_bpermute_b32 v150, v0, v136 offset:100
	ds_bpermute_b32 v151, v0, v137 offset:100
	ds_bpermute_b32 v142, v0, v146 offset:100
	ds_bpermute_b32 v143, v0, v147 offset:100
	v_accvgpr_read_b32 v155, a19
	v_accvgpr_read_b32 v154, a18
	s_waitcnt lgkmcnt(2)
	v_add_f64 v[150:151], v[154:155], -v[150:151]
	v_mul_f64 v[150:151], v[168:169], v[150:151]
	s_waitcnt lgkmcnt(0)
	v_fmac_f64_e32 v[138:139], v[150:151], v[142:143]
	ds_bpermute_b32 v150, v0, v136 offset:104
	ds_bpermute_b32 v151, v0, v137 offset:104
	ds_bpermute_b32 v142, v0, v146 offset:104
	ds_bpermute_b32 v143, v0, v147 offset:104
	v_accvgpr_read_b32 v155, a17
	v_accvgpr_read_b32 v154, a16
	s_waitcnt lgkmcnt(2)
	v_add_f64 v[150:151], v[154:155], -v[150:151]
	v_mul_f64 v[150:151], v[156:157], v[150:151]
	;; [unrolled: 11-line block ×4, first 2 shown]
	ds_bpermute_b32 v148, v0, v136 offset:116
	ds_bpermute_b32 v149, v0, v137 offset:116
	s_waitcnt lgkmcnt(2)
	v_fmac_f64_e32 v[138:139], v[150:151], v[142:143]
	ds_bpermute_b32 v142, v0, v146 offset:116
	ds_bpermute_b32 v143, v0, v147 offset:116
	v_accvgpr_read_b32 v151, a11
	v_accvgpr_read_b32 v150, a10
	s_waitcnt lgkmcnt(2)
	v_add_f64 v[148:149], v[150:151], -v[148:149]
	v_mul_f64 v[148:149], v[152:153], v[148:149]
	s_waitcnt lgkmcnt(0)
	v_fmac_f64_e32 v[138:139], v[148:149], v[142:143]
	ds_bpermute_b32 v148, v0, v136 offset:120
	ds_bpermute_b32 v149, v0, v137 offset:120
	;; [unrolled: 1-line block ×4, first 2 shown]
	v_accvgpr_read_b32 v151, a9
	v_accvgpr_read_b32 v150, a8
	s_waitcnt lgkmcnt(2)
	v_add_f64 v[148:149], v[150:151], -v[148:149]
	v_mul_f64 v[148:149], v[144:145], v[148:149]
	s_waitcnt lgkmcnt(0)
	v_fmac_f64_e32 v[138:139], v[148:149], v[142:143]
	v_add_f64 v[132:133], v[132:133], v[144:145]
	ds_bpermute_b32 v142, v0, v146 offset:124
	ds_bpermute_b32 v143, v0, v147 offset:124
	;; [unrolled: 1-line block ×4, first 2 shown]
	v_pk_mov_b32 v[136:137], v[138:139], v[138:139] op_sel:[0,1]
.LBB28_143:                             ;   in Loop: Header=BB28_3 Depth=1
	s_waitcnt vmcnt(1)
	v_add_f64 v[132:133], v[132:133], v[140:141]
	v_accvgpr_write_b32 a2, v132
	s_add_u32 s36, s36, s33
	v_accvgpr_write_b32 a3, v133
	s_addc_u32 s37, s37, 0
	v_pk_mov_b32 v[132:133], s[12:13], s[12:13] op_sel:[0,1]
	v_cmp_lt_i64_e32 vcc, s[36:37], v[132:133]
	v_mov_b32_e32 v132, s9
	v_add_co_u32_e64 v2, s[10:11], s33, v2
	v_addc_co_u32_e64 v129, s[10:11], v129, v132, s[10:11]
	v_mov_b32_e32 v132, s35
	v_add_co_u32_e64 v4, s[10:11], s34, v4
	v_addc_co_u32_e64 v1, s[10:11], v1, v132, s[10:11]
	v_add_co_u32_e64 v6, s[10:11], s34, v6
	v_addc_co_u32_e64 v3, s[10:11], v3, v132, s[10:11]
	v_add_co_u32_e64 v8, s[10:11], s34, v8
	v_addc_co_u32_e64 v5, s[10:11], v5, v132, s[10:11]
	v_add_co_u32_e64 v10, s[10:11], s34, v10
	v_addc_co_u32_e64 v7, s[10:11], v7, v132, s[10:11]
	v_add_co_u32_e64 v12, s[10:11], s34, v12
	v_addc_co_u32_e64 v9, s[10:11], v9, v132, s[10:11]
	v_add_co_u32_e64 v14, s[10:11], s34, v14
	v_addc_co_u32_e64 v11, s[10:11], v11, v132, s[10:11]
	v_add_co_u32_e64 v16, s[10:11], s34, v16
	v_addc_co_u32_e64 v13, s[10:11], v13, v132, s[10:11]
	v_add_co_u32_e64 v18, s[10:11], s34, v18
	v_addc_co_u32_e64 v15, s[10:11], v15, v132, s[10:11]
	v_add_co_u32_e64 v20, s[10:11], s34, v20
	v_addc_co_u32_e64 v17, s[10:11], v17, v132, s[10:11]
	v_add_co_u32_e64 v22, s[10:11], s34, v22
	v_addc_co_u32_e64 v19, s[10:11], v19, v132, s[10:11]
	v_add_co_u32_e64 v24, s[10:11], s34, v24
	v_addc_co_u32_e64 v21, s[10:11], v21, v132, s[10:11]
	v_add_co_u32_e64 v26, s[10:11], s34, v26
	v_addc_co_u32_e64 v23, s[10:11], v23, v132, s[10:11]
	v_add_co_u32_e64 v28, s[10:11], s34, v28
	v_addc_co_u32_e64 v25, s[10:11], v25, v132, s[10:11]
	v_add_co_u32_e64 v30, s[10:11], s34, v30
	v_addc_co_u32_e64 v27, s[10:11], v27, v132, s[10:11]
	v_add_co_u32_e64 v32, s[10:11], s34, v32
	v_addc_co_u32_e64 v29, s[10:11], v29, v132, s[10:11]
	v_add_co_u32_e64 v34, s[10:11], s34, v34
	v_addc_co_u32_e64 v31, s[10:11], v31, v132, s[10:11]
	v_add_co_u32_e64 v36, s[10:11], s34, v36
	v_addc_co_u32_e64 v33, s[10:11], v33, v132, s[10:11]
	v_add_co_u32_e64 v38, s[10:11], s34, v38
	v_addc_co_u32_e64 v35, s[10:11], v35, v132, s[10:11]
	v_add_co_u32_e64 v40, s[10:11], s34, v40
	v_addc_co_u32_e64 v37, s[10:11], v37, v132, s[10:11]
	v_add_co_u32_e64 v42, s[10:11], s34, v42
	v_addc_co_u32_e64 v39, s[10:11], v39, v132, s[10:11]
	v_add_co_u32_e64 v44, s[10:11], s34, v44
	v_addc_co_u32_e64 v41, s[10:11], v41, v132, s[10:11]
	v_add_co_u32_e64 v46, s[10:11], s34, v46
	v_addc_co_u32_e64 v43, s[10:11], v43, v132, s[10:11]
	v_add_co_u32_e64 v48, s[10:11], s34, v48
	v_addc_co_u32_e64 v45, s[10:11], v45, v132, s[10:11]
	v_add_co_u32_e64 v50, s[10:11], s34, v50
	v_addc_co_u32_e64 v47, s[10:11], v47, v132, s[10:11]
	v_add_co_u32_e64 v52, s[10:11], s34, v52
	v_addc_co_u32_e64 v49, s[10:11], v49, v132, s[10:11]
	v_add_co_u32_e64 v54, s[10:11], s34, v54
	v_addc_co_u32_e64 v51, s[10:11], v51, v132, s[10:11]
	v_add_co_u32_e64 v56, s[10:11], s34, v56
	v_addc_co_u32_e64 v53, s[10:11], v53, v132, s[10:11]
	v_add_co_u32_e64 v58, s[10:11], s34, v58
	v_addc_co_u32_e64 v55, s[10:11], v55, v132, s[10:11]
	v_add_co_u32_e64 v60, s[10:11], s34, v60
	v_addc_co_u32_e64 v57, s[10:11], v57, v132, s[10:11]
	v_add_co_u32_e64 v62, s[10:11], s34, v62
	v_addc_co_u32_e64 v59, s[10:11], v59, v132, s[10:11]
	v_add_co_u32_e64 v64, s[10:11], s34, v64
	v_addc_co_u32_e64 v61, s[10:11], v61, v132, s[10:11]
	v_add_co_u32_e64 v66, s[10:11], s34, v66
	v_addc_co_u32_e64 v63, s[10:11], v63, v132, s[10:11]
	v_add_co_u32_e64 v68, s[10:11], s34, v68
	v_addc_co_u32_e64 v65, s[10:11], v65, v132, s[10:11]
	v_add_co_u32_e64 v70, s[10:11], s34, v70
	v_addc_co_u32_e64 v67, s[10:11], v67, v132, s[10:11]
	v_add_co_u32_e64 v72, s[10:11], s34, v72
	v_addc_co_u32_e64 v69, s[10:11], v69, v132, s[10:11]
	v_add_co_u32_e64 v74, s[10:11], s34, v74
	v_addc_co_u32_e64 v71, s[10:11], v71, v132, s[10:11]
	v_add_co_u32_e64 v76, s[10:11], s34, v76
	v_addc_co_u32_e64 v73, s[10:11], v73, v132, s[10:11]
	v_add_co_u32_e64 v78, s[10:11], s34, v78
	v_addc_co_u32_e64 v75, s[10:11], v75, v132, s[10:11]
	v_add_co_u32_e64 v80, s[10:11], s34, v80
	v_addc_co_u32_e64 v77, s[10:11], v77, v132, s[10:11]
	v_add_co_u32_e64 v82, s[10:11], s34, v82
	v_addc_co_u32_e64 v79, s[10:11], v79, v132, s[10:11]
	v_add_co_u32_e64 v84, s[10:11], s34, v84
	v_addc_co_u32_e64 v81, s[10:11], v81, v132, s[10:11]
	v_add_co_u32_e64 v86, s[10:11], s34, v86
	v_addc_co_u32_e64 v83, s[10:11], v83, v132, s[10:11]
	v_add_co_u32_e64 v88, s[10:11], s34, v88
	v_addc_co_u32_e64 v85, s[10:11], v85, v132, s[10:11]
	v_add_co_u32_e64 v90, s[10:11], s34, v90
	v_addc_co_u32_e64 v87, s[10:11], v87, v132, s[10:11]
	v_add_co_u32_e64 v92, s[10:11], s34, v92
	v_addc_co_u32_e64 v89, s[10:11], v89, v132, s[10:11]
	v_add_co_u32_e64 v94, s[10:11], s34, v94
	v_addc_co_u32_e64 v91, s[10:11], v91, v132, s[10:11]
	v_add_co_u32_e64 v96, s[10:11], s34, v96
	v_addc_co_u32_e64 v93, s[10:11], v93, v132, s[10:11]
	v_add_co_u32_e64 v98, s[10:11], s34, v98
	v_addc_co_u32_e64 v95, s[10:11], v95, v132, s[10:11]
	v_add_co_u32_e64 v100, s[10:11], s34, v100
	v_addc_co_u32_e64 v97, s[10:11], v97, v132, s[10:11]
	v_add_co_u32_e64 v102, s[10:11], s34, v102
	v_addc_co_u32_e64 v99, s[10:11], v99, v132, s[10:11]
	v_add_co_u32_e64 v104, s[10:11], s34, v104
	v_addc_co_u32_e64 v101, s[10:11], v101, v132, s[10:11]
	v_add_co_u32_e64 v106, s[10:11], s34, v106
	v_addc_co_u32_e64 v103, s[10:11], v103, v132, s[10:11]
	v_add_co_u32_e64 v108, s[10:11], s34, v108
	v_addc_co_u32_e64 v105, s[10:11], v105, v132, s[10:11]
	v_add_co_u32_e64 v110, s[10:11], s34, v110
	v_addc_co_u32_e64 v107, s[10:11], v107, v132, s[10:11]
	v_add_co_u32_e64 v112, s[10:11], s34, v112
	v_addc_co_u32_e64 v109, s[10:11], v109, v132, s[10:11]
	v_add_co_u32_e64 v114, s[10:11], s34, v114
	v_addc_co_u32_e64 v111, s[10:11], v111, v132, s[10:11]
	v_add_co_u32_e64 v116, s[10:11], s34, v116
	v_addc_co_u32_e64 v113, s[10:11], v113, v132, s[10:11]
	v_add_co_u32_e64 v118, s[10:11], s34, v118
	v_addc_co_u32_e64 v115, s[10:11], v115, v132, s[10:11]
	v_add_co_u32_e64 v120, s[10:11], s34, v120
	v_addc_co_u32_e64 v117, s[10:11], v117, v132, s[10:11]
	v_add_co_u32_e64 v122, s[10:11], s34, v122
	v_addc_co_u32_e64 v119, s[10:11], v119, v132, s[10:11]
	v_add_co_u32_e64 v124, s[10:11], s34, v124
	v_addc_co_u32_e64 v121, s[10:11], v121, v132, s[10:11]
	v_add_co_u32_e64 v126, s[10:11], s34, v126
	s_waitcnt vmcnt(0)
	v_accvgpr_read_b32 v139, a7
	v_addc_co_u32_e64 v123, s[10:11], v123, v132, s[10:11]
	v_accvgpr_read_b32 v138, a6
	v_add_co_u32_e64 v128, s[10:11], s34, v128
	s_waitcnt lgkmcnt(0)
	v_add_f64 v[138:139], v[138:139], -v[146:147]
	v_addc_co_u32_e64 v125, s[10:11], v125, v132, s[10:11]
	v_mul_f64 v[138:139], v[140:141], v[138:139]
	v_add_co_u32_e64 v130, s[10:11], s34, v130
	s_add_u32 s30, s30, s33
	v_fmac_f64_e32 v[136:137], v[138:139], v[142:143]
	v_addc_co_u32_e64 v127, s[10:11], v127, v132, s[10:11]
	s_addc_u32 s31, s31, 0
	s_cbranch_vccz .LBB28_227
; %bb.144:                              ;   in Loop: Header=BB28_3 Depth=1
	v_pk_mov_b32 v[138:139], v[136:137], v[136:137] op_sel:[0,1]
	s_branch .LBB28_3
.LBB28_145:
	s_mov_b64 s[26:27], -1
                                        ; implicit-def: $agpr2_agpr3
                                        ; implicit-def: $vgpr136_vgpr137
.LBB28_146:
	s_andn2_b64 vcc, exec, s[26:27]
	s_cbranch_vccnz .LBB28_229
.LBB28_147:
	v_pk_mov_b32 v[136:137], 0, 0
	v_accvgpr_write_b32 a2, v136
	s_and_b64 vcc, exec, s[0:1]
	v_accvgpr_write_b32 a3, v137
	s_cbranch_vccnz .LBB28_229
; %bb.148:
	v_bfe_u32 v128, v132, 10, 10
	s_add_u32 s2, s4, 64
	s_addc_u32 s3, s5, 0
	v_lshlrev_b32_e32 v0, 8, v128
	s_lshl_b64 s[0:1], s[24:25], 3
	v_mov_b32_e32 v1, s1
	v_add_co_u32_e32 v0, vcc, s0, v0
	v_addc_co_u32_e32 v1, vcc, 0, v1, vcc
	v_add_co_u32_e32 v24, vcc, 8, v0
	v_addc_co_u32_e32 v6, vcc, 0, v1, vcc
	;; [unrolled: 2-line block ×8, first 2 shown]
	v_pk_mov_b32 v[2:3], s[16:17], s[16:17] op_sel:[0,1]
	v_add_co_u32_e32 v46, vcc, 64, v0
	v_mad_u64_u32 v[4:5], s[0:1], s14, v24, v[2:3]
	v_mul_lo_u32 v26, s14, v6
	v_mad_u64_u32 v[6:7], s[0:1], s14, v28, v[2:3]
	v_mul_lo_u32 v29, s14, v8
	;; [unrolled: 2-line block ×7, first 2 shown]
	v_mad_u64_u32 v[18:19], s[0:1], s14, v46, v[2:3]
	v_addc_co_u32_e32 v20, vcc, 0, v1, vcc
	s_movk_i32 s0, 0x48
	v_add_co_u32_e32 v49, vcc, s0, v0
	v_mul_lo_u32 v47, s14, v20
	v_mad_u64_u32 v[20:21], s[0:1], s14, v49, v[2:3]
	v_addc_co_u32_e32 v22, vcc, 0, v1, vcc
	s_movk_i32 s0, 0x50
	v_add_co_u32_e32 v52, vcc, s0, v0
	v_mul_lo_u32 v50, s14, v22
	v_addc_co_u32_e32 v25, vcc, 0, v1, vcc
	v_mad_u64_u32 v[22:23], s[0:1], s14, v52, v[2:3]
	v_pk_mov_b32 v[126:127], s[18:19], s[18:19] op_sel:[0,1]
	v_mul_lo_u32 v27, s15, v24
	v_mul_lo_u32 v53, s14, v25
	s_movk_i32 s0, 0x58
	v_mad_u64_u32 v[24:25], s[10:11], s14, v24, v[126:127]
	v_add3_u32 v5, v27, v5, v26
	v_mul_lo_u32 v30, s15, v28
	v_add3_u32 v25, v27, v25, v26
	v_add_co_u32_e32 v55, vcc, s0, v0
	v_mad_u64_u32 v[26:27], s[0:1], s14, v28, v[126:127]
	v_add3_u32 v7, v30, v7, v29
	v_mul_lo_u32 v33, s15, v31
	v_add3_u32 v27, v30, v27, v29
	v_mad_u64_u32 v[28:29], s[0:1], s14, v31, v[126:127]
	v_add3_u32 v9, v33, v9, v32
	v_mul_lo_u32 v36, s15, v34
	v_add3_u32 v29, v33, v29, v32
	v_mad_u64_u32 v[32:33], s[0:1], s14, v34, v[126:127]
	v_add3_u32 v11, v36, v11, v35
	v_mul_lo_u32 v39, s15, v37
	v_mul_lo_u32 v42, s15, v40
	v_addc_co_u32_e32 v56, vcc, 0, v1, vcc
	v_add3_u32 v33, v36, v33, v35
	s_movk_i32 s9, 0x60
	v_mad_u64_u32 v[34:35], s[0:1], s14, v37, v[126:127]
	v_mad_u64_u32 v[36:37], s[0:1], s14, v40, v[126:127]
	v_add3_u32 v15, v42, v15, v41
	v_mul_lo_u32 v48, s15, v46
	v_add3_u32 v37, v42, v37, v41
	v_add_co_u32_e32 v58, vcc, s9, v0
	v_mad_u64_u32 v[40:41], s[0:1], s14, v46, v[126:127]
	v_add3_u32 v19, v48, v19, v47
	v_mul_lo_u32 v54, s15, v52
	v_addc_co_u32_e32 v59, vcc, 0, v1, vcc
	v_add3_u32 v41, v48, v41, v47
	s_movk_i32 s9, 0x68
	v_mad_u64_u32 v[46:47], s[0:1], s14, v52, v[126:127]
	v_add3_u32 v13, v39, v13, v38
	v_mul_lo_u32 v45, s15, v43
	v_add3_u32 v23, v54, v23, v53
	v_add3_u32 v35, v39, v35, v38
	v_mad_u64_u32 v[38:39], s[0:1], s14, v43, v[126:127]
	v_add3_u32 v47, v54, v47, v53
	v_add_co_u32_e32 v54, vcc, s9, v0
	v_add3_u32 v17, v45, v17, v44
	v_mul_lo_u32 v51, s15, v49
	v_mad_u64_u32 v[30:31], s[0:1], s14, v55, v[2:3]
	v_mul_lo_u32 v56, s14, v56
	v_mul_lo_u32 v57, s15, v55
	v_add3_u32 v39, v45, v39, v44
	v_mad_u64_u32 v[44:45], s[0:1], s14, v49, v[126:127]
	v_mad_u64_u32 v[48:49], s[0:1], s14, v55, v[126:127]
	v_addc_co_u32_e32 v55, vcc, 0, v1, vcc
	v_add3_u32 v21, v51, v21, v50
	v_add3_u32 v31, v57, v31, v56
	v_mad_u64_u32 v[42:43], s[0:1], s14, v58, v[2:3]
	v_add3_u32 v45, v51, v45, v50
	v_add3_u32 v49, v57, v49, v56
	v_mad_u64_u32 v[50:51], s[0:1], s14, v58, v[126:127]
	v_mad_u64_u32 v[52:53], s[0:1], s14, v54, v[2:3]
	v_mul_lo_u32 v56, s14, v55
	v_mul_lo_u32 v57, s15, v54
	v_mad_u64_u32 v[54:55], s[0:1], s14, v54, v[126:127]
	s_movk_i32 s0, 0x70
	v_mul_lo_u32 v60, s15, v58
	v_add_co_u32_e32 v58, vcc, s0, v0
	v_mul_lo_u32 v59, s14, v59
	v_add3_u32 v53, v57, v53, v56
	v_add3_u32 v55, v57, v55, v56
	v_addc_co_u32_e32 v56, vcc, 0, v1, vcc
	v_add3_u32 v43, v60, v43, v59
	v_add3_u32 v51, v60, v51, v59
	v_mul_lo_u32 v60, s14, v56
	v_mul_lo_u32 v61, s15, v58
	v_mad_u64_u32 v[56:57], s[0:1], s14, v58, v[2:3]
	v_mad_u64_u32 v[58:59], s[0:1], s14, v58, v[126:127]
	s_movk_i32 s0, 0x78
	v_add_co_u32_e32 v62, vcc, s0, v0
	v_add3_u32 v57, v61, v57, v60
	v_add3_u32 v59, v61, v59, v60
	v_addc_co_u32_e32 v60, vcc, 0, v1, vcc
	v_mul_lo_u32 v64, s14, v60
	v_mul_lo_u32 v65, s15, v62
	v_mad_u64_u32 v[60:61], s[0:1], s14, v62, v[2:3]
	v_mad_u64_u32 v[62:63], s[0:1], s14, v62, v[126:127]
	s_movk_i32 s0, 0x80
	v_add_co_u32_e32 v66, vcc, s0, v0
	v_add3_u32 v61, v65, v61, v64
	v_add3_u32 v63, v65, v63, v64
	v_addc_co_u32_e32 v64, vcc, 0, v1, vcc
	;; [unrolled: 9-line block ×16, first 2 shown]
	v_mul_lo_u32 v124, s14, v120
	v_mul_lo_u32 v125, s15, v122
	v_mad_u64_u32 v[120:121], s[0:1], s14, v122, v[2:3]
	v_mad_u64_u32 v[122:123], s[0:1], s14, v122, v[126:127]
	s_movk_i32 s0, 0xf8
	v_add_co_u32_e32 v0, vcc, s0, v0
	v_addc_co_u32_e32 v1, vcc, 0, v1, vcc
	v_add3_u32 v121, v125, v121, v124
	v_add3_u32 v123, v125, v123, v124
	v_mad_u64_u32 v[124:125], s[0:1], s14, v0, v[2:3]
	v_mul_lo_u32 v1, s14, v1
	v_mad_u64_u32 v[126:127], s[0:1], s14, v0, v[126:127]
	v_mul_lo_u32 v0, s15, v0
	v_accvgpr_write_b32 a1, v128
	v_lshlrev_b32_e32 v128, 5, v128
	v_add3_u32 v125, v0, v125, v1
	v_add3_u32 v127, v0, v127, v1
	v_mov_b32_e32 v1, s25
	v_add_co_u32_e32 v0, vcc, s24, v128
	v_addc_co_u32_e32 v1, vcc, 0, v1, vcc
	v_add_co_u32_e32 v2, vcc, 31, v0
	v_addc_co_u32_e32 v3, vcc, 0, v1, vcc
	v_mul_lo_u32 v129, s14, v3
	v_mul_lo_u32 v130, s15, v2
	v_mad_u64_u32 v[2:3], s[0:1], s14, v2, 0
	v_add3_u32 v3, v3, v129, v130
	v_add_co_u32_e32 v129, vcc, 30, v0
	v_addc_co_u32_e32 v130, vcc, 0, v1, vcc
	v_mul_lo_u32 v130, s14, v130
	v_mul_lo_u32 v131, s15, v129
	v_mad_u64_u32 v[134:135], s[0:1], s14, v129, 0
	v_add_co_u32_e32 v129, vcc, 29, v0
	v_add3_u32 v135, v135, v130, v131
	v_addc_co_u32_e32 v130, vcc, 0, v1, vcc
	v_mul_lo_u32 v130, s14, v130
	v_mul_lo_u32 v131, s15, v129
	v_mad_u64_u32 v[136:137], s[0:1], s14, v129, 0
	v_add_co_u32_e32 v129, vcc, 28, v0
	v_add3_u32 v137, v137, v130, v131
	;; [unrolled: 6-line block ×28, first 2 shown]
	v_addc_co_u32_e32 v130, vcc, 0, v1, vcc
	v_mul_lo_u32 v130, s14, v130
	v_mul_lo_u32 v131, s15, v129
	v_mad_u64_u32 v[190:191], s[0:1], s14, v129, 0
	v_add3_u32 v191, v191, v130, v131
	v_pk_mov_b32 v[130:131], s[14:15], s[14:15] op_sel:[0,1]
	v_mul_lo_u32 v129, s14, v1
	v_mad_u64_u32 v[192:193], s[0:1], s14, v0, v[130:131]
	v_mul_lo_u32 v130, s15, v0
	v_mad_u64_u32 v[0:1], s[0:1], s14, v0, 0
	v_add3_u32 v1, v1, v129, v130
	v_mov_b32_e32 v195, v132
	v_lshlrev_b64 v[132:133], 3, v[0:1]
	v_add3_u32 v193, v130, v193, v129
	v_mov_b32_e32 v0, s17
	v_add_co_u32_e32 v130, vcc, s16, v132
	v_addc_co_u32_e32 v1, vcc, v0, v133, vcc
	v_mov_b32_e32 v194, s19
	v_add_co_u32_e32 v132, vcc, s18, v132
	v_addc_co_u32_e32 v129, vcc, v194, v133, vcc
	v_lshlrev_b64 v[2:3], 3, v[2:3]
	v_add_co_u32_e32 v196, vcc, s16, v2
	v_addc_co_u32_e32 v131, vcc, v0, v3, vcc
	v_add_co_u32_e32 v2, vcc, s18, v2
	v_accvgpr_write_b32 a6, v2
	v_addc_co_u32_e32 v133, vcc, v194, v3, vcc
	v_lshlrev_b64 v[2:3], 3, v[134:135]
	v_add_co_u32_e32 v134, vcc, s16, v2
	v_addc_co_u32_e32 v135, vcc, v0, v3, vcc
	v_add_co_u32_e32 v2, vcc, s18, v2
	v_addc_co_u32_e32 v3, vcc, v194, v3, vcc
	v_accvgpr_write_b32 a10, v2
	v_accvgpr_write_b32 a7, v3
	v_lshlrev_b64 v[2:3], 3, v[136:137]
	v_accvgpr_write_b32 a8, v134
	v_add_co_u32_e32 v134, vcc, s16, v2
	v_accvgpr_write_b32 a5, v135
	v_addc_co_u32_e32 v135, vcc, v0, v3, vcc
	v_add_co_u32_e32 v2, vcc, s18, v2
	v_addc_co_u32_e32 v3, vcc, v194, v3, vcc
	v_accvgpr_write_b32 a14, v2
	v_accvgpr_write_b32 a11, v3
	v_lshlrev_b64 v[2:3], 3, v[138:139]
	v_accvgpr_write_b32 a12, v134
	v_add_co_u32_e32 v134, vcc, s16, v2
	v_accvgpr_write_b32 a9, v135
	;; [unrolled: 9-line block ×28, first 2 shown]
	v_addc_co_u32_e32 v135, vcc, v0, v3, vcc
	v_add_co_u32_e32 v252, vcc, s18, v2
	v_addc_co_u32_e32 v3, vcc, v194, v3, vcc
	v_accvgpr_write_b32 a119, v3
	v_lshlrev_b64 v[2:3], 3, v[192:193]
	s_load_dword s0, s[4:5], 0x44
	v_accvgpr_write_b32 a120, v134
	v_add_co_u32_e32 v134, vcc, s16, v2
	v_accvgpr_write_b32 a117, v135
	v_addc_co_u32_e32 v135, vcc, v0, v3, vcc
	v_add_co_u32_e32 v0, vcc, s18, v2
	v_accvgpr_write_b32 a124, v0
	v_and_b32_e32 v0, 0x3ff, v195
	v_accvgpr_write_b32 a125, v0
	v_add_u32_e32 v2, s7, v0
	s_waitcnt lgkmcnt(0)
	s_lshl_b32 s7, s0, 5
	v_mbcnt_lo_u32_b32 v0, -1, 0
	v_addc_co_u32_e32 v3, vcc, v194, v3, vcc
	s_mul_i32 s0, s15, s7
	s_mul_hi_u32 s1, s14, s7
	v_mbcnt_hi_u32_b32 v0, -1, v0
	v_pk_mov_b32 v[138:139], 0, 0
	v_accvgpr_write_b32 a123, v3
	v_mov_b32_e32 v3, 0
	s_add_i32 s1, s1, s0
	s_mul_i32 s0, s14, s7
	v_lshlrev_b32_e32 v0, 2, v0
	v_accvgpr_write_b32 a2, v138
	v_accvgpr_write_b32 a4, v196
	;; [unrolled: 1-line block ×4, first 2 shown]
	s_mov_b32 s9, 0
	v_accvgpr_write_b32 a0, v195
	s_lshl_b64 s[10:11], s[0:1], 3
	s_mov_b64 s[16:17], 31
	v_and_b32_e32 v0, 0x100, v0
	s_mov_b64 s[18:19], s[24:25]
	v_mov_b32_e32 v253, v3
	v_accvgpr_write_b32 a127, v3
	v_lshlrev_b64 v[134:135], 3, v[2:3]
	v_accvgpr_write_b32 a3, v139
.LBB28_149:                             ; =>This Inner Loop Header: Depth=1
	s_add_u32 s0, s24, s16
	s_addc_u32 s1, 0, s17
	v_pk_mov_b32 v[2:3], s[12:13], s[12:13] op_sel:[0,1]
	v_cmp_ge_i64_e32 vcc, s[0:1], v[2:3]
	v_mov_b32_e32 v2, s25
	v_add_co_u32_e64 v140, s[0:1], s24, v128
	v_addc_co_u32_e64 v141, s[0:1], v2, v253, s[0:1]
	s_cbranch_vccz .LBB28_219
; %bb.150:                              ;   in Loop: Header=BB28_149 Depth=1
	s_load_dword s0, s[2:3], 0xc
	v_accvgpr_read_b32 v2, a1
	v_accvgpr_read_b32 v3, a125
	v_pk_mov_b32 v[240:241], 0, 0
	v_pk_mov_b32 v[144:145], v[240:241], v[240:241] op_sel:[0,1]
	s_waitcnt lgkmcnt(0)
	s_and_b32 s0, s0, 0xffff
	v_mad_u32_u24 v2, v2, s0, v3
	v_and_b32_e32 v2, 63, v2
	v_cmp_gt_u32_e32 vcc, 32, v2
	v_pk_mov_b32 v[142:143], v[240:241], v[240:241] op_sel:[0,1]
	s_and_saveexec_b64 s[0:1], vcc
	s_cbranch_execz .LBB28_154
; %bb.151:                              ;   in Loop: Header=BB28_149 Depth=1
	v_add_co_u32_e32 v2, vcc, v140, v2
	v_addc_co_u32_e32 v3, vcc, 0, v141, vcc
	v_pk_mov_b32 v[142:143], 0, 0
	v_cmp_gt_i64_e32 vcc, s[12:13], v[2:3]
	v_pk_mov_b32 v[144:145], v[142:143], v[142:143] op_sel:[0,1]
	s_and_saveexec_b64 s[26:27], vcc
	s_cbranch_execz .LBB28_153
; %bb.152:                              ;   in Loop: Header=BB28_149 Depth=1
	v_lshlrev_b64 v[2:3], 3, v[2:3]
	v_mov_b32_e32 v137, s23
	v_add_co_u32_e32 v136, vcc, s22, v2
	v_addc_co_u32_e32 v137, vcc, v137, v3, vcc
	v_mov_b32_e32 v142, s21
	v_add_co_u32_e32 v2, vcc, s20, v2
	v_addc_co_u32_e32 v3, vcc, v142, v3, vcc
	global_load_dwordx2 v[142:143], v[2:3], off
	global_load_dwordx2 v[144:145], v[136:137], off
.LBB28_153:                             ;   in Loop: Header=BB28_149 Depth=1
	s_or_b64 exec, exec, s[26:27]
.LBB28_154:                             ;   in Loop: Header=BB28_149 Depth=1
	s_or_b64 exec, exec, s[0:1]
	v_cmp_gt_i64_e32 vcc, s[12:13], v[140:141]
	v_pk_mov_b32 v[136:137], v[240:241], v[240:241] op_sel:[0,1]
	s_and_saveexec_b64 s[0:1], vcc
	s_cbranch_execz .LBB28_156
; %bb.155:                              ;   in Loop: Header=BB28_149 Depth=1
	v_add_co_u32_e32 v2, vcc, v130, v134
	v_addc_co_u32_e32 v3, vcc, v1, v135, vcc
	global_load_dwordx2 v[240:241], v[2:3], off
	v_add_co_u32_e32 v2, vcc, v132, v134
	v_addc_co_u32_e32 v3, vcc, v129, v135, vcc
	global_load_dwordx2 v[136:137], v[2:3], off
.LBB28_156:                             ;   in Loop: Header=BB28_149 Depth=1
	s_or_b64 exec, exec, s[0:1]
	v_add_co_u32_e32 v2, vcc, 1, v140
	v_addc_co_u32_e32 v3, vcc, 0, v141, vcc
	v_pk_mov_b32 v[236:237], 0, 0
	v_cmp_gt_i64_e32 vcc, s[12:13], v[2:3]
	v_pk_mov_b32 v[250:251], v[236:237], v[236:237] op_sel:[0,1]
	v_pk_mov_b32 v[178:179], v[236:237], v[236:237] op_sel:[0,1]
	s_and_saveexec_b64 s[0:1], vcc
	s_cbranch_execz .LBB28_158
; %bb.157:                              ;   in Loop: Header=BB28_149 Depth=1
	v_accvgpr_read_b32 v2, a122
	v_add_co_u32_e32 v2, vcc, v2, v134
	v_accvgpr_read_b32 v3, a121
	v_addc_co_u32_e32 v3, vcc, v3, v135, vcc
	global_load_dwordx2 v[250:251], v[2:3], off
	v_accvgpr_read_b32 v2, a124
	v_add_co_u32_e32 v2, vcc, v2, v134
	v_accvgpr_read_b32 v3, a123
	v_addc_co_u32_e32 v3, vcc, v3, v135, vcc
	global_load_dwordx2 v[178:179], v[2:3], off
.LBB28_158:                             ;   in Loop: Header=BB28_149 Depth=1
	s_or_b64 exec, exec, s[0:1]
	v_add_co_u32_e32 v2, vcc, 2, v140
	v_addc_co_u32_e32 v3, vcc, 0, v141, vcc
	v_cmp_gt_i64_e32 vcc, s[12:13], v[2:3]
	v_pk_mov_b32 v[2:3], v[236:237], v[236:237] op_sel:[0,1]
	s_and_saveexec_b64 s[0:1], vcc
	s_cbranch_execz .LBB28_160
; %bb.159:                              ;   in Loop: Header=BB28_149 Depth=1
	v_accvgpr_read_b32 v2, a120
	v_add_co_u32_e32 v2, vcc, v2, v134
	v_accvgpr_read_b32 v3, a117
	v_addc_co_u32_e32 v3, vcc, v3, v135, vcc
	global_load_dwordx2 v[236:237], v[2:3], off
	v_add_co_u32_e32 v2, vcc, v252, v134
	v_accvgpr_read_b32 v3, a119
	v_addc_co_u32_e32 v3, vcc, v3, v135, vcc
	global_load_dwordx2 v[2:3], v[2:3], off
.LBB28_160:                             ;   in Loop: Header=BB28_149 Depth=1
	s_or_b64 exec, exec, s[0:1]
	v_add_co_u32_e32 v146, vcc, 3, v140
	v_addc_co_u32_e32 v147, vcc, 0, v141, vcc
	v_pk_mov_b32 v[228:229], 0, 0
	v_cmp_gt_i64_e32 vcc, s[12:13], v[146:147]
	v_pk_mov_b32 v[248:249], v[228:229], v[228:229] op_sel:[0,1]
	v_pk_mov_b32 v[254:255], v[228:229], v[228:229] op_sel:[0,1]
	s_and_saveexec_b64 s[0:1], vcc
	s_cbranch_execz .LBB28_162
; %bb.161:                              ;   in Loop: Header=BB28_149 Depth=1
	v_accvgpr_read_b32 v146, a116
	v_add_co_u32_e32 v146, vcc, v146, v134
	v_accvgpr_read_b32 v147, a113
	v_addc_co_u32_e32 v147, vcc, v147, v135, vcc
	global_load_dwordx2 v[248:249], v[146:147], off
	v_accvgpr_read_b32 v146, a118
	v_add_co_u32_e32 v146, vcc, v146, v134
	v_accvgpr_read_b32 v147, a115
	v_addc_co_u32_e32 v147, vcc, v147, v135, vcc
	global_load_dwordx2 v[254:255], v[146:147], off
.LBB28_162:                             ;   in Loop: Header=BB28_149 Depth=1
	s_or_b64 exec, exec, s[0:1]
	v_add_co_u32_e32 v146, vcc, 4, v140
	v_addc_co_u32_e32 v147, vcc, 0, v141, vcc
	v_cmp_gt_i64_e32 vcc, s[12:13], v[146:147]
	v_pk_mov_b32 v[174:175], v[228:229], v[228:229] op_sel:[0,1]
	s_and_saveexec_b64 s[0:1], vcc
	s_cbranch_execz .LBB28_164
; %bb.163:                              ;   in Loop: Header=BB28_149 Depth=1
	v_accvgpr_read_b32 v146, a112
	v_add_co_u32_e32 v146, vcc, v146, v134
	v_accvgpr_read_b32 v147, a109
	v_addc_co_u32_e32 v147, vcc, v147, v135, vcc
	global_load_dwordx2 v[228:229], v[146:147], off
	v_accvgpr_read_b32 v146, a114
	v_add_co_u32_e32 v146, vcc, v146, v134
	v_accvgpr_read_b32 v147, a111
	v_addc_co_u32_e32 v147, vcc, v147, v135, vcc
	global_load_dwordx2 v[174:175], v[146:147], off
.LBB28_164:                             ;   in Loop: Header=BB28_149 Depth=1
	s_or_b64 exec, exec, s[0:1]
	v_add_co_u32_e32 v146, vcc, 5, v140
	v_addc_co_u32_e32 v147, vcc, 0, v141, vcc
	v_pk_mov_b32 v[172:173], 0, 0
	v_cmp_gt_i64_e32 vcc, s[12:13], v[146:147]
	v_pk_mov_b32 v[242:243], v[172:173], v[172:173] op_sel:[0,1]
	v_pk_mov_b32 v[246:247], v[172:173], v[172:173] op_sel:[0,1]
	s_and_saveexec_b64 s[0:1], vcc
	s_cbranch_execz .LBB28_166
; %bb.165:                              ;   in Loop: Header=BB28_149 Depth=1
	v_accvgpr_read_b32 v146, a108
	v_add_co_u32_e32 v146, vcc, v146, v134
	v_accvgpr_read_b32 v147, a105
	v_addc_co_u32_e32 v147, vcc, v147, v135, vcc
	global_load_dwordx2 v[242:243], v[146:147], off
	v_accvgpr_read_b32 v146, a110
	v_add_co_u32_e32 v146, vcc, v146, v134
	v_accvgpr_read_b32 v147, a107
	v_addc_co_u32_e32 v147, vcc, v147, v135, vcc
	global_load_dwordx2 v[246:247], v[146:147], off
.LBB28_166:                             ;   in Loop: Header=BB28_149 Depth=1
	s_or_b64 exec, exec, s[0:1]
	v_add_co_u32_e32 v146, vcc, 6, v140
	v_addc_co_u32_e32 v147, vcc, 0, v141, vcc
	v_cmp_gt_i64_e32 vcc, s[12:13], v[146:147]
	v_pk_mov_b32 v[244:245], v[172:173], v[172:173] op_sel:[0,1]
	s_and_saveexec_b64 s[0:1], vcc
	s_cbranch_execz .LBB28_168
; %bb.167:                              ;   in Loop: Header=BB28_149 Depth=1
	v_accvgpr_read_b32 v146, a104
	v_add_co_u32_e32 v146, vcc, v146, v134
	v_accvgpr_read_b32 v147, a101
	v_addc_co_u32_e32 v147, vcc, v147, v135, vcc
	global_load_dwordx2 v[172:173], v[146:147], off
	v_accvgpr_read_b32 v146, a106
	v_add_co_u32_e32 v146, vcc, v146, v134
	v_accvgpr_read_b32 v147, a103
	v_addc_co_u32_e32 v147, vcc, v147, v135, vcc
	global_load_dwordx2 v[244:245], v[146:147], off
.LBB28_168:                             ;   in Loop: Header=BB28_149 Depth=1
	;; [unrolled: 40-line block ×9, first 2 shown]
	s_or_b64 exec, exec, s[0:1]
	v_add_co_u32_e32 v146, vcc, 21, v140
	v_pk_mov_b32 v[162:163], 0, 0
	v_addc_co_u32_e32 v147, vcc, 0, v141, vcc
	v_accvgpr_write_b32 a146, v162
	v_cmp_gt_i64_e32 vcc, s[12:13], v[146:147]
	v_pk_mov_b32 v[180:181], v[162:163], v[162:163] op_sel:[0,1]
	v_accvgpr_write_b32 a147, v163
	s_and_saveexec_b64 s[0:1], vcc
	s_cbranch_execz .LBB28_198
; %bb.197:                              ;   in Loop: Header=BB28_149 Depth=1
	v_accvgpr_read_b32 v146, a44
	v_add_co_u32_e32 v146, vcc, v146, v134
	v_accvgpr_read_b32 v147, a41
	v_addc_co_u32_e32 v147, vcc, v147, v135, vcc
	global_load_dwordx2 v[180:181], v[146:147], off
	v_accvgpr_read_b32 v146, a46
	v_add_co_u32_e32 v146, vcc, v146, v134
	v_accvgpr_read_b32 v147, a43
	v_addc_co_u32_e32 v147, vcc, v147, v135, vcc
	global_load_dwordx2 a[146:147], v[146:147], off
.LBB28_198:                             ;   in Loop: Header=BB28_149 Depth=1
	s_or_b64 exec, exec, s[0:1]
	v_add_co_u32_e32 v146, vcc, 22, v140
	v_addc_co_u32_e32 v147, vcc, 0, v141, vcc
	v_accvgpr_write_b32 a144, v162
	v_cmp_gt_i64_e32 vcc, s[12:13], v[146:147]
	v_accvgpr_write_b32 a145, v163
	s_and_saveexec_b64 s[0:1], vcc
	s_cbranch_execz .LBB28_200
; %bb.199:                              ;   in Loop: Header=BB28_149 Depth=1
	v_accvgpr_read_b32 v146, a40
	v_add_co_u32_e32 v146, vcc, v146, v134
	v_accvgpr_read_b32 v147, a37
	v_addc_co_u32_e32 v147, vcc, v147, v135, vcc
	global_load_dwordx2 v[162:163], v[146:147], off
	v_accvgpr_read_b32 v146, a42
	v_add_co_u32_e32 v146, vcc, v146, v134
	v_accvgpr_read_b32 v147, a39
	v_addc_co_u32_e32 v147, vcc, v147, v135, vcc
	global_load_dwordx2 a[144:145], v[146:147], off
.LBB28_200:                             ;   in Loop: Header=BB28_149 Depth=1
	s_or_b64 exec, exec, s[0:1]
	v_add_co_u32_e32 v146, vcc, 23, v140
	v_pk_mov_b32 v[158:159], 0, 0
	v_addc_co_u32_e32 v147, vcc, 0, v141, vcc
	v_accvgpr_write_b32 a142, v158
	v_cmp_gt_i64_e32 vcc, s[12:13], v[146:147]
	v_pk_mov_b32 v[164:165], v[158:159], v[158:159] op_sel:[0,1]
	v_accvgpr_write_b32 a143, v159
	s_and_saveexec_b64 s[0:1], vcc
	s_cbranch_execz .LBB28_202
; %bb.201:                              ;   in Loop: Header=BB28_149 Depth=1
	v_accvgpr_read_b32 v146, a36
	v_add_co_u32_e32 v146, vcc, v146, v134
	v_accvgpr_read_b32 v147, a33
	v_addc_co_u32_e32 v147, vcc, v147, v135, vcc
	global_load_dwordx2 v[164:165], v[146:147], off
	v_accvgpr_read_b32 v146, a38
	v_add_co_u32_e32 v146, vcc, v146, v134
	v_accvgpr_read_b32 v147, a35
	v_addc_co_u32_e32 v147, vcc, v147, v135, vcc
	global_load_dwordx2 a[142:143], v[146:147], off
.LBB28_202:                             ;   in Loop: Header=BB28_149 Depth=1
	s_or_b64 exec, exec, s[0:1]
	v_add_co_u32_e32 v146, vcc, 24, v140
	v_addc_co_u32_e32 v147, vcc, 0, v141, vcc
	v_accvgpr_write_b32 a140, v158
	v_cmp_gt_i64_e32 vcc, s[12:13], v[146:147]
	v_accvgpr_write_b32 a141, v159
	s_and_saveexec_b64 s[0:1], vcc
	s_cbranch_execz .LBB28_204
; %bb.203:                              ;   in Loop: Header=BB28_149 Depth=1
	v_accvgpr_read_b32 v146, a32
	v_add_co_u32_e32 v146, vcc, v146, v134
	v_accvgpr_read_b32 v147, a29
	v_addc_co_u32_e32 v147, vcc, v147, v135, vcc
	global_load_dwordx2 v[158:159], v[146:147], off
	v_accvgpr_read_b32 v146, a34
	v_add_co_u32_e32 v146, vcc, v146, v134
	v_accvgpr_read_b32 v147, a31
	v_addc_co_u32_e32 v147, vcc, v147, v135, vcc
	global_load_dwordx2 a[140:141], v[146:147], off
.LBB28_204:                             ;   in Loop: Header=BB28_149 Depth=1
	;; [unrolled: 42-line block ×3, first 2 shown]
	s_or_b64 exec, exec, s[0:1]
	v_add_co_u32_e32 v146, vcc, 27, v140
	v_addc_co_u32_e32 v147, vcc, 0, v141, vcc
	v_pk_mov_b32 v[150:151], 0, 0
	v_cmp_gt_i64_e32 vcc, s[12:13], v[146:147]
	v_pk_mov_b32 v[160:161], v[150:151], v[150:151] op_sel:[0,1]
	v_pk_mov_b32 v[186:187], v[150:151], v[150:151] op_sel:[0,1]
	s_and_saveexec_b64 s[0:1], vcc
	s_cbranch_execz .LBB28_210
; %bb.209:                              ;   in Loop: Header=BB28_149 Depth=1
	v_accvgpr_read_b32 v146, a20
	v_add_co_u32_e32 v146, vcc, v146, v134
	v_accvgpr_read_b32 v147, a17
	v_addc_co_u32_e32 v147, vcc, v147, v135, vcc
	global_load_dwordx2 v[160:161], v[146:147], off
	v_accvgpr_read_b32 v146, a22
	v_add_co_u32_e32 v146, vcc, v146, v134
	v_accvgpr_read_b32 v147, a19
	v_addc_co_u32_e32 v147, vcc, v147, v135, vcc
	global_load_dwordx2 v[186:187], v[146:147], off
.LBB28_210:                             ;   in Loop: Header=BB28_149 Depth=1
	s_or_b64 exec, exec, s[0:1]
	v_add_co_u32_e32 v146, vcc, 28, v140
	v_addc_co_u32_e32 v147, vcc, 0, v141, vcc
	v_cmp_gt_i64_e32 vcc, s[12:13], v[146:147]
	v_pk_mov_b32 v[182:183], v[150:151], v[150:151] op_sel:[0,1]
	s_and_saveexec_b64 s[0:1], vcc
	s_cbranch_execz .LBB28_212
; %bb.211:                              ;   in Loop: Header=BB28_149 Depth=1
	v_accvgpr_read_b32 v146, a16
	v_add_co_u32_e32 v146, vcc, v146, v134
	v_accvgpr_read_b32 v147, a13
	v_addc_co_u32_e32 v147, vcc, v147, v135, vcc
	global_load_dwordx2 v[150:151], v[146:147], off
	v_accvgpr_read_b32 v146, a18
	v_add_co_u32_e32 v146, vcc, v146, v134
	v_accvgpr_read_b32 v147, a15
	v_addc_co_u32_e32 v147, vcc, v147, v135, vcc
	global_load_dwordx2 v[182:183], v[146:147], off
.LBB28_212:                             ;   in Loop: Header=BB28_149 Depth=1
	s_or_b64 exec, exec, s[0:1]
	v_add_co_u32_e32 v146, vcc, 29, v140
	v_addc_co_u32_e32 v147, vcc, 0, v141, vcc
	v_pk_mov_b32 v[152:153], 0, 0
	v_cmp_gt_i64_e32 vcc, s[12:13], v[146:147]
	v_pk_mov_b32 v[156:157], v[152:153], v[152:153] op_sel:[0,1]
	v_pk_mov_b32 v[148:149], v[152:153], v[152:153] op_sel:[0,1]
	s_and_saveexec_b64 s[0:1], vcc
	s_cbranch_execz .LBB28_214
; %bb.213:                              ;   in Loop: Header=BB28_149 Depth=1
	v_accvgpr_read_b32 v146, a12
	v_add_co_u32_e32 v146, vcc, v146, v134
	v_accvgpr_read_b32 v147, a9
	v_addc_co_u32_e32 v147, vcc, v147, v135, vcc
	global_load_dwordx2 v[156:157], v[146:147], off
	v_accvgpr_read_b32 v146, a14
	v_add_co_u32_e32 v146, vcc, v146, v134
	v_accvgpr_read_b32 v147, a11
	v_addc_co_u32_e32 v147, vcc, v147, v135, vcc
	global_load_dwordx2 v[148:149], v[146:147], off
.LBB28_214:                             ;   in Loop: Header=BB28_149 Depth=1
	s_or_b64 exec, exec, s[0:1]
	v_add_co_u32_e32 v146, vcc, 30, v140
	v_addc_co_u32_e32 v147, vcc, 0, v141, vcc
	v_accvgpr_write_b32 a134, v152
	v_cmp_gt_i64_e32 vcc, s[12:13], v[146:147]
	v_accvgpr_write_b32 a135, v153
	s_and_saveexec_b64 s[0:1], vcc
	s_cbranch_execz .LBB28_216
; %bb.215:                              ;   in Loop: Header=BB28_149 Depth=1
	v_accvgpr_read_b32 v146, a8
	v_add_co_u32_e32 v146, vcc, v146, v134
	v_accvgpr_read_b32 v147, a5
	v_addc_co_u32_e32 v147, vcc, v147, v135, vcc
	global_load_dwordx2 v[152:153], v[146:147], off
	v_accvgpr_read_b32 v146, a10
	v_add_co_u32_e32 v146, vcc, v146, v134
	v_accvgpr_read_b32 v147, a7
	v_addc_co_u32_e32 v147, vcc, v147, v135, vcc
	global_load_dwordx2 a[134:135], v[146:147], off
.LBB28_216:                             ;   in Loop: Header=BB28_149 Depth=1
	s_or_b64 exec, exec, s[0:1]
	v_add_co_u32_e32 v146, vcc, 31, v140
	v_addc_co_u32_e32 v147, vcc, 0, v141, vcc
	s_waitcnt vmcnt(0)
	v_accvgpr_write_b32 a132, v186
	v_accvgpr_write_b32 a130, v182
	;; [unrolled: 1-line block ×3, first 2 shown]
	v_cmp_gt_i64_e32 vcc, s[12:13], v[146:147]
	v_pk_mov_b32 v[146:147], 0, 0
	v_accvgpr_write_b32 a133, v187
	v_accvgpr_write_b32 a131, v183
	;; [unrolled: 1-line block ×3, first 2 shown]
	s_mov_b64 s[0:1], 0
	v_pk_mov_b32 v[148:149], v[146:147], v[146:147] op_sel:[0,1]
	s_and_saveexec_b64 s[26:27], vcc
	s_cbranch_execz .LBB28_218
; %bb.217:                              ;   in Loop: Header=BB28_149 Depth=1
	v_accvgpr_read_b32 v146, a4
	v_add_co_u32_e32 v146, vcc, v146, v134
	v_addc_co_u32_e32 v147, vcc, v131, v135, vcc
	v_accvgpr_read_b32 v148, a6
	v_add_co_u32_e32 v148, vcc, v148, v134
	v_addc_co_u32_e32 v149, vcc, v133, v135, vcc
	global_load_dwordx2 v[146:147], v[146:147], off
	s_nop 0
	global_load_dwordx2 v[148:149], v[148:149], off
.LBB28_218:                             ;   in Loop: Header=BB28_149 Depth=1
	s_or_b64 exec, exec, s[26:27]
	ds_bpermute_b32 v186, v0, v142
	ds_bpermute_b32 v187, v0, v143
	;; [unrolled: 1-line block ×4, first 2 shown]
	s_waitcnt lgkmcnt(2)
	v_add_f64 v[136:137], v[136:137], -v[186:187]
	v_mul_f64 v[136:137], v[240:241], v[136:137]
	s_waitcnt lgkmcnt(0)
	v_fma_f64 v[136:137], v[136:137], v[182:183], v[138:139]
	v_accvgpr_read_b32 v183, a3
	v_accvgpr_read_b32 v182, a2
	v_add_f64 v[182:183], v[182:183], v[240:241]
	ds_bpermute_b32 v240, v0, v142 offset:4
	ds_bpermute_b32 v241, v0, v143 offset:4
	;; [unrolled: 1-line block ×4, first 2 shown]
	s_waitcnt lgkmcnt(2)
	v_add_f64 v[178:179], v[178:179], -v[240:241]
	v_mul_f64 v[178:179], v[250:251], v[178:179]
	s_waitcnt lgkmcnt(0)
	v_fmac_f64_e32 v[136:137], v[178:179], v[186:187]
	ds_bpermute_b32 v186, v0, v142 offset:8
	ds_bpermute_b32 v187, v0, v143 offset:8
	v_add_f64 v[178:179], v[182:183], v[250:251]
	ds_bpermute_b32 v182, v0, v144 offset:8
	ds_bpermute_b32 v183, v0, v145 offset:8
	s_waitcnt lgkmcnt(2)
	v_add_f64 v[2:3], v[2:3], -v[186:187]
	v_mul_f64 v[2:3], v[236:237], v[2:3]
	s_waitcnt lgkmcnt(0)
	v_fmac_f64_e32 v[136:137], v[2:3], v[182:183]
	ds_bpermute_b32 v182, v0, v142 offset:12
	ds_bpermute_b32 v183, v0, v143 offset:12
	v_add_f64 v[2:3], v[178:179], v[236:237]
	ds_bpermute_b32 v178, v0, v144 offset:12
	ds_bpermute_b32 v179, v0, v145 offset:12
	v_add_f64 v[2:3], v[2:3], v[248:249]
	s_waitcnt lgkmcnt(2)
	v_add_f64 v[182:183], v[254:255], -v[182:183]
	v_mul_f64 v[182:183], v[248:249], v[182:183]
	v_add_f64 v[2:3], v[2:3], v[228:229]
	s_waitcnt lgkmcnt(0)
	v_fmac_f64_e32 v[136:137], v[182:183], v[178:179]
	ds_bpermute_b32 v182, v0, v142 offset:16
	ds_bpermute_b32 v183, v0, v143 offset:16
	ds_bpermute_b32 v178, v0, v144 offset:16
	ds_bpermute_b32 v179, v0, v145 offset:16
	v_add_f64 v[2:3], v[2:3], v[242:243]
	v_add_f64 v[2:3], v[2:3], v[172:173]
	s_waitcnt lgkmcnt(2)
	v_add_f64 v[174:175], v[174:175], -v[182:183]
	v_mul_f64 v[174:175], v[228:229], v[174:175]
	s_waitcnt lgkmcnt(0)
	v_fmac_f64_e32 v[136:137], v[174:175], v[178:179]
	ds_bpermute_b32 v178, v0, v142 offset:20
	ds_bpermute_b32 v179, v0, v143 offset:20
	ds_bpermute_b32 v174, v0, v144 offset:20
	ds_bpermute_b32 v175, v0, v145 offset:20
	v_add_f64 v[2:3], v[2:3], v[232:233]
	v_add_f64 v[2:3], v[2:3], v[214:215]
	s_waitcnt lgkmcnt(2)
	v_add_f64 v[178:179], v[246:247], -v[178:179]
	v_mul_f64 v[178:179], v[242:243], v[178:179]
	;; [unrolled: 11-line block ×13, first 2 shown]
	s_waitcnt lgkmcnt(0)
	v_fmac_f64_e32 v[136:137], v[174:175], v[172:173]
	ds_bpermute_b32 v174, v0, v142 offset:68
	ds_bpermute_b32 v175, v0, v143 offset:68
	ds_bpermute_b32 v172, v0, v144 offset:68
	ds_bpermute_b32 v173, v0, v145 offset:68
	s_waitcnt lgkmcnt(2)
	v_add_f64 v[174:175], v[200:201], -v[174:175]
	v_mul_f64 v[174:175], v[194:195], v[174:175]
	s_waitcnt lgkmcnt(0)
	v_fmac_f64_e32 v[136:137], v[174:175], v[172:173]
	ds_bpermute_b32 v174, v0, v142 offset:72
	ds_bpermute_b32 v175, v0, v143 offset:72
	ds_bpermute_b32 v172, v0, v144 offset:72
	ds_bpermute_b32 v173, v0, v145 offset:72
	s_waitcnt lgkmcnt(2)
	v_add_f64 v[174:175], v[196:197], -v[174:175]
	v_mul_f64 v[174:175], v[176:177], v[174:175]
	;; [unrolled: 9-line block ×4, first 2 shown]
	ds_bpermute_b32 v170, v0, v142 offset:84
	ds_bpermute_b32 v171, v0, v143 offset:84
	s_waitcnt lgkmcnt(2)
	v_fmac_f64_e32 v[136:137], v[168:169], v[172:173]
	ds_bpermute_b32 v168, v0, v144 offset:84
	ds_bpermute_b32 v169, v0, v145 offset:84
	v_accvgpr_read_b32 v173, a147
	v_accvgpr_read_b32 v172, a146
	s_waitcnt lgkmcnt(2)
	v_add_f64 v[170:171], v[172:173], -v[170:171]
	v_mul_f64 v[170:171], v[180:181], v[170:171]
	s_waitcnt lgkmcnt(0)
	v_fmac_f64_e32 v[136:137], v[170:171], v[168:169]
	ds_bpermute_b32 v170, v0, v142 offset:88
	ds_bpermute_b32 v171, v0, v143 offset:88
	;; [unrolled: 1-line block ×4, first 2 shown]
	v_accvgpr_read_b32 v173, a145
	v_accvgpr_read_b32 v172, a144
	s_waitcnt lgkmcnt(2)
	v_add_f64 v[170:171], v[172:173], -v[170:171]
	v_mul_f64 v[170:171], v[162:163], v[170:171]
	s_waitcnt lgkmcnt(0)
	v_fmac_f64_e32 v[136:137], v[170:171], v[168:169]
	ds_bpermute_b32 v168, v0, v142 offset:92
	ds_bpermute_b32 v169, v0, v143 offset:92
	;; [unrolled: 1-line block ×4, first 2 shown]
	v_accvgpr_read_b32 v171, a143
	v_accvgpr_read_b32 v170, a142
	s_waitcnt lgkmcnt(2)
	v_add_f64 v[168:169], v[170:171], -v[168:169]
	v_mul_f64 v[168:169], v[164:165], v[168:169]
	ds_bpermute_b32 v164, v0, v142 offset:96
	ds_bpermute_b32 v165, v0, v143 offset:96
	s_waitcnt lgkmcnt(2)
	v_fmac_f64_e32 v[136:137], v[168:169], v[162:163]
	ds_bpermute_b32 v162, v0, v144 offset:96
	ds_bpermute_b32 v163, v0, v145 offset:96
	v_accvgpr_read_b32 v169, a141
	v_accvgpr_read_b32 v168, a140
	s_waitcnt lgkmcnt(2)
	v_add_f64 v[164:165], v[168:169], -v[164:165]
	v_mul_f64 v[164:165], v[158:159], v[164:165]
	s_waitcnt lgkmcnt(0)
	v_fmac_f64_e32 v[136:137], v[164:165], v[162:163]
	ds_bpermute_b32 v162, v0, v142 offset:100
	ds_bpermute_b32 v163, v0, v143 offset:100
	ds_bpermute_b32 v158, v0, v144 offset:100
	ds_bpermute_b32 v159, v0, v145 offset:100
	v_accvgpr_read_b32 v165, a139
	v_accvgpr_read_b32 v164, a138
	s_waitcnt lgkmcnt(2)
	v_add_f64 v[162:163], v[164:165], -v[162:163]
	v_mul_f64 v[162:163], v[166:167], v[162:163]
	s_waitcnt lgkmcnt(0)
	v_fmac_f64_e32 v[136:137], v[162:163], v[158:159]
	ds_bpermute_b32 v162, v0, v142 offset:104
	ds_bpermute_b32 v163, v0, v143 offset:104
	;; [unrolled: 11-line block ×6, first 2 shown]
	ds_bpermute_b32 v150, v0, v144 offset:120
	ds_bpermute_b32 v151, v0, v145 offset:120
	v_accvgpr_read_b32 v157, a135
	ds_bpermute_b32 v144, v0, v144 offset:124
	ds_bpermute_b32 v145, v0, v145 offset:124
	;; [unrolled: 1-line block ×4, first 2 shown]
	v_accvgpr_read_b32 v156, a134
	s_waitcnt lgkmcnt(6)
	v_add_f64 v[154:155], v[156:157], -v[154:155]
	v_mul_f64 v[154:155], v[152:153], v[154:155]
	s_waitcnt lgkmcnt(4)
	v_fmac_f64_e32 v[136:137], v[154:155], v[150:151]
	s_and_b64 vcc, exec, s[0:1]
	s_cbranch_vccnz .LBB28_220
	s_branch .LBB28_225
.LBB28_219:                             ;   in Loop: Header=BB28_149 Depth=1
                                        ; implicit-def: $vgpr144_vgpr145
                                        ; implicit-def: $vgpr146_vgpr147
                                        ; implicit-def: $vgpr148_vgpr149
                                        ; implicit-def: $vgpr142
                                        ; implicit-def: $vgpr2_vgpr3
                                        ; implicit-def: $vgpr136_vgpr137
	s_cbranch_execz .LBB28_225
.LBB28_220:                             ;   in Loop: Header=BB28_149 Depth=1
	s_load_dword s0, s[2:3], 0x0
	v_accvgpr_read_b32 v3, a127
	v_accvgpr_read_b32 v136, a125
	s_waitcnt lgkmcnt(0)
	v_pk_mov_b32 v[142:143], 0, 0
	s_cmp_lt_u32 s6, s0
	s_cselect_b32 s0, 12, 18
	s_add_u32 s0, s2, s0
	s_addc_u32 s1, s3, 0
	global_load_ushort v2, v3, s[0:1]
	v_accvgpr_read_b32 v3, a1
	s_waitcnt vmcnt(0)
	v_mad_u32_u24 v2, v3, v2, v136
	v_and_b32_e32 v2, 63, v2
	v_cmp_gt_u32_e32 vcc, 32, v2
	v_pk_mov_b32 v[136:137], v[142:143], v[142:143] op_sel:[0,1]
	s_and_saveexec_b64 s[0:1], vcc
	s_cbranch_execz .LBB28_224
; %bb.221:                              ;   in Loop: Header=BB28_149 Depth=1
	v_add_co_u32_e32 v2, vcc, v140, v2
	v_addc_co_u32_e32 v3, vcc, 0, v141, vcc
	v_pk_mov_b32 v[136:137], 0, 0
	v_cmp_gt_i64_e32 vcc, s[12:13], v[2:3]
	v_pk_mov_b32 v[142:143], v[136:137], v[136:137] op_sel:[0,1]
	s_and_saveexec_b64 s[26:27], vcc
	s_cbranch_execz .LBB28_223
; %bb.222:                              ;   in Loop: Header=BB28_149 Depth=1
	v_lshlrev_b64 v[2:3], 3, v[2:3]
	v_mov_b32_e32 v136, s23
	v_add_co_u32_e32 v140, vcc, s22, v2
	v_addc_co_u32_e32 v141, vcc, v136, v3, vcc
	v_mov_b32_e32 v136, s21
	v_add_co_u32_e32 v2, vcc, s20, v2
	v_addc_co_u32_e32 v3, vcc, v136, v3, vcc
	global_load_dwordx2 v[136:137], v[2:3], off
	global_load_dwordx2 v[142:143], v[140:141], off
.LBB28_223:                             ;   in Loop: Header=BB28_149 Depth=1
	s_or_b64 exec, exec, s[26:27]
.LBB28_224:                             ;   in Loop: Header=BB28_149 Depth=1
	s_or_b64 exec, exec, s[0:1]
	v_add_co_u32_e32 v2, vcc, v130, v134
	v_addc_co_u32_e32 v3, vcc, v1, v135, vcc
	global_load_dwordx2 v[146:147], v[2:3], off
	v_add_co_u32_e32 v2, vcc, v132, v134
	v_addc_co_u32_e32 v3, vcc, v129, v135, vcc
	global_load_dwordx2 v[222:223], v[2:3], off
	;; [unrolled: 3-line block ×36, first 2 shown]
	v_add_co_u32_e32 v2, vcc, v72, v134
	v_addc_co_u32_e32 v3, vcc, v73, v135, vcc
	s_waitcnt vmcnt(37)
	ds_bpermute_b32 v238, v0, v136
	ds_bpermute_b32 v239, v0, v137
	global_load_dwordx2 v[160:161], v[2:3], off
	v_add_co_u32_e32 v2, vcc, v74, v134
	v_addc_co_u32_e32 v3, vcc, v75, v135, vcc
	s_waitcnt vmcnt(37)
	ds_bpermute_b32 v240, v0, v142
	ds_bpermute_b32 v241, v0, v143
	global_load_dwordx2 v[170:171], v[2:3], off
	v_add_co_u32_e32 v2, vcc, v76, v134
	v_addc_co_u32_e32 v3, vcc, v77, v135, vcc
	global_load_dwordx2 v[156:157], v[2:3], off
	v_add_co_u32_e32 v2, vcc, v78, v134
	s_waitcnt vmcnt(37) lgkmcnt(2)
	v_add_f64 v[222:223], v[222:223], -v[238:239]
	ds_bpermute_b32 v238, v0, v136 offset:4
	ds_bpermute_b32 v239, v0, v137 offset:4
	v_addc_co_u32_e32 v3, vcc, v79, v135, vcc
	v_mul_f64 v[222:223], v[146:147], v[222:223]
	global_load_dwordx2 v[166:167], v[2:3], off
	v_add_co_u32_e32 v2, vcc, v80, v134
	s_waitcnt lgkmcnt(2)
	v_fmac_f64_e32 v[138:139], v[222:223], v[240:241]
	ds_bpermute_b32 v240, v0, v142 offset:4
	ds_bpermute_b32 v241, v0, v143 offset:4
	v_addc_co_u32_e32 v3, vcc, v81, v135, vcc
	global_load_dwordx2 v[152:153], v[2:3], off
	v_add_co_u32_e32 v2, vcc, v82, v134
	v_addc_co_u32_e32 v3, vcc, v83, v135, vcc
	s_waitcnt vmcnt(37) lgkmcnt(2)
	v_add_f64 v[218:219], v[218:219], -v[238:239]
	ds_bpermute_b32 v238, v0, v136 offset:8
	ds_bpermute_b32 v239, v0, v137 offset:8
	global_load_dwordx2 v[162:163], v[2:3], off
	v_add_co_u32_e32 v2, vcc, v84, v134
	v_mul_f64 v[218:219], v[148:149], v[218:219]
	v_addc_co_u32_e32 v3, vcc, v85, v135, vcc
	s_waitcnt lgkmcnt(2)
	v_fmac_f64_e32 v[138:139], v[218:219], v[240:241]
	ds_bpermute_b32 v240, v0, v142 offset:8
	ds_bpermute_b32 v241, v0, v143 offset:8
	global_load_dwordx2 v[144:145], v[2:3], off
	v_add_co_u32_e32 v2, vcc, v86, v134
	v_addc_co_u32_e32 v3, vcc, v87, v135, vcc
	global_load_dwordx2 v[158:159], v[2:3], off
	v_add_co_u32_e32 v2, vcc, v88, v134
	s_waitcnt vmcnt(38) lgkmcnt(2)
	v_add_f64 v[228:229], v[228:229], -v[238:239]
	ds_bpermute_b32 v238, v0, v136 offset:12
	ds_bpermute_b32 v239, v0, v137 offset:12
	v_addc_co_u32_e32 v3, vcc, v89, v135, vcc
	v_mul_f64 v[228:229], v[186:187], v[228:229]
	global_load_dwordx2 v[140:141], v[2:3], off
	v_add_co_u32_e32 v2, vcc, v90, v134
	s_waitcnt lgkmcnt(2)
	v_fmac_f64_e32 v[138:139], v[228:229], v[240:241]
	ds_bpermute_b32 v240, v0, v142 offset:12
	ds_bpermute_b32 v241, v0, v143 offset:12
	v_addc_co_u32_e32 v3, vcc, v91, v135, vcc
	global_load_dwordx2 v[154:155], v[2:3], off
	v_add_co_u32_e32 v2, vcc, v92, v134
	v_addc_co_u32_e32 v3, vcc, v93, v135, vcc
	s_waitcnt vmcnt(38) lgkmcnt(2)
	v_add_f64 v[226:227], v[226:227], -v[238:239]
	ds_bpermute_b32 v238, v0, v136 offset:16
	ds_bpermute_b32 v239, v0, v137 offset:16
	v_add_co_u32_e32 v150, vcc, v94, v134
	v_mul_f64 v[226:227], v[192:193], v[226:227]
	v_addc_co_u32_e32 v151, vcc, v95, v135, vcc
	s_waitcnt lgkmcnt(2)
	v_fmac_f64_e32 v[138:139], v[226:227], v[240:241]
	ds_bpermute_b32 v240, v0, v142 offset:16
	ds_bpermute_b32 v241, v0, v143 offset:16
	v_add_co_u32_e32 v190, vcc, v96, v134
	v_addc_co_u32_e32 v191, vcc, v97, v135, vcc
	v_add_co_u32_e32 v222, vcc, v98, v134
	s_waitcnt vmcnt(36) lgkmcnt(2)
	v_add_f64 v[234:235], v[234:235], -v[238:239]
	ds_bpermute_b32 v238, v0, v136 offset:20
	ds_bpermute_b32 v239, v0, v137 offset:20
	v_addc_co_u32_e32 v223, vcc, v99, v135, vcc
	v_mul_f64 v[234:235], v[198:199], v[234:235]
	v_add_co_u32_e32 v218, vcc, v100, v134
	s_waitcnt lgkmcnt(2)
	v_fmac_f64_e32 v[138:139], v[234:235], v[240:241]
	ds_bpermute_b32 v240, v0, v142 offset:20
	ds_bpermute_b32 v241, v0, v143 offset:20
	v_addc_co_u32_e32 v219, vcc, v101, v135, vcc
	v_add_co_u32_e32 v228, vcc, v102, v134
	v_addc_co_u32_e32 v229, vcc, v103, v135, vcc
	s_waitcnt vmcnt(34) lgkmcnt(2)
	v_add_f64 v[236:237], v[236:237], -v[238:239]
	ds_bpermute_b32 v238, v0, v136 offset:24
	ds_bpermute_b32 v239, v0, v137 offset:24
	v_add_co_u32_e32 v226, vcc, v104, v134
	v_mul_f64 v[236:237], v[204:205], v[236:237]
	v_addc_co_u32_e32 v227, vcc, v105, v135, vcc
	s_waitcnt lgkmcnt(2)
	v_fmac_f64_e32 v[138:139], v[236:237], v[240:241]
	ds_bpermute_b32 v240, v0, v142 offset:24
	ds_bpermute_b32 v241, v0, v143 offset:24
	v_add_co_u32_e32 v234, vcc, v106, v134
	v_addc_co_u32_e32 v235, vcc, v107, v135, vcc
	v_add_co_u32_e32 v236, vcc, v108, v134
	s_waitcnt vmcnt(32) lgkmcnt(2)
	v_add_f64 v[232:233], v[232:233], -v[238:239]
	v_addc_co_u32_e32 v237, vcc, v109, v135, vcc
	v_mul_f64 v[232:233], v[210:211], v[232:233]
	s_waitcnt lgkmcnt(0)
	v_fmac_f64_e32 v[138:139], v[232:233], v[240:241]
	ds_bpermute_b32 v232, v0, v136 offset:28
	ds_bpermute_b32 v233, v0, v137 offset:28
	v_add_co_u32_e32 v238, vcc, v110, v134
	v_addc_co_u32_e32 v239, vcc, v111, v135, vcc
	global_load_dwordx2 v[242:243], v[238:239], off
	ds_bpermute_b32 v238, v0, v142 offset:28
	ds_bpermute_b32 v239, v0, v143 offset:28
	global_load_dwordx2 v[150:151], v[150:151], off
	s_waitcnt vmcnt(32) lgkmcnt(2)
	v_add_f64 v[230:231], v[230:231], -v[232:233]
	v_add_co_u32_e32 v232, vcc, v112, v134
	global_load_dwordx2 v[2:3], v[2:3], off
	v_addc_co_u32_e32 v233, vcc, v113, v135, vcc
	v_mul_f64 v[230:231], v[216:217], v[230:231]
	s_waitcnt lgkmcnt(0)
	v_fmac_f64_e32 v[138:139], v[230:231], v[238:239]
	v_add_co_u32_e32 v230, vcc, v114, v134
	v_addc_co_u32_e32 v231, vcc, v115, v135, vcc
	global_load_dwordx2 v[222:223], v[222:223], off
	s_nop 0
	global_load_dwordx2 v[244:245], v[230:231], off
	v_add_co_u32_e32 v230, vcc, v116, v134
	global_load_dwordx2 v[190:191], v[190:191], off
	v_addc_co_u32_e32 v231, vcc, v117, v135, vcc
	global_load_dwordx2 v[238:239], v[230:231], off
	v_accvgpr_read_b32 v231, a3
	v_accvgpr_read_b32 v230, a2
	v_add_f64 v[146:147], v[230:231], v[146:147]
	v_add_co_u32_e32 v230, vcc, v118, v134
	global_load_dwordx2 v[228:229], v[228:229], off
	v_addc_co_u32_e32 v231, vcc, v119, v135, vcc
	global_load_dwordx2 v[218:219], v[218:219], off
	v_add_f64 v[146:147], v[146:147], v[148:149]
	v_add_co_u32_e32 v148, vcc, v120, v134
	v_addc_co_u32_e32 v149, vcc, v121, v135, vcc
	global_load_dwordx2 v[240:241], v[230:231], off
	v_add_f64 v[146:147], v[146:147], v[186:187]
	global_load_dwordx2 v[230:231], v[148:149], off
	v_add_co_u32_e32 v148, vcc, v122, v134
	v_addc_co_u32_e32 v149, vcc, v123, v135, vcc
	global_load_dwordx2 v[234:235], v[234:235], off
	s_nop 0
	global_load_dwordx2 v[186:187], v[148:149], off
	v_add_f64 v[148:149], v[146:147], v[192:193]
	global_load_dwordx2 v[226:227], v[226:227], off
	v_add_f64 v[192:193], v[148:149], v[198:199]
	ds_bpermute_b32 v198, v0, v136 offset:32
	ds_bpermute_b32 v199, v0, v137 offset:32
	v_add_f64 v[192:193], v[192:193], v[204:205]
	ds_bpermute_b32 v204, v0, v142 offset:32
	ds_bpermute_b32 v205, v0, v143 offset:32
	global_load_dwordx2 v[236:237], v[236:237], off
	v_add_f64 v[192:193], v[192:193], v[210:211]
	s_waitcnt vmcnt(43) lgkmcnt(2)
	v_add_f64 v[198:199], v[224:225], -v[198:199]
	ds_bpermute_b32 v210, v0, v136 offset:36
	ds_bpermute_b32 v211, v0, v137 offset:36
	v_mul_f64 v[198:199], v[212:213], v[198:199]
	s_waitcnt lgkmcnt(2)
	v_fmac_f64_e32 v[138:139], v[198:199], v[204:205]
	ds_bpermute_b32 v198, v0, v142 offset:36
	ds_bpermute_b32 v199, v0, v143 offset:36
	global_load_dwordx2 v[232:233], v[232:233], off
	s_waitcnt vmcnt(42) lgkmcnt(2)
	v_add_f64 v[204:205], v[220:221], -v[210:211]
	ds_bpermute_b32 v210, v0, v136 offset:40
	ds_bpermute_b32 v211, v0, v137 offset:40
	v_mul_f64 v[204:205], v[206:207], v[204:205]
	s_waitcnt lgkmcnt(2)
	v_fmac_f64_e32 v[138:139], v[204:205], v[198:199]
	ds_bpermute_b32 v198, v0, v142 offset:40
	ds_bpermute_b32 v199, v0, v143 offset:40
	v_add_f64 v[192:193], v[192:193], v[216:217]
	v_add_f64 v[192:193], v[192:193], v[212:213]
	;; [unrolled: 1-line block ×3, first 2 shown]
	s_waitcnt vmcnt(40) lgkmcnt(2)
	v_add_f64 v[204:205], v[214:215], -v[210:211]
	ds_bpermute_b32 v206, v0, v136 offset:44
	ds_bpermute_b32 v207, v0, v137 offset:44
	v_mul_f64 v[204:205], v[200:201], v[204:205]
	s_waitcnt lgkmcnt(2)
	v_fmac_f64_e32 v[138:139], v[204:205], v[198:199]
	ds_bpermute_b32 v198, v0, v142 offset:44
	ds_bpermute_b32 v199, v0, v143 offset:44
	v_add_co_u32_e32 v146, vcc, v124, v134
	v_addc_co_u32_e32 v147, vcc, v125, v135, vcc
	v_add_f64 v[192:193], v[192:193], v[200:201]
	s_waitcnt vmcnt(38) lgkmcnt(2)
	v_add_f64 v[200:201], v[208:209], -v[206:207]
	ds_bpermute_b32 v204, v0, v136 offset:48
	ds_bpermute_b32 v205, v0, v137 offset:48
	v_add_co_u32_e32 v148, vcc, v126, v134
	v_mul_f64 v[200:201], v[194:195], v[200:201]
	v_addc_co_u32_e32 v149, vcc, v127, v135, vcc
	s_waitcnt lgkmcnt(2)
	v_fmac_f64_e32 v[138:139], v[200:201], v[198:199]
	v_add_f64 v[192:193], v[192:193], v[194:195]
	ds_bpermute_b32 v194, v0, v142 offset:48
	ds_bpermute_b32 v195, v0, v143 offset:48
	;; [unrolled: 1-line block ×4, first 2 shown]
	global_load_dwordx2 v[146:147], v[146:147], off
	s_waitcnt vmcnt(37) lgkmcnt(4)
	v_add_f64 v[198:199], v[202:203], -v[204:205]
	global_load_dwordx2 v[148:149], v[148:149], off
	v_mul_f64 v[198:199], v[184:185], v[198:199]
	v_add_f64 v[184:185], v[192:193], v[184:185]
	ds_bpermute_b32 v192, v0, v142 offset:52
	ds_bpermute_b32 v193, v0, v143 offset:52
	s_waitcnt lgkmcnt(4)
	v_fmac_f64_e32 v[138:139], v[198:199], v[194:195]
	s_waitcnt vmcnt(36) lgkmcnt(2)
	v_add_f64 v[194:195], v[196:197], -v[200:201]
	ds_bpermute_b32 v196, v0, v136 offset:56
	ds_bpermute_b32 v197, v0, v137 offset:56
	v_mul_f64 v[194:195], v[180:181], v[194:195]
	v_add_f64 v[180:181], v[184:185], v[180:181]
	ds_bpermute_b32 v184, v0, v142 offset:56
	ds_bpermute_b32 v185, v0, v143 offset:56
	s_waitcnt lgkmcnt(4)
	v_fmac_f64_e32 v[138:139], v[194:195], v[192:193]
	ds_bpermute_b32 v192, v0, v136 offset:60
	ds_bpermute_b32 v193, v0, v137 offset:60
	s_waitcnt vmcnt(34) lgkmcnt(4)
	v_add_f64 v[188:189], v[188:189], -v[196:197]
	v_mul_f64 v[188:189], v[176:177], v[188:189]
	v_add_f64 v[176:177], v[180:181], v[176:177]
	ds_bpermute_b32 v180, v0, v142 offset:60
	ds_bpermute_b32 v181, v0, v143 offset:60
	s_waitcnt lgkmcnt(4)
	v_fmac_f64_e32 v[138:139], v[188:189], v[184:185]
	ds_bpermute_b32 v184, v0, v136 offset:64
	ds_bpermute_b32 v185, v0, v137 offset:64
	s_waitcnt vmcnt(32) lgkmcnt(4)
	v_add_f64 v[182:183], v[182:183], -v[192:193]
	;; [unrolled: 10-line block ×9, first 2 shown]
	v_mul_f64 v[154:155], v[140:141], v[154:155]
	s_waitcnt lgkmcnt(2)
	v_fmac_f64_e32 v[138:139], v[154:155], v[152:153]
	v_add_f64 v[140:141], v[144:145], v[140:141]
	ds_bpermute_b32 v144, v0, v142 offset:92
	ds_bpermute_b32 v145, v0, v143 offset:92
	;; [unrolled: 1-line block ×4, first 2 shown]
	s_waitcnt vmcnt(16) lgkmcnt(4)
	v_add_f64 v[150:151], v[150:151], -v[156:157]
	s_waitcnt vmcnt(15)
	v_mul_f64 v[150:151], v[2:3], v[150:151]
	v_add_f64 v[2:3], v[140:141], v[2:3]
	ds_bpermute_b32 v140, v0, v142 offset:96
	ds_bpermute_b32 v141, v0, v143 offset:96
	s_waitcnt lgkmcnt(4)
	v_fmac_f64_e32 v[138:139], v[150:151], v[144:145]
	s_waitcnt vmcnt(14) lgkmcnt(2)
	v_add_f64 v[144:145], v[222:223], -v[152:153]
	ds_bpermute_b32 v150, v0, v136 offset:100
	ds_bpermute_b32 v151, v0, v137 offset:100
	s_waitcnt vmcnt(12)
	v_mul_f64 v[144:145], v[190:191], v[144:145]
	s_waitcnt lgkmcnt(2)
	v_fmac_f64_e32 v[138:139], v[144:145], v[140:141]
	ds_bpermute_b32 v140, v0, v142 offset:100
	ds_bpermute_b32 v141, v0, v143 offset:100
	s_waitcnt vmcnt(10) lgkmcnt(2)
	v_add_f64 v[144:145], v[228:229], -v[150:151]
	ds_bpermute_b32 v150, v0, v136 offset:104
	ds_bpermute_b32 v151, v0, v137 offset:104
	s_waitcnt vmcnt(9)
	v_mul_f64 v[144:145], v[218:219], v[144:145]
	s_waitcnt lgkmcnt(2)
	v_fmac_f64_e32 v[138:139], v[144:145], v[140:141]
	ds_bpermute_b32 v140, v0, v142 offset:104
	ds_bpermute_b32 v141, v0, v143 offset:104
	;; [unrolled: 10-line block ×3, first 2 shown]
	s_waitcnt lgkmcnt(2)
	v_add_f64 v[144:145], v[242:243], -v[150:151]
	ds_bpermute_b32 v150, v0, v136 offset:112
	ds_bpermute_b32 v151, v0, v137 offset:112
	s_waitcnt vmcnt(3)
	v_mul_f64 v[144:145], v[236:237], v[144:145]
	s_waitcnt lgkmcnt(2)
	v_fmac_f64_e32 v[138:139], v[144:145], v[140:141]
	ds_bpermute_b32 v140, v0, v142 offset:112
	ds_bpermute_b32 v141, v0, v143 offset:112
	s_waitcnt lgkmcnt(2)
	v_add_f64 v[144:145], v[244:245], -v[150:151]
	ds_bpermute_b32 v150, v0, v136 offset:116
	ds_bpermute_b32 v151, v0, v137 offset:116
	s_waitcnt vmcnt(2)
	v_mul_f64 v[144:145], v[232:233], v[144:145]
	s_waitcnt lgkmcnt(2)
	v_fmac_f64_e32 v[138:139], v[144:145], v[140:141]
	ds_bpermute_b32 v140, v0, v142 offset:116
	ds_bpermute_b32 v141, v0, v143 offset:116
	s_waitcnt lgkmcnt(2)
	v_add_f64 v[144:145], v[240:241], -v[150:151]
	ds_bpermute_b32 v150, v0, v136 offset:120
	ds_bpermute_b32 v151, v0, v137 offset:120
	v_mul_f64 v[144:145], v[238:239], v[144:145]
	v_add_f64 v[2:3], v[2:3], v[190:191]
	s_waitcnt lgkmcnt(2)
	v_fmac_f64_e32 v[138:139], v[144:145], v[140:141]
	ds_bpermute_b32 v140, v0, v142 offset:120
	ds_bpermute_b32 v141, v0, v143 offset:120
	v_add_f64 v[2:3], v[2:3], v[218:219]
	v_add_f64 v[2:3], v[2:3], v[226:227]
	;; [unrolled: 1-line block ×3, first 2 shown]
	s_waitcnt lgkmcnt(2)
	v_add_f64 v[150:151], v[186:187], -v[150:151]
	v_add_f64 v[2:3], v[2:3], v[232:233]
	ds_bpermute_b32 v144, v0, v142 offset:124
	ds_bpermute_b32 v145, v0, v143 offset:124
	;; [unrolled: 1-line block ×4, first 2 shown]
	v_mul_f64 v[136:137], v[230:231], v[150:151]
	v_add_f64 v[2:3], v[2:3], v[238:239]
	s_waitcnt lgkmcnt(4)
	v_fmac_f64_e32 v[138:139], v[136:137], v[140:141]
	v_add_f64 v[2:3], v[2:3], v[230:231]
	v_pk_mov_b32 v[136:137], v[138:139], v[138:139] op_sel:[0,1]
.LBB28_225:                             ;   in Loop: Header=BB28_149 Depth=1
	s_waitcnt vmcnt(1)
	v_add_f64 v[2:3], v[2:3], v[146:147]
	v_accvgpr_write_b32 a2, v2
	v_accvgpr_write_b32 a3, v3
	v_add_co_u32_e32 v128, vcc, s7, v128
	v_mov_b32_e32 v2, s9
	v_addc_co_u32_e32 v253, vcc, v253, v2, vcc
	v_add_co_u32_e32 v4, vcc, s10, v4
	v_mov_b32_e32 v2, s11
	v_addc_co_u32_e32 v5, vcc, v5, v2, vcc
	v_add_co_u32_e32 v6, vcc, s10, v6
	v_addc_co_u32_e32 v7, vcc, v7, v2, vcc
	v_add_co_u32_e32 v8, vcc, s10, v8
	;; [unrolled: 2-line block ×62, first 2 shown]
	s_waitcnt vmcnt(0) lgkmcnt(0)
	v_add_f64 v[138:139], v[148:149], -v[142:143]
	v_addc_co_u32_e32 v127, vcc, v127, v2, vcc
	v_mul_f64 v[138:139], v[146:147], v[138:139]
	v_add_co_u32_e32 v132, vcc, s10, v132
	v_fmac_f64_e32 v[136:137], v[138:139], v[144:145]
	v_addc_co_u32_e32 v129, vcc, v129, v2, vcc
	v_accvgpr_read_b32 v138, a4
	v_add_co_u32_e32 v138, vcc, s10, v138
	v_accvgpr_write_b32 a4, v138
	v_addc_co_u32_e32 v131, vcc, v131, v2, vcc
	v_accvgpr_read_b32 v138, a6
	v_add_co_u32_e32 v138, vcc, s10, v138
	v_accvgpr_write_b32 a6, v138
	v_addc_co_u32_e32 v133, vcc, v133, v2, vcc
	v_accvgpr_read_b32 v138, a8
	v_add_co_u32_e32 v138, vcc, s10, v138
	v_accvgpr_read_b32 v3, a5
	v_accvgpr_write_b32 a8, v138
	v_addc_co_u32_e32 v3, vcc, v3, v2, vcc
	v_accvgpr_read_b32 v138, a10
	v_accvgpr_write_b32 a5, v3
	v_add_co_u32_e32 v138, vcc, s10, v138
	v_accvgpr_read_b32 v3, a7
	v_accvgpr_write_b32 a10, v138
	v_addc_co_u32_e32 v3, vcc, v3, v2, vcc
	v_accvgpr_read_b32 v138, a12
	v_accvgpr_write_b32 a7, v3
	;; [unrolled: 6-line block ×56, first 2 shown]
	v_add_co_u32_e32 v138, vcc, s10, v138
	v_accvgpr_read_b32 v3, a117
	v_addc_co_u32_e32 v3, vcc, v3, v2, vcc
	v_accvgpr_write_b32 a117, v3
	v_add_co_u32_e32 v252, vcc, s10, v252
	v_accvgpr_read_b32 v3, a119
	v_accvgpr_write_b32 a120, v138
	v_addc_co_u32_e32 v3, vcc, v3, v2, vcc
	v_accvgpr_read_b32 v138, a122
	v_accvgpr_write_b32 a119, v3
	v_add_co_u32_e32 v138, vcc, s10, v138
	v_accvgpr_read_b32 v3, a121
	v_accvgpr_write_b32 a122, v138
	v_addc_co_u32_e32 v3, vcc, v3, v2, vcc
	v_accvgpr_read_b32 v138, a124
	v_accvgpr_write_b32 a121, v3
	v_add_co_u32_e32 v138, vcc, s10, v138
	v_accvgpr_read_b32 v3, a123
	s_add_u32 s18, s18, s7
	v_addc_co_u32_e32 v3, vcc, v3, v2, vcc
	s_addc_u32 s19, s19, 0
	v_accvgpr_write_b32 a123, v3
	v_pk_mov_b32 v[2:3], s[12:13], s[12:13] op_sel:[0,1]
	s_add_u32 s16, s16, s7
	v_cmp_ge_i64_e32 vcc, s[18:19], v[2:3]
	s_addc_u32 s17, s17, 0
	s_cbranch_vccnz .LBB28_228
; %bb.226:                              ;   in Loop: Header=BB28_149 Depth=1
	v_accvgpr_write_b32 a124, v138
	v_pk_mov_b32 v[138:139], v[136:137], v[136:137] op_sel:[0,1]
	s_branch .LBB28_149
.LBB28_227:
	v_accvgpr_read_b32 v132, a0
	s_andn2_b64 vcc, exec, s[26:27]
	s_cbranch_vccz .LBB28_147
	s_branch .LBB28_229
.LBB28_228:
	v_accvgpr_read_b32 v132, a0
.LBB28_229:
	s_mov_b32 s7, 0
	s_lshl_b64 s[0:1], s[6:7], 6
	v_and_b32_e32 v0, 0x3ff, v132
	v_or_b32_e32 v4, s0, v0
	v_mov_b32_e32 v5, s1
	v_cmp_gt_i64_e32 vcc, s[14:15], v[4:5]
	s_and_saveexec_b64 s[0:1], vcc
	s_cbranch_execz .LBB28_234
; %bb.230:
	s_load_dword s6, s[4:5], 0x4c
	s_load_dwordx4 s[0:3], s[4:5], 0x30
	v_bfe_u32 v0, v132, 10, 10
	v_mov_b32_e32 v1, 0
	v_mov_b32_e32 v2, s8
	s_waitcnt lgkmcnt(0)
	s_lshr_b32 s4, s6, 16
	v_mad_u64_u32 v[2:3], s[4:5], s4, v2, v[0:1]
	s_cmp_eq_u64 s[0:1], 0
	v_mul_lo_u32 v3, v3, s14
	v_mul_lo_u32 v6, v2, s15
	v_lshlrev_b64 v[0:1], 3, v[4:5]
	s_cbranch_scc1 .LBB28_232
; %bb.231:
	v_mad_u64_u32 v[4:5], s[4:5], v2, s14, 0
	v_add3_u32 v5, v5, v6, v3
	v_lshlrev_b64 v[4:5], 3, v[4:5]
	v_mov_b32_e32 v7, s1
	v_add_co_u32_e32 v4, vcc, s0, v4
	v_addc_co_u32_e32 v5, vcc, v7, v5, vcc
	v_add_co_u32_e32 v4, vcc, v4, v0
	v_addc_co_u32_e32 v5, vcc, v5, v1, vcc
	global_store_dwordx2 v[4:5], v[136:137], off
.LBB28_232:
	s_cmp_eq_u64 s[2:3], 0
	s_cbranch_scc1 .LBB28_234
; %bb.233:
	v_mad_u64_u32 v[4:5], s[0:1], v2, s14, 0
	v_add3_u32 v5, v5, v6, v3
	v_lshlrev_b64 v[2:3], 3, v[4:5]
	v_mov_b32_e32 v4, s3
	v_add_co_u32_e32 v2, vcc, s2, v2
	v_addc_co_u32_e32 v3, vcc, v4, v3, vcc
	v_add_co_u32_e32 v0, vcc, v2, v0
	v_addc_co_u32_e32 v1, vcc, v3, v1, vcc
	global_store_dwordx2 v[0:1], a[2:3], off
.LBB28_234:
	s_endpgm
	.section	.rodata,"a",@progbits
	.p2align	6, 0x0
	.amdhsa_kernel _ZN2at6native12_GLOBAL__N_135GammaBetaBackwardCUDAKernelTemplateIddLj64ELj1ELj32ELb1ELb0ELb0EEEvllPKT_S5_PKT0_S8_PS3_S9_
		.amdhsa_group_segment_fixed_size 0
		.amdhsa_private_segment_fixed_size 0
		.amdhsa_kernarg_size 320
		.amdhsa_user_sgpr_count 6
		.amdhsa_user_sgpr_private_segment_buffer 1
		.amdhsa_user_sgpr_dispatch_ptr 0
		.amdhsa_user_sgpr_queue_ptr 0
		.amdhsa_user_sgpr_kernarg_segment_ptr 1
		.amdhsa_user_sgpr_dispatch_id 0
		.amdhsa_user_sgpr_flat_scratch_init 0
		.amdhsa_user_sgpr_kernarg_preload_length 0
		.amdhsa_user_sgpr_kernarg_preload_offset 0
		.amdhsa_user_sgpr_private_segment_size 0
		.amdhsa_uses_dynamic_stack 0
		.amdhsa_system_sgpr_private_segment_wavefront_offset 0
		.amdhsa_system_sgpr_workgroup_id_x 1
		.amdhsa_system_sgpr_workgroup_id_y 1
		.amdhsa_system_sgpr_workgroup_id_z 0
		.amdhsa_system_sgpr_workgroup_info 0
		.amdhsa_system_vgpr_workitem_id 1
		.amdhsa_next_free_vgpr 404
		.amdhsa_next_free_sgpr 42
		.amdhsa_accum_offset 256
		.amdhsa_reserve_vcc 1
		.amdhsa_reserve_flat_scratch 0
		.amdhsa_float_round_mode_32 0
		.amdhsa_float_round_mode_16_64 0
		.amdhsa_float_denorm_mode_32 3
		.amdhsa_float_denorm_mode_16_64 3
		.amdhsa_dx10_clamp 1
		.amdhsa_ieee_mode 1
		.amdhsa_fp16_overflow 0
		.amdhsa_tg_split 0
		.amdhsa_exception_fp_ieee_invalid_op 0
		.amdhsa_exception_fp_denorm_src 0
		.amdhsa_exception_fp_ieee_div_zero 0
		.amdhsa_exception_fp_ieee_overflow 0
		.amdhsa_exception_fp_ieee_underflow 0
		.amdhsa_exception_fp_ieee_inexact 0
		.amdhsa_exception_int_div_zero 0
	.end_amdhsa_kernel
	.section	.text._ZN2at6native12_GLOBAL__N_135GammaBetaBackwardCUDAKernelTemplateIddLj64ELj1ELj32ELb1ELb0ELb0EEEvllPKT_S5_PKT0_S8_PS3_S9_,"axG",@progbits,_ZN2at6native12_GLOBAL__N_135GammaBetaBackwardCUDAKernelTemplateIddLj64ELj1ELj32ELb1ELb0ELb0EEEvllPKT_S5_PKT0_S8_PS3_S9_,comdat
.Lfunc_end28:
	.size	_ZN2at6native12_GLOBAL__N_135GammaBetaBackwardCUDAKernelTemplateIddLj64ELj1ELj32ELb1ELb0ELb0EEEvllPKT_S5_PKT0_S8_PS3_S9_, .Lfunc_end28-_ZN2at6native12_GLOBAL__N_135GammaBetaBackwardCUDAKernelTemplateIddLj64ELj1ELj32ELb1ELb0ELb0EEEvllPKT_S5_PKT0_S8_PS3_S9_
                                        ; -- End function
	.section	.AMDGPU.csdata,"",@progbits
; Kernel info:
; codeLenInByte = 30804
; NumSgprs: 46
; NumVgprs: 256
; NumAgprs: 148
; TotalNumVgprs: 404
; ScratchSize: 0
; MemoryBound: 0
; FloatMode: 240
; IeeeMode: 1
; LDSByteSize: 0 bytes/workgroup (compile time only)
; SGPRBlocks: 5
; VGPRBlocks: 50
; NumSGPRsForWavesPerEU: 46
; NumVGPRsForWavesPerEU: 404
; AccumOffset: 256
; Occupancy: 1
; WaveLimiterHint : 0
; COMPUTE_PGM_RSRC2:SCRATCH_EN: 0
; COMPUTE_PGM_RSRC2:USER_SGPR: 6
; COMPUTE_PGM_RSRC2:TRAP_HANDLER: 0
; COMPUTE_PGM_RSRC2:TGID_X_EN: 1
; COMPUTE_PGM_RSRC2:TGID_Y_EN: 1
; COMPUTE_PGM_RSRC2:TGID_Z_EN: 0
; COMPUTE_PGM_RSRC2:TIDIG_COMP_CNT: 1
; COMPUTE_PGM_RSRC3_GFX90A:ACCUM_OFFSET: 63
; COMPUTE_PGM_RSRC3_GFX90A:TG_SPLIT: 0
	.section	.text._ZN2at6native12_GLOBAL__N_135GammaBetaBackwardCUDAKernelTemplateIddLj64ELj1ELj8ELb1ELb1ELb0EEEvllPKT_S5_PKT0_S8_PS3_S9_,"axG",@progbits,_ZN2at6native12_GLOBAL__N_135GammaBetaBackwardCUDAKernelTemplateIddLj64ELj1ELj8ELb1ELb1ELb0EEEvllPKT_S5_PKT0_S8_PS3_S9_,comdat
	.globl	_ZN2at6native12_GLOBAL__N_135GammaBetaBackwardCUDAKernelTemplateIddLj64ELj1ELj8ELb1ELb1ELb0EEEvllPKT_S5_PKT0_S8_PS3_S9_ ; -- Begin function _ZN2at6native12_GLOBAL__N_135GammaBetaBackwardCUDAKernelTemplateIddLj64ELj1ELj8ELb1ELb1ELb0EEEvllPKT_S5_PKT0_S8_PS3_S9_
	.p2align	8
	.type	_ZN2at6native12_GLOBAL__N_135GammaBetaBackwardCUDAKernelTemplateIddLj64ELj1ELj8ELb1ELb1ELb0EEEvllPKT_S5_PKT0_S8_PS3_S9_,@function
_ZN2at6native12_GLOBAL__N_135GammaBetaBackwardCUDAKernelTemplateIddLj64ELj1ELj8ELb1ELb1ELb0EEEvllPKT_S5_PKT0_S8_PS3_S9_: ; @_ZN2at6native12_GLOBAL__N_135GammaBetaBackwardCUDAKernelTemplateIddLj64ELj1ELj8ELb1ELb1ELb0EEEvllPKT_S5_PKT0_S8_PS3_S9_
; %bb.0:
	s_load_dwordx4 s[16:19], s[4:5], 0x0
	s_lshl_b32 s24, s7, 3
	s_mov_b32 s25, 0
	s_mov_b32 s2, s7
	v_bfe_u32 v16, v0, 10, 10
	s_waitcnt lgkmcnt(0)
	v_pk_mov_b32 v[2:3], s[16:17], s[16:17] op_sel:[0,1]
	v_cmp_lt_i64_e32 vcc, s[24:25], v[2:3]
	s_cbranch_vccnz .LBB29_2
; %bb.1:
	s_add_u32 s26, s4, 64
	s_addc_u32 s27, s5, 0
	s_mov_b64 s[0:1], 0
	s_mov_b64 s[8:9], 0
	v_bfe_u32 v2, v0, 10, 10
	s_branch .LBB29_3
.LBB29_2:
	s_mov_b64 s[0:1], -1
                                        ; implicit-def: $sgpr8_sgpr9
                                        ; implicit-def: $sgpr26_sgpr27
                                        ; implicit-def: $vgpr2
.LBB29_3:
	s_load_dwordx4 s[20:23], s[4:5], 0x30
	v_and_b32_e32 v17, 0x3ff, v0
	s_andn2_b64 vcc, exec, s[0:1]
	v_pk_mov_b32 v[10:11], s[8:9], s[8:9] op_sel:[0,1]
	v_pk_mov_b32 v[0:1], s[8:9], s[8:9] op_sel:[0,1]
	s_cbranch_vccnz .LBB29_11
; %bb.4:
	s_load_dword s0, s[4:5], 0x4c
	s_load_dword s3, s[4:5], 0x44
	s_load_dwordx8 s[8:15], s[4:5], 0x10
	v_mbcnt_lo_u32_b32 v4, -1, 0
	s_add_u32 s26, s4, 64
	v_mbcnt_hi_u32_b32 v4, -1, v4
	s_addc_u32 s27, s5, 0
	s_waitcnt lgkmcnt(0)
	s_and_b32 s0, s0, 0xffff
	v_lshlrev_b32_e32 v3, 3, v16
	v_lshlrev_b32_e32 v4, 2, v4
	v_mad_u32_u24 v0, v16, s0, v17
	v_and_b32_e32 v18, 0x100, v4
	v_mov_b32_e32 v4, s25
	v_add_co_u32_e32 v6, vcc, s24, v3
	v_and_b32_e32 v2, 63, v0
	v_addc_co_u32_e32 v7, vcc, 0, v4, vcc
	v_cmp_gt_u32_e64 s[0:1], 8, v2
	v_add_co_u32_e32 v2, vcc, v6, v2
	v_addc_co_u32_e32 v3, vcc, 0, v7, vcc
	v_mul_lo_u32 v8, s19, v6
	v_mul_lo_u32 v9, s18, v7
	v_mad_u64_u32 v[6:7], s[30:31], s18, v6, 0
	v_mov_b32_e32 v1, 0
	v_lshl_add_u32 v0, s6, 6, v17
	s_lshl_b32 s4, s3, 3
	v_add3_u32 v7, v7, v9, v8
	s_mov_b32 s5, 0
	v_lshlrev_b64 v[6:7], 3, v[6:7]
	v_lshlrev_b64 v[0:1], 3, v[0:1]
	s_mul_i32 s3, s19, s4
	s_mul_hi_u32 s7, s18, s4
	s_lshl_b64 s[28:29], s[4:5], 3
	v_add_co_u32_e32 v6, vcc, v6, v0
	s_add_i32 s31, s7, s3
	s_mul_i32 s30, s18, s4
	s_lshl_b64 s[34:35], s[18:19], 3
	v_pk_mov_b32 v[8:9], 0, 0
	v_or_b32_e32 v19, 4, v18
	v_or_b32_e32 v20, 8, v18
	;; [unrolled: 1-line block ×7, first 2 shown]
	v_lshlrev_b64 v[4:5], 3, v[2:3]
	v_addc_co_u32_e32 v7, vcc, v7, v1, vcc
	s_lshl_b64 s[30:31], s[30:31], 3
	v_mov_b32_e32 v26, s9
	v_mov_b32_e32 v27, s11
	;; [unrolled: 1-line block ×4, first 2 shown]
	v_pk_mov_b32 v[0:1], v[8:9], v[8:9] op_sel:[0,1]
	v_pk_mov_b32 v[10:11], v[8:9], v[8:9] op_sel:[0,1]
	s_branch .LBB29_7
.LBB29_5:                               ;   in Loop: Header=BB29_7 Depth=1
	s_or_b64 exec, exec, s[38:39]
.LBB29_6:                               ;   in Loop: Header=BB29_7 Depth=1
	s_or_b64 exec, exec, s[36:37]
	v_add_co_u32_e32 v30, vcc, s10, v6
	v_addc_co_u32_e32 v31, vcc, v27, v7, vcc
	v_add_co_u32_e32 v34, vcc, s8, v6
	global_load_dwordx2 v[32:33], v[30:31], off
	v_addc_co_u32_e32 v35, vcc, v26, v7, vcc
	global_load_dwordx2 v[36:37], v[34:35], off
	v_add_co_u32_e32 v34, vcc, s34, v34
	v_addc_co_u32_e32 v35, vcc, v35, v28, vcc
	v_add_co_u32_e32 v30, vcc, s34, v30
	v_addc_co_u32_e32 v31, vcc, v31, v28, vcc
	global_load_dwordx2 v[42:43], v[34:35], off
	global_load_dwordx2 v[44:45], v[30:31], off
	v_add_co_u32_e32 v34, vcc, s34, v34
	v_addc_co_u32_e32 v35, vcc, v35, v28, vcc
	v_add_co_u32_e32 v30, vcc, s34, v30
	v_addc_co_u32_e32 v31, vcc, v31, v28, vcc
	global_load_dwordx2 v[46:47], v[34:35], off
	;; [unrolled: 6-line block ×4, first 2 shown]
	global_load_dwordx2 v[56:57], v[30:31], off
	v_add_co_u32_e32 v34, vcc, s34, v34
	v_addc_co_u32_e32 v35, vcc, v35, v28, vcc
	s_waitcnt vmcnt(11)
	ds_bpermute_b32 v40, v18, v14
	ds_bpermute_b32 v41, v18, v15
	v_add_co_u32_e32 v30, vcc, s34, v30
	v_addc_co_u32_e32 v31, vcc, v31, v28, vcc
	s_waitcnt vmcnt(10)
	ds_bpermute_b32 v38, v18, v12
	ds_bpermute_b32 v39, v18, v13
	global_load_dwordx2 v[58:59], v[30:31], off
	v_add_co_u32_e32 v30, vcc, s34, v30
	v_addc_co_u32_e32 v31, vcc, v31, v28, vcc
	v_add_co_u32_e32 v60, vcc, s34, v34
	v_addc_co_u32_e32 v61, vcc, v35, v28, vcc
	global_load_dwordx2 v[34:35], v[34:35], off
	s_add_u32 s24, s24, s4
	s_addc_u32 s25, s25, 0
	s_waitcnt vmcnt(11) lgkmcnt(2)
	v_add_f64 v[32:33], v[32:33], -v[40:41]
	global_load_dwordx2 v[40:41], v[60:61], off
	s_waitcnt vmcnt(11)
	v_mul_f64 v[32:33], v[36:37], v[32:33]
	s_waitcnt lgkmcnt(0)
	v_fmac_f64_e32 v[0:1], v[32:33], v[38:39]
	v_add_co_u32_e32 v38, vcc, s34, v60
	v_addc_co_u32_e32 v39, vcc, v61, v28, vcc
	global_load_dwordx2 v[32:33], v[30:31], off
	v_add_co_u32_e32 v30, vcc, s34, v30
	v_addc_co_u32_e32 v31, vcc, v31, v28, vcc
	global_load_dwordx2 v[60:61], v[30:31], off
	global_load_dwordx2 v[62:63], v[38:39], off
	ds_bpermute_b32 v30, v19, v14
	ds_bpermute_b32 v31, v19, v15
	v_add_f64 v[10:11], v[10:11], v[36:37]
	ds_bpermute_b32 v36, v19, v12
	ds_bpermute_b32 v37, v19, v13
	;; [unrolled: 1-line block ×3, first 2 shown]
	s_waitcnt vmcnt(12) lgkmcnt(3)
	v_add_f64 v[30:31], v[44:45], -v[30:31]
	ds_bpermute_b32 v39, v20, v15
	v_mul_f64 v[30:31], v[42:43], v[30:31]
	s_waitcnt lgkmcnt(2)
	v_fmac_f64_e32 v[0:1], v[30:31], v[36:37]
	ds_bpermute_b32 v30, v20, v12
	ds_bpermute_b32 v31, v20, v13
	s_waitcnt vmcnt(10) lgkmcnt(2)
	v_add_f64 v[36:37], v[48:49], -v[38:39]
	ds_bpermute_b32 v38, v21, v14
	ds_bpermute_b32 v39, v21, v15
	v_mul_f64 v[36:37], v[46:47], v[36:37]
	s_waitcnt lgkmcnt(2)
	v_fmac_f64_e32 v[0:1], v[36:37], v[30:31]
	ds_bpermute_b32 v30, v21, v12
	ds_bpermute_b32 v31, v21, v13
	s_waitcnt vmcnt(8) lgkmcnt(2)
	v_add_f64 v[36:37], v[52:53], -v[38:39]
	ds_bpermute_b32 v38, v22, v14
	;; [unrolled: 9-line block ×3, first 2 shown]
	ds_bpermute_b32 v39, v23, v15
	v_mul_f64 v[36:37], v[54:55], v[36:37]
	s_waitcnt lgkmcnt(2)
	v_fmac_f64_e32 v[0:1], v[36:37], v[30:31]
	ds_bpermute_b32 v30, v23, v12
	ds_bpermute_b32 v31, v23, v13
	v_add_co_u32_e32 v4, vcc, s28, v4
	v_add_f64 v[10:11], v[10:11], v[42:43]
	v_addc_co_u32_e32 v5, vcc, v5, v29, vcc
	s_waitcnt vmcnt(5) lgkmcnt(2)
	v_add_f64 v[36:37], v[58:59], -v[38:39]
	ds_bpermute_b32 v38, v24, v14
	ds_bpermute_b32 v39, v24, v15
	;; [unrolled: 1-line block ×4, first 2 shown]
	v_add_f64 v[10:11], v[10:11], v[46:47]
	v_add_co_u32_e32 v2, vcc, s4, v2
	s_waitcnt vmcnt(4)
	v_mul_f64 v[36:37], v[34:35], v[36:37]
	s_waitcnt lgkmcnt(4)
	v_fmac_f64_e32 v[0:1], v[36:37], v[30:31]
	ds_bpermute_b32 v30, v24, v12
	ds_bpermute_b32 v31, v24, v13
	ds_bpermute_b32 v12, v25, v12
	ds_bpermute_b32 v13, v25, v13
	v_add_f64 v[10:11], v[10:11], v[50:51]
	v_add_f64 v[10:11], v[10:11], v[54:55]
	;; [unrolled: 1-line block ×3, first 2 shown]
	s_waitcnt vmcnt(3)
	v_add_f64 v[10:11], v[10:11], v[40:41]
	s_waitcnt vmcnt(2) lgkmcnt(6)
	v_add_f64 v[32:33], v[32:33], -v[38:39]
	v_mul_f64 v[32:33], v[40:41], v[32:33]
	s_waitcnt lgkmcnt(2)
	v_fmac_f64_e32 v[0:1], v[32:33], v[30:31]
	s_waitcnt vmcnt(1)
	v_add_f64 v[14:15], v[60:61], -v[14:15]
	s_waitcnt vmcnt(0)
	v_mul_f64 v[14:15], v[62:63], v[14:15]
	s_waitcnt lgkmcnt(0)
	v_fmac_f64_e32 v[0:1], v[14:15], v[12:13]
	v_mov_b32_e32 v12, s5
	v_addc_co_u32_e32 v3, vcc, v3, v12, vcc
	v_mov_b32_e32 v12, s31
	v_add_co_u32_e32 v6, vcc, s30, v6
	v_addc_co_u32_e32 v7, vcc, v7, v12, vcc
	v_pk_mov_b32 v[12:13], s[16:17], s[16:17] op_sel:[0,1]
	v_cmp_lt_i64_e32 vcc, s[24:25], v[12:13]
	v_add_f64 v[10:11], v[10:11], v[62:63]
	s_cbranch_vccz .LBB29_10
.LBB29_7:                               ; =>This Inner Loop Header: Depth=1
	v_pk_mov_b32 v[12:13], v[8:9], v[8:9] op_sel:[0,1]
	v_pk_mov_b32 v[14:15], v[8:9], v[8:9] op_sel:[0,1]
	s_and_saveexec_b64 s[36:37], s[0:1]
	s_cbranch_execz .LBB29_6
; %bb.8:                                ;   in Loop: Header=BB29_7 Depth=1
	v_pk_mov_b32 v[14:15], 0, 0
	v_cmp_gt_i64_e32 vcc, s[16:17], v[2:3]
	v_pk_mov_b32 v[12:13], v[14:15], v[14:15] op_sel:[0,1]
	s_and_saveexec_b64 s[38:39], vcc
	s_cbranch_execz .LBB29_5
; %bb.9:                                ;   in Loop: Header=BB29_7 Depth=1
	v_mov_b32_e32 v12, s15
	v_add_co_u32_e32 v30, vcc, s14, v4
	v_addc_co_u32_e32 v31, vcc, v12, v5, vcc
	v_mov_b32_e32 v12, s13
	v_add_co_u32_e32 v32, vcc, s12, v4
	v_addc_co_u32_e32 v33, vcc, v12, v5, vcc
	global_load_dwordx2 v[14:15], v[32:33], off
	global_load_dwordx2 v[12:13], v[30:31], off
	s_branch .LBB29_5
.LBB29_10:
	v_mov_b32_e32 v2, v16
.LBB29_11:
	s_mov_b32 s7, 0
	s_lshl_b64 s[0:1], s[6:7], 6
	v_mov_b32_e32 v4, s1
	s_load_dword s1, s[26:27], 0xc
	v_add_co_u32_e32 v8, vcc, s0, v17
	v_mov_b32_e32 v3, 0
	v_addc_co_u32_e32 v9, vcc, 0, v4, vcc
	s_waitcnt lgkmcnt(0)
	s_lshr_b32 s0, s1, 16
	v_mov_b32_e32 v4, s2
	v_mad_u64_u32 v[4:5], s[0:1], s0, v4, v[2:3]
	s_cmp_eq_u64 s[20:21], 0
	v_mul_lo_u32 v5, v5, s18
	v_mul_lo_u32 v6, v4, s19
	v_lshlrev_b64 v[2:3], 3, v[8:9]
	s_cbranch_scc1 .LBB29_13
; %bb.12:
	v_mad_u64_u32 v[8:9], s[0:1], v4, s18, 0
	v_add3_u32 v9, v9, v6, v5
	v_lshlrev_b64 v[8:9], 3, v[8:9]
	v_mov_b32_e32 v7, s21
	v_add_co_u32_e32 v8, vcc, s20, v8
	v_addc_co_u32_e32 v7, vcc, v7, v9, vcc
	v_add_co_u32_e32 v8, vcc, v8, v2
	v_addc_co_u32_e32 v9, vcc, v7, v3, vcc
	global_store_dwordx2 v[8:9], v[0:1], off
.LBB29_13:
	s_cmp_eq_u64 s[22:23], 0
	s_cbranch_scc1 .LBB29_15
; %bb.14:
	v_mad_u64_u32 v[0:1], s[0:1], v4, s18, 0
	v_add3_u32 v1, v1, v6, v5
	v_lshlrev_b64 v[0:1], 3, v[0:1]
	v_mov_b32_e32 v4, s23
	v_add_co_u32_e32 v0, vcc, s22, v0
	v_addc_co_u32_e32 v1, vcc, v4, v1, vcc
	v_add_co_u32_e32 v0, vcc, v0, v2
	v_addc_co_u32_e32 v1, vcc, v1, v3, vcc
	global_store_dwordx2 v[0:1], v[10:11], off
.LBB29_15:
	s_endpgm
	.section	.rodata,"a",@progbits
	.p2align	6, 0x0
	.amdhsa_kernel _ZN2at6native12_GLOBAL__N_135GammaBetaBackwardCUDAKernelTemplateIddLj64ELj1ELj8ELb1ELb1ELb0EEEvllPKT_S5_PKT0_S8_PS3_S9_
		.amdhsa_group_segment_fixed_size 0
		.amdhsa_private_segment_fixed_size 0
		.amdhsa_kernarg_size 320
		.amdhsa_user_sgpr_count 6
		.amdhsa_user_sgpr_private_segment_buffer 1
		.amdhsa_user_sgpr_dispatch_ptr 0
		.amdhsa_user_sgpr_queue_ptr 0
		.amdhsa_user_sgpr_kernarg_segment_ptr 1
		.amdhsa_user_sgpr_dispatch_id 0
		.amdhsa_user_sgpr_flat_scratch_init 0
		.amdhsa_user_sgpr_kernarg_preload_length 0
		.amdhsa_user_sgpr_kernarg_preload_offset 0
		.amdhsa_user_sgpr_private_segment_size 0
		.amdhsa_uses_dynamic_stack 0
		.amdhsa_system_sgpr_private_segment_wavefront_offset 0
		.amdhsa_system_sgpr_workgroup_id_x 1
		.amdhsa_system_sgpr_workgroup_id_y 1
		.amdhsa_system_sgpr_workgroup_id_z 0
		.amdhsa_system_sgpr_workgroup_info 0
		.amdhsa_system_vgpr_workitem_id 1
		.amdhsa_next_free_vgpr 64
		.amdhsa_next_free_sgpr 40
		.amdhsa_accum_offset 64
		.amdhsa_reserve_vcc 1
		.amdhsa_reserve_flat_scratch 0
		.amdhsa_float_round_mode_32 0
		.amdhsa_float_round_mode_16_64 0
		.amdhsa_float_denorm_mode_32 3
		.amdhsa_float_denorm_mode_16_64 3
		.amdhsa_dx10_clamp 1
		.amdhsa_ieee_mode 1
		.amdhsa_fp16_overflow 0
		.amdhsa_tg_split 0
		.amdhsa_exception_fp_ieee_invalid_op 0
		.amdhsa_exception_fp_denorm_src 0
		.amdhsa_exception_fp_ieee_div_zero 0
		.amdhsa_exception_fp_ieee_overflow 0
		.amdhsa_exception_fp_ieee_underflow 0
		.amdhsa_exception_fp_ieee_inexact 0
		.amdhsa_exception_int_div_zero 0
	.end_amdhsa_kernel
	.section	.text._ZN2at6native12_GLOBAL__N_135GammaBetaBackwardCUDAKernelTemplateIddLj64ELj1ELj8ELb1ELb1ELb0EEEvllPKT_S5_PKT0_S8_PS3_S9_,"axG",@progbits,_ZN2at6native12_GLOBAL__N_135GammaBetaBackwardCUDAKernelTemplateIddLj64ELj1ELj8ELb1ELb1ELb0EEEvllPKT_S5_PKT0_S8_PS3_S9_,comdat
.Lfunc_end29:
	.size	_ZN2at6native12_GLOBAL__N_135GammaBetaBackwardCUDAKernelTemplateIddLj64ELj1ELj8ELb1ELb1ELb0EEEvllPKT_S5_PKT0_S8_PS3_S9_, .Lfunc_end29-_ZN2at6native12_GLOBAL__N_135GammaBetaBackwardCUDAKernelTemplateIddLj64ELj1ELj8ELb1ELb1ELb0EEEvllPKT_S5_PKT0_S8_PS3_S9_
                                        ; -- End function
	.section	.AMDGPU.csdata,"",@progbits
; Kernel info:
; codeLenInByte = 1608
; NumSgprs: 44
; NumVgprs: 64
; NumAgprs: 0
; TotalNumVgprs: 64
; ScratchSize: 0
; MemoryBound: 0
; FloatMode: 240
; IeeeMode: 1
; LDSByteSize: 0 bytes/workgroup (compile time only)
; SGPRBlocks: 5
; VGPRBlocks: 7
; NumSGPRsForWavesPerEU: 44
; NumVGPRsForWavesPerEU: 64
; AccumOffset: 64
; Occupancy: 8
; WaveLimiterHint : 0
; COMPUTE_PGM_RSRC2:SCRATCH_EN: 0
; COMPUTE_PGM_RSRC2:USER_SGPR: 6
; COMPUTE_PGM_RSRC2:TRAP_HANDLER: 0
; COMPUTE_PGM_RSRC2:TGID_X_EN: 1
; COMPUTE_PGM_RSRC2:TGID_Y_EN: 1
; COMPUTE_PGM_RSRC2:TGID_Z_EN: 0
; COMPUTE_PGM_RSRC2:TIDIG_COMP_CNT: 1
; COMPUTE_PGM_RSRC3_GFX90A:ACCUM_OFFSET: 15
; COMPUTE_PGM_RSRC3_GFX90A:TG_SPLIT: 0
	.section	.text._ZN2at6native12_GLOBAL__N_135GammaBetaBackwardCUDAKernelTemplateIddLj64ELj1ELj8ELb1ELb0ELb0EEEvllPKT_S5_PKT0_S8_PS3_S9_,"axG",@progbits,_ZN2at6native12_GLOBAL__N_135GammaBetaBackwardCUDAKernelTemplateIddLj64ELj1ELj8ELb1ELb0ELb0EEEvllPKT_S5_PKT0_S8_PS3_S9_,comdat
	.globl	_ZN2at6native12_GLOBAL__N_135GammaBetaBackwardCUDAKernelTemplateIddLj64ELj1ELj8ELb1ELb0ELb0EEEvllPKT_S5_PKT0_S8_PS3_S9_ ; -- Begin function _ZN2at6native12_GLOBAL__N_135GammaBetaBackwardCUDAKernelTemplateIddLj64ELj1ELj8ELb1ELb0ELb0EEEvllPKT_S5_PKT0_S8_PS3_S9_
	.p2align	8
	.type	_ZN2at6native12_GLOBAL__N_135GammaBetaBackwardCUDAKernelTemplateIddLj64ELj1ELj8ELb1ELb0ELb0EEEvllPKT_S5_PKT0_S8_PS3_S9_,@function
_ZN2at6native12_GLOBAL__N_135GammaBetaBackwardCUDAKernelTemplateIddLj64ELj1ELj8ELb1ELb0ELb0EEEvllPKT_S5_PKT0_S8_PS3_S9_: ; @_ZN2at6native12_GLOBAL__N_135GammaBetaBackwardCUDAKernelTemplateIddLj64ELj1ELj8ELb1ELb0ELb0EEEvllPKT_S5_PKT0_S8_PS3_S9_
; %bb.0:
	s_load_dwordx8 s[36:43], s[4:5], 0x0
	s_load_dwordx4 s[28:31], s[4:5], 0x20
	s_mov_b32 s8, s7
	s_lshl_b32 s7, s6, 6
	s_or_b32 s34, s7, 63
	s_mov_b32 s35, 0
	s_waitcnt lgkmcnt(0)
	v_pk_mov_b32 v[2:3], s[38:39], s[38:39] op_sel:[0,1]
	v_cmp_ge_i64_e32 vcc, s[34:35], v[2:3]
	s_lshl_b32 s34, s8, 3
	v_pk_mov_b32 v[2:3], s[36:37], s[36:37] op_sel:[0,1]
	v_cmp_lt_i64_e64 s[0:1], s[34:35], v[2:3]
	v_cndmask_b32_e64 v1, 0, 1, s[0:1]
	v_cmp_ne_u32_e64 s[0:1], 1, v1
	s_cbranch_vccz .LBB30_49
; %bb.1:
	v_pk_mov_b32 v[50:51], 0, 0
	s_mov_b64 s[44:45], 0
	s_and_b64 vcc, exec, s[0:1]
	v_pk_mov_b32 v[52:53], v[50:51], v[50:51] op_sel:[0,1]
	s_cbranch_vccnz .LBB30_50
; %bb.2:
	v_and_b32_e32 v89, 0x3ff, v0
	v_mov_b32_e32 v4, 0
	v_bfe_u32 v98, v0, 10, 10
	v_add_u32_e32 v2, s7, v89
	v_mov_b32_e32 v3, v4
	v_lshlrev_b32_e32 v54, 3, v98
	v_cmp_gt_i64_e64 s[2:3], s[38:39], v[2:3]
	v_lshlrev_b64 v[56:57], 3, v[2:3]
	v_mov_b32_e32 v2, s35
	v_add_co_u32_e32 v5, vcc, s34, v54
	v_addc_co_u32_e32 v6, vcc, 0, v2, vcc
	v_add_co_u32_e32 v2, vcc, 7, v5
	v_addc_co_u32_e32 v3, vcc, 0, v6, vcc
	v_mul_lo_u32 v7, s39, v2
	v_mul_lo_u32 v8, s38, v3
	v_mad_u64_u32 v[2:3], s[10:11], s38, v2, 0
	s_load_dword s9, s[4:5], 0x44
	v_add3_u32 v3, v3, v8, v7
	v_lshlrev_b64 v[2:3], 3, v[2:3]
	v_mov_b32_e32 v7, s41
	v_add_co_u32_e32 v58, vcc, s40, v2
	v_addc_co_u32_e32 v55, vcc, v7, v3, vcc
	s_add_u32 s46, s4, 64
	v_mov_b32_e32 v8, s43
	v_add_co_u32_e32 v60, vcc, s42, v2
	s_addc_u32 s47, s5, 0
	s_waitcnt lgkmcnt(0)
	s_lshl_b32 s9, s9, 3
	v_addc_co_u32_e32 v59, vcc, v8, v3, vcc
	s_mul_i32 s10, s39, s9
	s_mul_hi_u32 s11, s38, s9
	v_add_co_u32_e32 v2, vcc, 6, v5
	s_add_i32 s11, s11, s10
	s_mul_i32 s10, s38, s9
	v_addc_co_u32_e32 v3, vcc, 0, v6, vcc
	s_lshl_b64 s[50:51], s[10:11], 3
	v_mul_lo_u32 v9, s39, v2
	v_mul_lo_u32 v10, s38, v3
	v_mad_u64_u32 v[2:3], s[10:11], s38, v2, 0
	v_add3_u32 v3, v3, v10, v9
	v_lshlrev_b64 v[2:3], 3, v[2:3]
	v_add_co_u32_e32 v62, vcc, s40, v2
	v_addc_co_u32_e32 v61, vcc, v7, v3, vcc
	v_add_co_u32_e32 v64, vcc, s42, v2
	v_addc_co_u32_e32 v63, vcc, v8, v3, vcc
	v_add_co_u32_e32 v2, vcc, 5, v5
	v_addc_co_u32_e32 v3, vcc, 0, v6, vcc
	v_mul_lo_u32 v9, s39, v2
	v_mul_lo_u32 v10, s38, v3
	v_mad_u64_u32 v[2:3], s[10:11], s38, v2, 0
	v_add3_u32 v3, v3, v10, v9
	v_lshlrev_b64 v[2:3], 3, v[2:3]
	v_add_co_u32_e32 v66, vcc, s40, v2
	v_addc_co_u32_e32 v65, vcc, v7, v3, vcc
	v_add_co_u32_e32 v68, vcc, s42, v2
	v_addc_co_u32_e32 v67, vcc, v8, v3, vcc
	v_add_co_u32_e32 v2, vcc, 4, v5
	v_addc_co_u32_e32 v3, vcc, 0, v6, vcc
	v_mul_lo_u32 v9, s39, v2
	v_mul_lo_u32 v10, s38, v3
	v_mad_u64_u32 v[2:3], s[10:11], s38, v2, 0
	v_add3_u32 v3, v3, v10, v9
	v_lshlrev_b64 v[2:3], 3, v[2:3]
	v_add_co_u32_e32 v70, vcc, s40, v2
	v_addc_co_u32_e32 v69, vcc, v7, v3, vcc
	v_add_co_u32_e32 v72, vcc, s42, v2
	v_addc_co_u32_e32 v71, vcc, v8, v3, vcc
	v_add_co_u32_e32 v2, vcc, 3, v5
	v_addc_co_u32_e32 v3, vcc, 0, v6, vcc
	v_mul_lo_u32 v9, s39, v2
	v_mul_lo_u32 v10, s38, v3
	v_mad_u64_u32 v[2:3], s[10:11], s38, v2, 0
	v_add3_u32 v3, v3, v10, v9
	v_lshlrev_b64 v[2:3], 3, v[2:3]
	v_add_co_u32_e32 v74, vcc, s40, v2
	v_addc_co_u32_e32 v73, vcc, v7, v3, vcc
	v_add_co_u32_e32 v76, vcc, s42, v2
	v_addc_co_u32_e32 v75, vcc, v8, v3, vcc
	v_add_co_u32_e32 v2, vcc, 2, v5
	v_addc_co_u32_e32 v3, vcc, 0, v6, vcc
	v_mul_lo_u32 v9, s39, v2
	v_mul_lo_u32 v10, s38, v3
	v_mad_u64_u32 v[2:3], s[10:11], s38, v2, 0
	v_add3_u32 v3, v3, v10, v9
	v_lshlrev_b64 v[2:3], 3, v[2:3]
	v_add_co_u32_e32 v78, vcc, s40, v2
	v_addc_co_u32_e32 v77, vcc, v7, v3, vcc
	v_add_co_u32_e32 v80, vcc, s42, v2
	v_addc_co_u32_e32 v79, vcc, v8, v3, vcc
	v_pk_mov_b32 v[2:3], s[38:39], s[38:39] op_sel:[0,1]
	v_mad_u64_u32 v[2:3], s[10:11], s38, v5, v[2:3]
	v_mul_lo_u32 v6, s38, v6
	v_mul_lo_u32 v9, s39, v5
	v_add3_u32 v3, v9, v3, v6
	v_lshlrev_b64 v[2:3], 3, v[2:3]
	v_add_co_u32_e32 v82, vcc, s40, v2
	v_addc_co_u32_e32 v81, vcc, v7, v3, vcc
	v_add_co_u32_e32 v84, vcc, s42, v2
	v_addc_co_u32_e32 v83, vcc, v8, v3, vcc
	v_mad_u64_u32 v[2:3], s[10:11], s38, v5, 0
	v_add3_u32 v3, v3, v6, v9
	v_lshlrev_b64 v[2:3], 3, v[2:3]
	v_add_co_u32_e32 v86, vcc, s40, v2
	v_addc_co_u32_e32 v85, vcc, v7, v3, vcc
	v_add_co_u32_e32 v88, vcc, s42, v2
	v_mbcnt_lo_u32_b32 v2, -1, 0
	v_mbcnt_hi_u32_b32 v2, -1, v2
	s_mov_b32 s12, 0
	v_pk_mov_b32 v[90:91], 0, 0
	v_lshlrev_b32_e32 v2, 2, v2
	v_mov_b32_e32 v1, v4
	s_mov_b32 s33, s12
	s_mov_b64 s[48:49], 7
	v_addc_co_u32_e32 v87, vcc, v8, v3, vcc
	v_and_b32_e32 v99, 0x100, v2
	v_pk_mov_b32 v[50:51], v[90:91], v[90:91] op_sel:[0,1]
	s_mov_b64 s[52:53], s[34:35]
.LBB30_3:                               ; =>This Inner Loop Header: Depth=1
	s_add_u32 s10, s34, s48
	s_addc_u32 s11, 0, s49
	v_pk_mov_b32 v[2:3], s[36:37], s[36:37] op_sel:[0,1]
	v_cmp_ge_i64_e32 vcc, s[10:11], v[2:3]
	v_mov_b32_e32 v2, s35
	v_add_co_u32_e64 v92, s[10:11], s34, v54
	v_addc_co_u32_e64 v93, s[10:11], v2, v1, s[10:11]
	s_cbranch_vccz .LBB30_25
; %bb.4:                                ;   in Loop: Header=BB30_3 Depth=1
	s_load_dword s10, s[46:47], 0xc
	v_pk_mov_b32 v[96:97], 0, 0
	v_pk_mov_b32 v[94:95], v[96:97], v[96:97] op_sel:[0,1]
	s_waitcnt lgkmcnt(0)
	s_and_b32 s10, s10, 0xffff
	v_mad_u32_u24 v2, v98, s10, v89
	v_and_b32_e32 v2, 63, v2
	v_cmp_gt_u32_e32 vcc, 8, v2
	s_and_saveexec_b64 s[10:11], vcc
	s_cbranch_execz .LBB30_8
; %bb.5:                                ;   in Loop: Header=BB30_3 Depth=1
	v_add_co_u32_e32 v2, vcc, v92, v2
	v_addc_co_u32_e32 v3, vcc, 0, v93, vcc
	v_pk_mov_b32 v[94:95], 0, 0
	v_cmp_gt_i64_e32 vcc, s[36:37], v[2:3]
	v_pk_mov_b32 v[96:97], v[94:95], v[94:95] op_sel:[0,1]
	s_and_saveexec_b64 s[14:15], vcc
	s_cbranch_execz .LBB30_7
; %bb.6:                                ;   in Loop: Header=BB30_3 Depth=1
	v_lshlrev_b64 v[2:3], 3, v[2:3]
	v_mov_b32_e32 v5, s31
	v_add_co_u32_e32 v6, vcc, s30, v2
	v_addc_co_u32_e32 v7, vcc, v5, v3, vcc
	v_mov_b32_e32 v5, s29
	v_add_co_u32_e32 v2, vcc, s28, v2
	v_addc_co_u32_e32 v3, vcc, v5, v3, vcc
	global_load_dwordx2 v[94:95], v[2:3], off
	global_load_dwordx2 v[96:97], v[6:7], off
.LBB30_7:                               ;   in Loop: Header=BB30_3 Depth=1
	s_or_b64 exec, exec, s[14:15]
.LBB30_8:                               ;   in Loop: Header=BB30_3 Depth=1
	s_or_b64 exec, exec, s[10:11]
	s_mov_b32 s26, s12
	s_mov_b32 s27, s12
	;; [unrolled: 1-line block ×15, first 2 shown]
	v_pk_mov_b32 v[32:33], s[26:27], s[26:27] op_sel:[0,1]
	v_cmp_gt_i64_e32 vcc, s[36:37], v[92:93]
	v_pk_mov_b32 v[30:31], s[24:25], s[24:25] op_sel:[0,1]
	v_pk_mov_b32 v[28:29], s[22:23], s[22:23] op_sel:[0,1]
	;; [unrolled: 1-line block ×8, first 2 shown]
	s_and_b64 s[54:55], s[2:3], vcc
	v_pk_mov_b32 v[46:47], v[30:31], v[30:31] op_sel:[0,1]
	v_pk_mov_b32 v[44:45], v[28:29], v[28:29] op_sel:[0,1]
	;; [unrolled: 1-line block ×7, first 2 shown]
	s_and_saveexec_b64 s[10:11], s[54:55]
	s_cbranch_execz .LBB30_10
; %bb.9:                                ;   in Loop: Header=BB30_3 Depth=1
	v_add_co_u32_e32 v2, vcc, v86, v56
	v_addc_co_u32_e32 v3, vcc, v85, v57, vcc
	v_add_co_u32_e32 v6, vcc, v88, v56
	global_load_dwordx2 v[2:3], v[2:3], off
	v_addc_co_u32_e32 v7, vcc, v87, v57, vcc
	global_load_dwordx2 v[18:19], v[6:7], off
	v_mov_b32_e32 v16, v4
	v_mov_b32_e32 v17, v4
	;; [unrolled: 1-line block ×13, first 2 shown]
	s_waitcnt vmcnt(1)
	v_pk_mov_b32 v[48:49], v[16:17], v[16:17] op_sel:[0,1]
	v_mov_b32_e32 v20, v4
	v_mov_b32_e32 v21, v4
	;; [unrolled: 1-line block ×14, first 2 shown]
	v_pk_mov_b32 v[46:47], v[14:15], v[14:15] op_sel:[0,1]
	v_pk_mov_b32 v[44:45], v[12:13], v[12:13] op_sel:[0,1]
	;; [unrolled: 1-line block ×7, first 2 shown]
.LBB30_10:                              ;   in Loop: Header=BB30_3 Depth=1
	s_or_b64 exec, exec, s[10:11]
	v_add_co_u32_e32 v2, vcc, 1, v92
	v_addc_co_u32_e32 v3, vcc, 0, v93, vcc
	v_cmp_gt_i64_e32 vcc, s[36:37], v[2:3]
	s_and_b64 s[14:15], s[2:3], vcc
	s_and_saveexec_b64 s[10:11], s[14:15]
	s_cbranch_execz .LBB30_12
; %bb.11:                               ;   in Loop: Header=BB30_3 Depth=1
	v_add_co_u32_e32 v2, vcc, v82, v56
	v_addc_co_u32_e32 v3, vcc, v81, v57, vcc
	global_load_dwordx2 v[36:37], v[2:3], off
	v_add_co_u32_e32 v2, vcc, v84, v56
	v_addc_co_u32_e32 v3, vcc, v83, v57, vcc
	global_load_dwordx2 v[20:21], v[2:3], off
.LBB30_12:                              ;   in Loop: Header=BB30_3 Depth=1
	s_or_b64 exec, exec, s[10:11]
	v_add_co_u32_e32 v2, vcc, 2, v92
	v_addc_co_u32_e32 v3, vcc, 0, v93, vcc
	v_cmp_gt_i64_e32 vcc, s[36:37], v[2:3]
	s_and_b64 s[14:15], s[2:3], vcc
	s_and_saveexec_b64 s[10:11], s[14:15]
	s_cbranch_execz .LBB30_14
; %bb.13:                               ;   in Loop: Header=BB30_3 Depth=1
	v_add_co_u32_e32 v2, vcc, v78, v56
	v_addc_co_u32_e32 v3, vcc, v77, v57, vcc
	global_load_dwordx2 v[38:39], v[2:3], off
	v_add_co_u32_e32 v2, vcc, v80, v56
	v_addc_co_u32_e32 v3, vcc, v79, v57, vcc
	global_load_dwordx2 v[22:23], v[2:3], off
.LBB30_14:                              ;   in Loop: Header=BB30_3 Depth=1
	;; [unrolled: 15-line block ×7, first 2 shown]
	s_or_b64 exec, exec, s[10:11]
	s_waitcnt vmcnt(1)
	ds_bpermute_b32 v2, v99, v94
	ds_bpermute_b32 v3, v99, v95
	s_waitcnt vmcnt(0)
	ds_bpermute_b32 v6, v99, v96
	ds_bpermute_b32 v7, v99, v97
	ds_bpermute_b32 v8, v99, v94 offset:4
	ds_bpermute_b32 v9, v99, v95 offset:4
	s_waitcnt lgkmcnt(4)
	v_add_f64 v[2:3], v[18:19], -v[2:3]
	v_mul_f64 v[2:3], v[34:35], v[2:3]
	s_waitcnt lgkmcnt(2)
	v_fma_f64 v[52:53], v[2:3], v[6:7], v[90:91]
	ds_bpermute_b32 v6, v99, v96 offset:4
	ds_bpermute_b32 v7, v99, v97 offset:4
	ds_bpermute_b32 v10, v99, v94 offset:8
	ds_bpermute_b32 v11, v99, v95 offset:8
	s_waitcnt lgkmcnt(4)
	v_add_f64 v[8:9], v[20:21], -v[8:9]
	v_mul_f64 v[8:9], v[36:37], v[8:9]
	s_waitcnt lgkmcnt(2)
	v_fmac_f64_e32 v[52:53], v[8:9], v[6:7]
	ds_bpermute_b32 v6, v99, v96 offset:8
	ds_bpermute_b32 v7, v99, v97 offset:8
	s_waitcnt lgkmcnt(2)
	v_add_f64 v[8:9], v[22:23], -v[10:11]
	ds_bpermute_b32 v10, v99, v94 offset:12
	ds_bpermute_b32 v11, v99, v95 offset:12
	v_mul_f64 v[8:9], v[38:39], v[8:9]
	s_waitcnt lgkmcnt(2)
	v_fmac_f64_e32 v[52:53], v[8:9], v[6:7]
	ds_bpermute_b32 v6, v99, v96 offset:12
	ds_bpermute_b32 v7, v99, v97 offset:12
	s_waitcnt lgkmcnt(2)
	v_add_f64 v[8:9], v[24:25], -v[10:11]
	ds_bpermute_b32 v10, v99, v94 offset:16
	ds_bpermute_b32 v11, v99, v95 offset:16
	v_mul_f64 v[8:9], v[40:41], v[8:9]
	s_waitcnt lgkmcnt(2)
	v_fmac_f64_e32 v[52:53], v[8:9], v[6:7]
	ds_bpermute_b32 v6, v99, v96 offset:16
	ds_bpermute_b32 v7, v99, v97 offset:16
	s_waitcnt lgkmcnt(2)
	v_add_f64 v[8:9], v[26:27], -v[10:11]
	ds_bpermute_b32 v10, v99, v94 offset:20
	ds_bpermute_b32 v11, v99, v95 offset:20
	v_mul_f64 v[8:9], v[42:43], v[8:9]
	v_add_f64 v[2:3], v[50:51], v[34:35]
	s_waitcnt lgkmcnt(2)
	v_fmac_f64_e32 v[52:53], v[8:9], v[6:7]
	ds_bpermute_b32 v6, v99, v96 offset:20
	ds_bpermute_b32 v7, v99, v97 offset:20
	v_add_f64 v[2:3], v[36:37], v[2:3]
	v_add_f64 v[2:3], v[38:39], v[2:3]
	s_waitcnt lgkmcnt(2)
	v_add_f64 v[8:9], v[28:29], -v[10:11]
	ds_bpermute_b32 v10, v99, v94 offset:24
	ds_bpermute_b32 v11, v99, v95 offset:24
	v_add_f64 v[2:3], v[40:41], v[2:3]
	v_add_f64 v[2:3], v[42:43], v[2:3]
	v_mul_f64 v[8:9], v[44:45], v[8:9]
	ds_bpermute_b32 v12, v99, v96 offset:24
	ds_bpermute_b32 v13, v99, v97 offset:24
	s_waitcnt lgkmcnt(4)
	v_fmac_f64_e32 v[52:53], v[8:9], v[6:7]
	v_add_f64 v[8:9], v[44:45], v[2:3]
	ds_bpermute_b32 v2, v99, v96 offset:28
	ds_bpermute_b32 v3, v99, v97 offset:28
	;; [unrolled: 1-line block ×4, first 2 shown]
	s_waitcnt lgkmcnt(6)
	v_add_f64 v[10:11], v[30:31], -v[10:11]
	v_mul_f64 v[10:11], v[46:47], v[10:11]
	s_waitcnt lgkmcnt(4)
	v_fmac_f64_e32 v[52:53], v[10:11], v[12:13]
	v_add_f64 v[8:9], v[46:47], v[8:9]
	s_branch .LBB30_40
.LBB30_25:                              ;   in Loop: Header=BB30_3 Depth=1
                                        ; implicit-def: $vgpr2_vgpr3
                                        ; implicit-def: $vgpr18_vgpr19_vgpr20_vgpr21_vgpr22_vgpr23_vgpr24_vgpr25_vgpr26_vgpr27_vgpr28_vgpr29_vgpr30_vgpr31_vgpr32_vgpr33
                                        ; implicit-def: $vgpr34_vgpr35_vgpr36_vgpr37_vgpr38_vgpr39_vgpr40_vgpr41_vgpr42_vgpr43_vgpr44_vgpr45_vgpr46_vgpr47_vgpr48_vgpr49
                                        ; implicit-def: $vgpr6
                                        ; implicit-def: $vgpr8_vgpr9
                                        ; implicit-def: $vgpr52_vgpr53
	s_cbranch_execz .LBB30_40
; %bb.26:                               ;   in Loop: Header=BB30_3 Depth=1
	s_load_dword s10, s[46:47], 0x0
	v_pk_mov_b32 v[94:95], 0, 0
	v_pk_mov_b32 v[52:53], v[94:95], v[94:95] op_sel:[0,1]
	s_waitcnt lgkmcnt(0)
	s_cmp_lt_u32 s6, s10
	s_cselect_b32 s10, 12, 18
	s_add_u32 s10, s46, s10
	s_addc_u32 s11, s47, 0
	global_load_ushort v2, v4, s[10:11]
	s_waitcnt vmcnt(0)
	v_mad_u32_u24 v2, v98, v2, v89
	v_and_b32_e32 v2, 63, v2
	v_cmp_gt_u32_e32 vcc, 8, v2
	s_and_saveexec_b64 s[10:11], vcc
	s_cbranch_execz .LBB30_30
; %bb.27:                               ;   in Loop: Header=BB30_3 Depth=1
	v_add_co_u32_e32 v2, vcc, v92, v2
	v_addc_co_u32_e32 v3, vcc, 0, v93, vcc
	v_pk_mov_b32 v[52:53], 0, 0
	v_cmp_gt_i64_e32 vcc, s[36:37], v[2:3]
	v_pk_mov_b32 v[94:95], v[52:53], v[52:53] op_sel:[0,1]
	s_and_saveexec_b64 s[14:15], vcc
	s_cbranch_execz .LBB30_29
; %bb.28:                               ;   in Loop: Header=BB30_3 Depth=1
	v_lshlrev_b64 v[2:3], 3, v[2:3]
	v_mov_b32_e32 v5, s31
	v_add_co_u32_e32 v6, vcc, s30, v2
	v_addc_co_u32_e32 v7, vcc, v5, v3, vcc
	v_mov_b32_e32 v5, s29
	v_add_co_u32_e32 v2, vcc, s28, v2
	v_addc_co_u32_e32 v3, vcc, v5, v3, vcc
	global_load_dwordx2 v[52:53], v[2:3], off
	global_load_dwordx2 v[94:95], v[6:7], off
.LBB30_29:                              ;   in Loop: Header=BB30_3 Depth=1
	s_or_b64 exec, exec, s[14:15]
.LBB30_30:                              ;   in Loop: Header=BB30_3 Depth=1
	s_or_b64 exec, exec, s[10:11]
	s_mov_b32 s26, s12
	s_mov_b32 s27, s12
	;; [unrolled: 1-line block ×15, first 2 shown]
	v_pk_mov_b32 v[32:33], s[26:27], s[26:27] op_sel:[0,1]
	v_pk_mov_b32 v[30:31], s[24:25], s[24:25] op_sel:[0,1]
	v_pk_mov_b32 v[28:29], s[22:23], s[22:23] op_sel:[0,1]
	v_pk_mov_b32 v[26:27], s[20:21], s[20:21] op_sel:[0,1]
	v_pk_mov_b32 v[24:25], s[18:19], s[18:19] op_sel:[0,1]
	v_pk_mov_b32 v[22:23], s[16:17], s[16:17] op_sel:[0,1]
	v_pk_mov_b32 v[20:21], s[14:15], s[14:15] op_sel:[0,1]
	v_pk_mov_b32 v[18:19], s[12:13], s[12:13] op_sel:[0,1]
	v_pk_mov_b32 v[48:49], v[32:33], v[32:33] op_sel:[0,1]
	v_pk_mov_b32 v[46:47], v[30:31], v[30:31] op_sel:[0,1]
	v_pk_mov_b32 v[44:45], v[28:29], v[28:29] op_sel:[0,1]
	v_pk_mov_b32 v[42:43], v[26:27], v[26:27] op_sel:[0,1]
	v_pk_mov_b32 v[40:41], v[24:25], v[24:25] op_sel:[0,1]
	v_pk_mov_b32 v[38:39], v[22:23], v[22:23] op_sel:[0,1]
	v_pk_mov_b32 v[36:37], v[20:21], v[20:21] op_sel:[0,1]
	v_pk_mov_b32 v[34:35], v[18:19], v[18:19] op_sel:[0,1]
	s_and_saveexec_b64 s[10:11], s[2:3]
	s_cbranch_execnz .LBB30_42
; %bb.31:                               ;   in Loop: Header=BB30_3 Depth=1
	s_or_b64 exec, exec, s[10:11]
	s_and_saveexec_b64 s[10:11], s[2:3]
	s_cbranch_execnz .LBB30_43
.LBB30_32:                              ;   in Loop: Header=BB30_3 Depth=1
	s_or_b64 exec, exec, s[10:11]
	s_and_saveexec_b64 s[10:11], s[2:3]
	s_cbranch_execnz .LBB30_44
.LBB30_33:                              ;   in Loop: Header=BB30_3 Depth=1
	s_or_b64 exec, exec, s[10:11]
	s_and_saveexec_b64 s[10:11], s[2:3]
	s_cbranch_execnz .LBB30_45
.LBB30_34:                              ;   in Loop: Header=BB30_3 Depth=1
	s_or_b64 exec, exec, s[10:11]
	s_and_saveexec_b64 s[10:11], s[2:3]
	s_cbranch_execnz .LBB30_46
.LBB30_35:                              ;   in Loop: Header=BB30_3 Depth=1
	s_or_b64 exec, exec, s[10:11]
	s_and_saveexec_b64 s[10:11], s[2:3]
	s_cbranch_execnz .LBB30_47
.LBB30_36:                              ;   in Loop: Header=BB30_3 Depth=1
	s_or_b64 exec, exec, s[10:11]
	s_and_saveexec_b64 s[10:11], s[2:3]
	s_cbranch_execnz .LBB30_48
.LBB30_37:                              ;   in Loop: Header=BB30_3 Depth=1
	s_or_b64 exec, exec, s[10:11]
	s_and_saveexec_b64 s[10:11], s[2:3]
	s_cbranch_execz .LBB30_39
.LBB30_38:                              ;   in Loop: Header=BB30_3 Depth=1
	v_add_co_u32_e32 v2, vcc, v58, v56
	v_addc_co_u32_e32 v3, vcc, v55, v57, vcc
	global_load_dwordx2 v[48:49], v[2:3], off
	v_add_co_u32_e32 v2, vcc, v60, v56
	v_addc_co_u32_e32 v3, vcc, v59, v57, vcc
	global_load_dwordx2 v[32:33], v[2:3], off
.LBB30_39:                              ;   in Loop: Header=BB30_3 Depth=1
	s_or_b64 exec, exec, s[10:11]
	s_waitcnt vmcnt(1)
	ds_bpermute_b32 v2, v99, v52
	ds_bpermute_b32 v3, v99, v53
	s_waitcnt vmcnt(0)
	ds_bpermute_b32 v6, v99, v94
	ds_bpermute_b32 v7, v99, v95
	ds_bpermute_b32 v8, v99, v52 offset:4
	ds_bpermute_b32 v9, v99, v53 offset:4
	s_waitcnt lgkmcnt(4)
	v_add_f64 v[2:3], v[18:19], -v[2:3]
	v_mul_f64 v[2:3], v[34:35], v[2:3]
	s_waitcnt lgkmcnt(2)
	v_fmac_f64_e32 v[90:91], v[2:3], v[6:7]
	ds_bpermute_b32 v6, v99, v94 offset:4
	ds_bpermute_b32 v7, v99, v95 offset:4
	;; [unrolled: 1-line block ×4, first 2 shown]
	s_waitcnt lgkmcnt(4)
	v_add_f64 v[8:9], v[20:21], -v[8:9]
	v_mul_f64 v[8:9], v[36:37], v[8:9]
	s_waitcnt lgkmcnt(2)
	v_fmac_f64_e32 v[90:91], v[8:9], v[6:7]
	ds_bpermute_b32 v6, v99, v94 offset:8
	ds_bpermute_b32 v7, v99, v95 offset:8
	s_waitcnt lgkmcnt(2)
	v_add_f64 v[8:9], v[22:23], -v[10:11]
	ds_bpermute_b32 v10, v99, v52 offset:12
	ds_bpermute_b32 v11, v99, v53 offset:12
	v_mul_f64 v[8:9], v[38:39], v[8:9]
	s_waitcnt lgkmcnt(2)
	v_fmac_f64_e32 v[90:91], v[8:9], v[6:7]
	ds_bpermute_b32 v6, v99, v94 offset:12
	ds_bpermute_b32 v7, v99, v95 offset:12
	s_waitcnt lgkmcnt(2)
	v_add_f64 v[8:9], v[24:25], -v[10:11]
	ds_bpermute_b32 v10, v99, v52 offset:16
	ds_bpermute_b32 v11, v99, v53 offset:16
	;; [unrolled: 9-line block ×4, first 2 shown]
	v_add_f64 v[2:3], v[50:51], v[34:35]
	ds_bpermute_b32 v12, v99, v94 offset:24
	ds_bpermute_b32 v13, v99, v95 offset:24
	v_add_f64 v[2:3], v[36:37], v[2:3]
	v_add_f64 v[2:3], v[38:39], v[2:3]
	;; [unrolled: 1-line block ×3, first 2 shown]
	v_mul_f64 v[8:9], v[44:45], v[8:9]
	s_waitcnt lgkmcnt(2)
	v_add_f64 v[10:11], v[30:31], -v[10:11]
	v_add_f64 v[2:3], v[42:43], v[2:3]
	v_fmac_f64_e32 v[90:91], v[8:9], v[6:7]
	v_mul_f64 v[10:11], v[46:47], v[10:11]
	v_add_f64 v[8:9], v[44:45], v[2:3]
	s_waitcnt lgkmcnt(0)
	v_fmac_f64_e32 v[90:91], v[10:11], v[12:13]
	ds_bpermute_b32 v2, v99, v94 offset:28
	ds_bpermute_b32 v3, v99, v95 offset:28
	ds_bpermute_b32 v6, v99, v52 offset:28
	ds_bpermute_b32 v7, v99, v53 offset:28
	v_add_f64 v[8:9], v[46:47], v[8:9]
	v_pk_mov_b32 v[52:53], v[90:91], v[90:91] op_sel:[0,1]
.LBB30_40:                              ;   in Loop: Header=BB30_3 Depth=1
	s_waitcnt lgkmcnt(0)
	v_add_f64 v[6:7], v[32:33], -v[6:7]
	v_mul_f64 v[6:7], v[48:49], v[6:7]
	v_fmac_f64_e32 v[52:53], v[6:7], v[2:3]
	v_mov_b32_e32 v2, s51
	v_add_co_u32_e32 v58, vcc, s50, v58
	v_addc_co_u32_e32 v55, vcc, v55, v2, vcc
	v_add_co_u32_e32 v60, vcc, s50, v60
	v_addc_co_u32_e32 v59, vcc, v59, v2, vcc
	;; [unrolled: 2-line block ×14, first 2 shown]
	v_mov_b32_e32 v3, s33
	v_add_co_u32_e32 v54, vcc, s9, v54
	v_addc_co_u32_e32 v1, vcc, v1, v3, vcc
	v_add_co_u32_e32 v86, vcc, s50, v86
	v_addc_co_u32_e32 v85, vcc, v85, v2, vcc
	s_add_u32 s52, s52, s9
	v_add_co_u32_e32 v88, vcc, s50, v88
	s_addc_u32 s53, s53, 0
	v_addc_co_u32_e32 v87, vcc, v87, v2, vcc
	v_pk_mov_b32 v[2:3], s[36:37], s[36:37] op_sel:[0,1]
	s_add_u32 s48, s48, s9
	v_cmp_lt_i64_e32 vcc, s[52:53], v[2:3]
	v_add_f64 v[50:51], v[8:9], v[48:49]
	s_addc_u32 s49, s49, 0
	s_cbranch_vccz .LBB30_50
; %bb.41:                               ;   in Loop: Header=BB30_3 Depth=1
	v_pk_mov_b32 v[90:91], v[52:53], v[52:53] op_sel:[0,1]
	s_branch .LBB30_3
.LBB30_42:                              ;   in Loop: Header=BB30_3 Depth=1
	v_add_co_u32_e32 v2, vcc, v86, v56
	v_addc_co_u32_e32 v3, vcc, v85, v57, vcc
	v_add_co_u32_e32 v6, vcc, v88, v56
	global_load_dwordx2 v[2:3], v[2:3], off
	v_addc_co_u32_e32 v7, vcc, v87, v57, vcc
	global_load_dwordx2 v[18:19], v[6:7], off
	v_mov_b32_e32 v16, v4
	v_mov_b32_e32 v17, v4
	;; [unrolled: 1-line block ×13, first 2 shown]
	s_waitcnt vmcnt(1)
	v_pk_mov_b32 v[48:49], v[16:17], v[16:17] op_sel:[0,1]
	v_mov_b32_e32 v20, v4
	v_mov_b32_e32 v21, v4
	;; [unrolled: 1-line block ×14, first 2 shown]
	v_pk_mov_b32 v[46:47], v[14:15], v[14:15] op_sel:[0,1]
	v_pk_mov_b32 v[44:45], v[12:13], v[12:13] op_sel:[0,1]
	;; [unrolled: 1-line block ×7, first 2 shown]
	s_or_b64 exec, exec, s[10:11]
	s_and_saveexec_b64 s[10:11], s[2:3]
	s_cbranch_execz .LBB30_32
.LBB30_43:                              ;   in Loop: Header=BB30_3 Depth=1
	v_add_co_u32_e32 v2, vcc, v82, v56
	v_addc_co_u32_e32 v3, vcc, v81, v57, vcc
	global_load_dwordx2 v[36:37], v[2:3], off
	v_add_co_u32_e32 v2, vcc, v84, v56
	v_addc_co_u32_e32 v3, vcc, v83, v57, vcc
	global_load_dwordx2 v[20:21], v[2:3], off
	s_or_b64 exec, exec, s[10:11]
	s_and_saveexec_b64 s[10:11], s[2:3]
	s_cbranch_execz .LBB30_33
.LBB30_44:                              ;   in Loop: Header=BB30_3 Depth=1
	v_add_co_u32_e32 v2, vcc, v78, v56
	v_addc_co_u32_e32 v3, vcc, v77, v57, vcc
	global_load_dwordx2 v[38:39], v[2:3], off
	v_add_co_u32_e32 v2, vcc, v80, v56
	v_addc_co_u32_e32 v3, vcc, v79, v57, vcc
	global_load_dwordx2 v[22:23], v[2:3], off
	s_or_b64 exec, exec, s[10:11]
	s_and_saveexec_b64 s[10:11], s[2:3]
	s_cbranch_execz .LBB30_34
.LBB30_45:                              ;   in Loop: Header=BB30_3 Depth=1
	v_add_co_u32_e32 v2, vcc, v74, v56
	v_addc_co_u32_e32 v3, vcc, v73, v57, vcc
	global_load_dwordx2 v[40:41], v[2:3], off
	v_add_co_u32_e32 v2, vcc, v76, v56
	v_addc_co_u32_e32 v3, vcc, v75, v57, vcc
	global_load_dwordx2 v[24:25], v[2:3], off
	s_or_b64 exec, exec, s[10:11]
	s_and_saveexec_b64 s[10:11], s[2:3]
	s_cbranch_execz .LBB30_35
.LBB30_46:                              ;   in Loop: Header=BB30_3 Depth=1
	v_add_co_u32_e32 v2, vcc, v70, v56
	v_addc_co_u32_e32 v3, vcc, v69, v57, vcc
	global_load_dwordx2 v[42:43], v[2:3], off
	v_add_co_u32_e32 v2, vcc, v72, v56
	v_addc_co_u32_e32 v3, vcc, v71, v57, vcc
	global_load_dwordx2 v[26:27], v[2:3], off
	s_or_b64 exec, exec, s[10:11]
	s_and_saveexec_b64 s[10:11], s[2:3]
	s_cbranch_execz .LBB30_36
.LBB30_47:                              ;   in Loop: Header=BB30_3 Depth=1
	v_add_co_u32_e32 v2, vcc, v66, v56
	v_addc_co_u32_e32 v3, vcc, v65, v57, vcc
	global_load_dwordx2 v[44:45], v[2:3], off
	v_add_co_u32_e32 v2, vcc, v68, v56
	v_addc_co_u32_e32 v3, vcc, v67, v57, vcc
	global_load_dwordx2 v[28:29], v[2:3], off
	s_or_b64 exec, exec, s[10:11]
	s_and_saveexec_b64 s[10:11], s[2:3]
	s_cbranch_execz .LBB30_37
.LBB30_48:                              ;   in Loop: Header=BB30_3 Depth=1
	v_add_co_u32_e32 v2, vcc, v62, v56
	v_addc_co_u32_e32 v3, vcc, v61, v57, vcc
	global_load_dwordx2 v[46:47], v[2:3], off
	v_add_co_u32_e32 v2, vcc, v64, v56
	v_addc_co_u32_e32 v3, vcc, v63, v57, vcc
	global_load_dwordx2 v[30:31], v[2:3], off
	s_or_b64 exec, exec, s[10:11]
	s_and_saveexec_b64 s[10:11], s[2:3]
	s_cbranch_execnz .LBB30_38
	s_branch .LBB30_39
.LBB30_49:
	s_mov_b64 s[44:45], -1
                                        ; implicit-def: $vgpr50_vgpr51
                                        ; implicit-def: $vgpr52_vgpr53
.LBB30_50:
	s_andn2_b64 vcc, exec, s[44:45]
	s_cbranch_vccnz .LBB30_82
; %bb.51:
	v_pk_mov_b32 v[50:51], 0, 0
	s_and_b64 vcc, exec, s[0:1]
	v_pk_mov_b32 v[52:53], v[50:51], v[50:51] op_sel:[0,1]
	s_cbranch_vccnz .LBB30_82
; %bb.52:
	v_bfe_u32 v103, v0, 10, 10
	s_add_u32 s2, s4, 64
	s_addc_u32 s3, s5, 0
	v_lshlrev_b32_e32 v1, 6, v103
	s_lshl_b64 s[0:1], s[34:35], 3
	v_mov_b32_e32 v2, s1
	v_add_co_u32_e32 v1, vcc, s0, v1
	v_addc_co_u32_e32 v4, vcc, 0, v2, vcc
	v_add_co_u32_e32 v6, vcc, 8, v1
	v_addc_co_u32_e32 v5, vcc, 0, v4, vcc
	v_add_co_u32_e32 v9, vcc, 16, v1
	v_mul_lo_u32 v7, s38, v5
	v_addc_co_u32_e32 v5, vcc, 0, v4, vcc
	v_add_co_u32_e32 v12, vcc, 24, v1
	v_mul_lo_u32 v10, s38, v5
	;; [unrolled: 3-line block ×5, first 2 shown]
	v_addc_co_u32_e32 v5, vcc, 0, v4, vcc
	v_add_co_u32_e32 v24, vcc, 56, v1
	v_lshlrev_b32_e32 v38, 3, v103
	v_addc_co_u32_e32 v1, vcc, 0, v4, vcc
	v_mul_lo_u32 v25, s38, v1
	v_mov_b32_e32 v1, s35
	v_add_co_u32_e32 v27, vcc, s34, v38
	v_pk_mov_b32 v[2:3], s[40:41], s[40:41] op_sel:[0,1]
	v_addc_co_u32_e32 v28, vcc, 0, v1, vcc
	v_mad_u64_u32 v[40:41], s[0:1], s38, v6, v[2:3]
	v_mad_u64_u32 v[42:43], s[0:1], s38, v9, v[2:3]
	;; [unrolled: 1-line block ×7, first 2 shown]
	v_mul_lo_u32 v29, s39, v27
	v_mul_lo_u32 v30, s38, v28
	v_mad_u64_u32 v[2:3], s[0:1], s38, v27, 0
	v_add3_u32 v3, v3, v30, v29
	v_lshlrev_b64 v[2:3], 3, v[2:3]
	v_mul_lo_u32 v22, s38, v5
	v_mov_b32_e32 v31, s41
	v_add_co_u32_e32 v58, vcc, s40, v2
	v_pk_mov_b32 v[4:5], s[42:43], s[42:43] op_sel:[0,1]
	v_mul_lo_u32 v17, s39, v15
	v_addc_co_u32_e32 v1, vcc, v31, v3, vcc
	v_mad_u64_u32 v[66:67], s[0:1], s38, v15, v[4:5]
	v_add3_u32 v47, v17, v47, v16
	v_add3_u32 v67, v17, v67, v16
	v_mov_b32_e32 v16, s43
	v_add_co_u32_e32 v74, vcc, s42, v2
	v_addc_co_u32_e32 v39, vcc, v16, v3, vcc
	v_add_co_u32_e32 v2, vcc, 7, v27
	v_addc_co_u32_e32 v3, vcc, 0, v28, vcc
	v_mad_u64_u32 v[60:61], s[0:1], s38, v6, v[4:5]
	v_mad_u64_u32 v[62:63], s[0:1], s38, v9, v[4:5]
	;; [unrolled: 1-line block ×6, first 2 shown]
	v_mul_lo_u32 v4, s39, v2
	v_mul_lo_u32 v5, s38, v3
	v_mad_u64_u32 v[2:3], s[0:1], s38, v2, 0
	v_add3_u32 v3, v3, v5, v4
	v_add_co_u32_e32 v4, vcc, 6, v27
	v_mul_lo_u32 v8, s39, v6
	v_addc_co_u32_e32 v5, vcc, 0, v28, vcc
	v_add3_u32 v41, v8, v41, v7
	v_add3_u32 v61, v8, v61, v7
	v_mul_lo_u32 v6, s39, v4
	v_mul_lo_u32 v7, s38, v5
	v_mad_u64_u32 v[4:5], s[0:1], s38, v4, 0
	v_add3_u32 v5, v5, v7, v6
	v_add_co_u32_e32 v6, vcc, 5, v27
	v_addc_co_u32_e32 v7, vcc, 0, v28, vcc
	v_mul_lo_u32 v11, s39, v9
	v_mul_lo_u32 v8, s39, v6
	;; [unrolled: 1-line block ×3, first 2 shown]
	v_mad_u64_u32 v[6:7], s[0:1], s38, v6, 0
	v_add3_u32 v7, v7, v9, v8
	v_add_co_u32_e32 v8, vcc, 4, v27
	v_addc_co_u32_e32 v9, vcc, 0, v28, vcc
	v_add3_u32 v43, v11, v43, v10
	v_add3_u32 v63, v11, v63, v10
	v_mul_lo_u32 v10, s39, v8
	v_mul_lo_u32 v11, s38, v9
	v_mad_u64_u32 v[8:9], s[0:1], s38, v8, 0
	v_add3_u32 v9, v9, v11, v10
	v_add_co_u32_e32 v10, vcc, 3, v27
	v_mul_lo_u32 v14, s39, v12
	v_addc_co_u32_e32 v11, vcc, 0, v28, vcc
	v_add3_u32 v45, v14, v45, v13
	v_add3_u32 v65, v14, v65, v13
	v_mul_lo_u32 v12, s39, v10
	v_mul_lo_u32 v13, s38, v11
	v_mad_u64_u32 v[10:11], s[0:1], s38, v10, 0
	v_add3_u32 v11, v11, v13, v12
	v_add_co_u32_e32 v12, vcc, 2, v27
	v_lshlrev_b64 v[2:3], 3, v[2:3]
	v_addc_co_u32_e32 v13, vcc, 0, v28, vcc
	v_add_co_u32_e32 v76, vcc, s40, v2
	v_addc_co_u32_e32 v59, vcc, v31, v3, vcc
	v_add_co_u32_e32 v78, vcc, s42, v2
	v_addc_co_u32_e32 v75, vcc, v16, v3, vcc
	v_lshlrev_b64 v[2:3], 3, v[4:5]
	v_add_co_u32_e32 v80, vcc, s40, v2
	v_addc_co_u32_e32 v77, vcc, v31, v3, vcc
	v_add_co_u32_e32 v82, vcc, s42, v2
	v_addc_co_u32_e32 v79, vcc, v16, v3, vcc
	v_lshlrev_b64 v[2:3], 3, v[6:7]
	;; [unrolled: 5-line block ×4, first 2 shown]
	v_add_co_u32_e32 v92, vcc, s40, v2
	v_mul_lo_u32 v14, s39, v12
	v_mul_lo_u32 v15, s38, v13
	v_mad_u64_u32 v[12:13], s[0:1], s38, v12, 0
	v_addc_co_u32_e32 v89, vcc, v31, v3, vcc
	v_add3_u32 v13, v13, v15, v14
	v_add_co_u32_e32 v94, vcc, s42, v2
	v_addc_co_u32_e32 v91, vcc, v16, v3, vcc
	v_lshlrev_b64 v[2:3], 3, v[12:13]
	v_pk_mov_b32 v[14:15], s[38:39], s[38:39] op_sel:[0,1]
	v_add_co_u32_e32 v96, vcc, s40, v2
	v_mad_u64_u32 v[14:15], s[0:1], s38, v27, v[14:15]
	v_addc_co_u32_e32 v93, vcc, v31, v3, vcc
	v_add3_u32 v15, v29, v15, v30
	v_add_co_u32_e32 v98, vcc, s42, v2
	v_addc_co_u32_e32 v95, vcc, v16, v3, vcc
	v_lshlrev_b64 v[2:3], 3, v[14:15]
	s_load_dword s0, s[4:5], 0x44
	v_add_co_u32_e32 v100, vcc, s40, v2
	v_addc_co_u32_e32 v97, vcc, v31, v3, vcc
	v_add_co_u32_e32 v102, vcc, s42, v2
	v_and_b32_e32 v112, 0x3ff, v0
	v_mov_b32_e32 v4, 0
	v_addc_co_u32_e32 v99, vcc, v16, v3, vcc
	v_add_u32_e32 v2, s7, v112
	v_mov_b32_e32 v3, v4
	s_waitcnt lgkmcnt(0)
	s_lshl_b32 s7, s0, 3
	v_lshlrev_b64 v[104:105], 3, v[2:3]
	v_mbcnt_lo_u32_b32 v2, -1, 0
	s_mul_i32 s0, s39, s7
	s_mul_hi_u32 s1, s38, s7
	v_mbcnt_hi_u32_b32 v2, -1, v2
	v_mul_lo_u32 v20, s39, v18
	v_mul_lo_u32 v23, s39, v21
	;; [unrolled: 1-line block ×3, first 2 shown]
	s_mov_b32 s12, 0
	s_add_i32 s1, s1, s0
	s_mul_i32 s0, s38, s7
	v_lshlrev_b32_e32 v2, 2, v2
	v_pk_mov_b32 v[52:53], 0, 0
	v_add3_u32 v49, v20, v49, v19
	v_add3_u32 v55, v23, v55, v22
	;; [unrolled: 1-line block ×6, first 2 shown]
	s_mov_b32 s9, s12
	s_lshl_b64 s[10:11], s[0:1], 3
	s_mov_b64 s[40:41], 7
	v_and_b32_e32 v113, 0x100, v2
	s_mov_b64 s[42:43], s[34:35]
	v_mov_b32_e32 v101, v4
	v_pk_mov_b32 v[50:51], v[52:53], v[52:53] op_sel:[0,1]
	s_branch .LBB30_56
.LBB30_53:                              ;   in Loop: Header=BB30_56 Depth=1
	s_or_b64 exec, exec, s[14:15]
.LBB30_54:                              ;   in Loop: Header=BB30_56 Depth=1
	s_or_b64 exec, exec, s[0:1]
	v_add_co_u32_e32 v8, vcc, v58, v104
	v_addc_co_u32_e32 v9, vcc, v1, v105, vcc
	v_add_co_u32_e32 v10, vcc, v74, v104
	v_addc_co_u32_e32 v11, vcc, v39, v105, vcc
	global_load_dwordx2 v[10:11], v[10:11], off
	v_add_co_u32_e32 v12, vcc, v40, v104
	v_addc_co_u32_e32 v13, vcc, v41, v105, vcc
	global_load_dwordx2 v[8:9], v[8:9], off
	v_add_co_u32_e32 v14, vcc, v60, v104
	v_addc_co_u32_e32 v15, vcc, v61, v105, vcc
	global_load_dwordx2 v[16:17], v[14:15], off
	global_load_dwordx2 v[18:19], v[12:13], off
	v_add_co_u32_e32 v12, vcc, v42, v104
	v_addc_co_u32_e32 v13, vcc, v43, v105, vcc
	v_add_co_u32_e32 v14, vcc, v62, v104
	v_addc_co_u32_e32 v15, vcc, v63, v105, vcc
	global_load_dwordx2 v[22:23], v[14:15], off
	global_load_dwordx2 v[24:25], v[12:13], off
	v_add_co_u32_e32 v12, vcc, v44, v104
	v_addc_co_u32_e32 v13, vcc, v45, v105, vcc
	v_add_co_u32_e32 v14, vcc, v64, v104
	v_addc_co_u32_e32 v15, vcc, v65, v105, vcc
	global_load_dwordx2 v[14:15], v[14:15], off
	v_add_co_u32_e32 v20, vcc, v46, v104
	v_addc_co_u32_e32 v21, vcc, v47, v105, vcc
	global_load_dwordx2 v[26:27], v[20:21], off
	v_add_co_u32_e32 v20, vcc, v66, v104
	global_load_dwordx2 v[12:13], v[12:13], off
	v_addc_co_u32_e32 v21, vcc, v67, v105, vcc
	global_load_dwordx2 v[28:29], v[20:21], off
	v_add_co_u32_e32 v20, vcc, v48, v104
	v_addc_co_u32_e32 v21, vcc, v49, v105, vcc
	global_load_dwordx2 v[30:31], v[20:21], off
	v_add_co_u32_e32 v20, vcc, v68, v104
	;; [unrolled: 3-line block ×5, first 2 shown]
	v_addc_co_u32_e32 v107, vcc, v57, v105, vcc
	v_add_co_u32_e32 v108, vcc, v72, v104
	v_addc_co_u32_e32 v109, vcc, v73, v105, vcc
	global_load_dwordx2 v[110:111], v[108:109], off
	global_load_dwordx2 v[20:21], v[106:107], off
	s_waitcnt vmcnt(17)
	ds_bpermute_b32 v106, v113, v6
	ds_bpermute_b32 v107, v113, v7
	s_waitcnt vmcnt(16)
	ds_bpermute_b32 v108, v113, v2
	ds_bpermute_b32 v109, v113, v3
	ds_bpermute_b32 v114, v113, v2 offset:4
	ds_bpermute_b32 v115, v113, v3 offset:4
	s_waitcnt vmcnt(15) lgkmcnt(4)
	v_add_f64 v[10:11], v[10:11], -v[106:107]
	ds_bpermute_b32 v106, v113, v6 offset:4
	ds_bpermute_b32 v107, v113, v7 offset:4
	s_waitcnt vmcnt(14)
	v_mul_f64 v[10:11], v[8:9], v[10:11]
	s_waitcnt lgkmcnt(4)
	v_fmac_f64_e32 v[52:53], v[10:11], v[108:109]
	v_add_f64 v[8:9], v[50:51], v[8:9]
	s_waitcnt vmcnt(13) lgkmcnt(0)
	v_add_f64 v[10:11], v[16:17], -v[106:107]
	ds_bpermute_b32 v16, v113, v6 offset:8
	ds_bpermute_b32 v17, v113, v7 offset:8
	;; [unrolled: 1-line block ×4, first 2 shown]
	s_waitcnt vmcnt(12)
	v_mul_f64 v[10:11], v[18:19], v[10:11]
	v_fmac_f64_e32 v[52:53], v[10:11], v[114:115]
	v_add_f64 v[8:9], v[8:9], v[18:19]
	s_waitcnt vmcnt(11) lgkmcnt(2)
	v_add_f64 v[10:11], v[22:23], -v[16:17]
	s_waitcnt vmcnt(10)
	v_mul_f64 v[10:11], v[24:25], v[10:11]
	s_waitcnt lgkmcnt(0)
	v_fmac_f64_e32 v[52:53], v[10:11], v[106:107]
	ds_bpermute_b32 v10, v113, v6 offset:12
	ds_bpermute_b32 v11, v113, v7 offset:12
	;; [unrolled: 1-line block ×4, first 2 shown]
	v_add_f64 v[8:9], v[8:9], v[24:25]
	s_waitcnt vmcnt(9) lgkmcnt(2)
	v_add_f64 v[10:11], v[14:15], -v[10:11]
	ds_bpermute_b32 v14, v113, v6 offset:16
	ds_bpermute_b32 v15, v113, v7 offset:16
	s_waitcnt vmcnt(7)
	v_mul_f64 v[10:11], v[12:13], v[10:11]
	s_waitcnt lgkmcnt(2)
	v_fmac_f64_e32 v[52:53], v[10:11], v[16:17]
	v_add_f64 v[8:9], v[8:9], v[12:13]
	ds_bpermute_b32 v10, v113, v2 offset:16
	ds_bpermute_b32 v11, v113, v3 offset:16
	s_waitcnt vmcnt(6) lgkmcnt(2)
	v_add_f64 v[12:13], v[28:29], -v[14:15]
	ds_bpermute_b32 v14, v113, v6 offset:20
	ds_bpermute_b32 v15, v113, v7 offset:20
	v_mul_f64 v[12:13], v[26:27], v[12:13]
	s_waitcnt lgkmcnt(2)
	v_fmac_f64_e32 v[52:53], v[12:13], v[10:11]
	ds_bpermute_b32 v10, v113, v2 offset:20
	ds_bpermute_b32 v11, v113, v3 offset:20
	v_add_f64 v[8:9], v[8:9], v[26:27]
	s_waitcnt vmcnt(4) lgkmcnt(2)
	v_add_f64 v[12:13], v[32:33], -v[14:15]
	ds_bpermute_b32 v14, v113, v6 offset:24
	ds_bpermute_b32 v15, v113, v7 offset:24
	v_mul_f64 v[12:13], v[30:31], v[12:13]
	s_waitcnt lgkmcnt(2)
	v_fmac_f64_e32 v[52:53], v[12:13], v[10:11]
	ds_bpermute_b32 v10, v113, v2 offset:24
	ds_bpermute_b32 v11, v113, v3 offset:24
	;; [unrolled: 1-line block ×4, first 2 shown]
	v_add_f64 v[8:9], v[8:9], v[30:31]
	s_waitcnt vmcnt(2) lgkmcnt(4)
	v_add_f64 v[12:13], v[36:37], -v[14:15]
	ds_bpermute_b32 v14, v113, v6 offset:28
	ds_bpermute_b32 v15, v113, v7 offset:28
	v_mul_f64 v[12:13], v[34:35], v[12:13]
	v_add_f64 v[6:7], v[8:9], v[34:35]
	s_waitcnt lgkmcnt(4)
	v_fmac_f64_e32 v[52:53], v[12:13], v[10:11]
	s_waitcnt vmcnt(1) lgkmcnt(0)
	v_add_f64 v[8:9], v[110:111], -v[14:15]
	s_waitcnt vmcnt(0)
	v_mul_f64 v[8:9], v[20:21], v[8:9]
	v_mul_f64 v[8:9], v[8:9], v[2:3]
	v_pk_mov_b32 v[2:3], v[52:53], v[52:53] op_sel:[0,1]
.LBB30_55:                              ;   in Loop: Header=BB30_56 Depth=1
	v_add_f64 v[52:53], v[2:3], v[8:9]
	v_mov_b32_e32 v2, s9
	v_add_co_u32_e32 v38, vcc, s7, v38
	v_addc_co_u32_e32 v101, vcc, v101, v2, vcc
	v_mov_b32_e32 v2, s11
	v_add_co_u32_e32 v40, vcc, s10, v40
	v_addc_co_u32_e32 v41, vcc, v41, v2, vcc
	v_add_co_u32_e32 v42, vcc, s10, v42
	v_addc_co_u32_e32 v43, vcc, v43, v2, vcc
	;; [unrolled: 2-line block ×29, first 2 shown]
	s_add_u32 s42, s42, s7
	v_add_co_u32_e32 v102, vcc, s10, v102
	s_addc_u32 s43, s43, 0
	v_addc_co_u32_e32 v99, vcc, v99, v2, vcc
	v_pk_mov_b32 v[2:3], s[36:37], s[36:37] op_sel:[0,1]
	s_add_u32 s40, s40, s7
	v_cmp_ge_i64_e32 vcc, s[42:43], v[2:3]
	v_add_f64 v[50:51], v[6:7], v[20:21]
	s_addc_u32 s41, s41, 0
	s_cbranch_vccnz .LBB30_82
.LBB30_56:                              ; =>This Inner Loop Header: Depth=1
	s_add_u32 s0, s34, s40
	s_addc_u32 s1, 0, s41
	v_pk_mov_b32 v[2:3], s[36:37], s[36:37] op_sel:[0,1]
	v_cmp_ge_i64_e32 vcc, s[0:1], v[2:3]
	v_mov_b32_e32 v2, s35
	v_add_co_u32_e64 v106, s[0:1], s34, v38
	v_addc_co_u32_e64 v107, s[0:1], v2, v101, s[0:1]
	s_cbranch_vccz .LBB30_78
; %bb.57:                               ;   in Loop: Header=BB30_56 Depth=1
	s_load_dword s0, s[2:3], 0xc
	v_pk_mov_b32 v[108:109], 0, 0
	v_pk_mov_b32 v[110:111], v[108:109], v[108:109] op_sel:[0,1]
	s_waitcnt lgkmcnt(0)
	s_and_b32 s0, s0, 0xffff
	v_mad_u32_u24 v2, v103, s0, v112
	v_and_b32_e32 v2, 63, v2
	v_cmp_gt_u32_e32 vcc, 8, v2
	s_and_saveexec_b64 s[0:1], vcc
	s_cbranch_execz .LBB30_61
; %bb.58:                               ;   in Loop: Header=BB30_56 Depth=1
	v_add_co_u32_e32 v2, vcc, v106, v2
	v_addc_co_u32_e32 v3, vcc, 0, v107, vcc
	v_pk_mov_b32 v[110:111], 0, 0
	v_cmp_gt_i64_e32 vcc, s[36:37], v[2:3]
	v_pk_mov_b32 v[108:109], v[110:111], v[110:111] op_sel:[0,1]
	s_and_saveexec_b64 s[14:15], vcc
	s_cbranch_execz .LBB30_60
; %bb.59:                               ;   in Loop: Header=BB30_56 Depth=1
	v_lshlrev_b64 v[2:3], 3, v[2:3]
	v_mov_b32_e32 v5, s31
	v_add_co_u32_e32 v6, vcc, s30, v2
	v_addc_co_u32_e32 v7, vcc, v5, v3, vcc
	v_mov_b32_e32 v5, s29
	v_add_co_u32_e32 v2, vcc, s28, v2
	v_addc_co_u32_e32 v3, vcc, v5, v3, vcc
	global_load_dwordx2 v[110:111], v[2:3], off
	global_load_dwordx2 v[108:109], v[6:7], off
.LBB30_60:                              ;   in Loop: Header=BB30_56 Depth=1
	s_or_b64 exec, exec, s[14:15]
.LBB30_61:                              ;   in Loop: Header=BB30_56 Depth=1
	s_or_b64 exec, exec, s[0:1]
	s_mov_b32 s26, s12
	s_mov_b32 s27, s12
	s_mov_b32 s13, s12
	s_mov_b32 s14, s12
	s_mov_b32 s15, s12
	s_mov_b32 s16, s12
	s_mov_b32 s17, s12
	s_mov_b32 s18, s12
	s_mov_b32 s19, s12
	s_mov_b32 s20, s12
	s_mov_b32 s21, s12
	s_mov_b32 s22, s12
	s_mov_b32 s23, s12
	s_mov_b32 s24, s12
	s_mov_b32 s25, s12
	v_pk_mov_b32 v[36:37], s[26:27], s[26:27] op_sel:[0,1]
	v_pk_mov_b32 v[22:23], s[12:13], s[12:13] op_sel:[0,1]
	;; [unrolled: 1-line block ×9, first 2 shown]
	v_cmp_gt_i64_e32 vcc, s[36:37], v[106:107]
	v_pk_mov_b32 v[8:9], v[24:25], v[24:25] op_sel:[0,1]
	v_pk_mov_b32 v[10:11], v[26:27], v[26:27] op_sel:[0,1]
	;; [unrolled: 1-line block ×7, first 2 shown]
	s_and_saveexec_b64 s[0:1], vcc
	s_cbranch_execz .LBB30_63
; %bb.62:                               ;   in Loop: Header=BB30_56 Depth=1
	v_add_co_u32_e32 v2, vcc, v58, v104
	v_addc_co_u32_e32 v3, vcc, v1, v105, vcc
	v_add_co_u32_e32 v6, vcc, v74, v104
	global_load_dwordx2 v[2:3], v[2:3], off
	v_addc_co_u32_e32 v7, vcc, v39, v105, vcc
	global_load_dwordx2 v[22:23], v[6:7], off
	v_mov_b32_e32 v6, v4
	v_mov_b32_e32 v7, v4
	;; [unrolled: 1-line block ×13, first 2 shown]
	s_waitcnt vmcnt(1)
	v_pk_mov_b32 v[20:21], v[16:17], v[16:17] op_sel:[0,1]
	v_mov_b32_e32 v24, v4
	v_mov_b32_e32 v25, v4
	v_mov_b32_e32 v26, v4
	v_mov_b32_e32 v27, v4
	v_mov_b32_e32 v28, v4
	v_mov_b32_e32 v29, v4
	v_mov_b32_e32 v30, v4
	v_mov_b32_e32 v31, v4
	v_mov_b32_e32 v32, v4
	v_mov_b32_e32 v33, v4
	v_mov_b32_e32 v34, v4
	v_mov_b32_e32 v35, v4
	v_mov_b32_e32 v36, v4
	v_mov_b32_e32 v37, v4
	v_pk_mov_b32 v[18:19], v[14:15], v[14:15] op_sel:[0,1]
	v_pk_mov_b32 v[16:17], v[12:13], v[12:13] op_sel:[0,1]
	;; [unrolled: 1-line block ×7, first 2 shown]
.LBB30_63:                              ;   in Loop: Header=BB30_56 Depth=1
	s_or_b64 exec, exec, s[0:1]
	v_add_co_u32_e32 v2, vcc, 1, v106
	v_addc_co_u32_e32 v3, vcc, 0, v107, vcc
	v_cmp_gt_i64_e32 vcc, s[36:37], v[2:3]
	s_and_saveexec_b64 s[0:1], vcc
	s_cbranch_execz .LBB30_65
; %bb.64:                               ;   in Loop: Header=BB30_56 Depth=1
	v_add_co_u32_e32 v2, vcc, v100, v104
	v_addc_co_u32_e32 v3, vcc, v97, v105, vcc
	global_load_dwordx2 v[8:9], v[2:3], off
	v_add_co_u32_e32 v2, vcc, v102, v104
	v_addc_co_u32_e32 v3, vcc, v99, v105, vcc
	global_load_dwordx2 v[24:25], v[2:3], off
.LBB30_65:                              ;   in Loop: Header=BB30_56 Depth=1
	s_or_b64 exec, exec, s[0:1]
	v_add_co_u32_e32 v2, vcc, 2, v106
	v_addc_co_u32_e32 v3, vcc, 0, v107, vcc
	v_cmp_gt_i64_e32 vcc, s[36:37], v[2:3]
	s_and_saveexec_b64 s[0:1], vcc
	s_cbranch_execz .LBB30_67
; %bb.66:                               ;   in Loop: Header=BB30_56 Depth=1
	v_add_co_u32_e32 v2, vcc, v96, v104
	v_addc_co_u32_e32 v3, vcc, v93, v105, vcc
	global_load_dwordx2 v[10:11], v[2:3], off
	v_add_co_u32_e32 v2, vcc, v98, v104
	v_addc_co_u32_e32 v3, vcc, v95, v105, vcc
	global_load_dwordx2 v[26:27], v[2:3], off
.LBB30_67:                              ;   in Loop: Header=BB30_56 Depth=1
	;; [unrolled: 14-line block ×7, first 2 shown]
	s_or_b64 exec, exec, s[0:1]
	s_waitcnt vmcnt(1)
	ds_bpermute_b32 v2, v113, v110
	ds_bpermute_b32 v3, v113, v111
	s_waitcnt vmcnt(0)
	ds_bpermute_b32 v114, v113, v108
	ds_bpermute_b32 v115, v113, v109
	ds_bpermute_b32 v116, v113, v110 offset:4
	ds_bpermute_b32 v117, v113, v111 offset:4
	s_waitcnt lgkmcnt(4)
	v_add_f64 v[2:3], v[22:23], -v[2:3]
	v_mul_f64 v[2:3], v[6:7], v[2:3]
	s_waitcnt lgkmcnt(2)
	v_fma_f64 v[2:3], v[2:3], v[114:115], v[52:53]
	ds_bpermute_b32 v22, v113, v108 offset:4
	ds_bpermute_b32 v23, v113, v109 offset:4
	;; [unrolled: 1-line block ×4, first 2 shown]
	v_add_f64 v[6:7], v[50:51], v[6:7]
	s_waitcnt lgkmcnt(4)
	v_add_f64 v[24:25], v[24:25], -v[116:117]
	v_mul_f64 v[24:25], v[8:9], v[24:25]
	v_add_f64 v[6:7], v[8:9], v[6:7]
	ds_bpermute_b32 v8, v113, v108 offset:8
	ds_bpermute_b32 v9, v113, v109 offset:8
	s_waitcnt lgkmcnt(4)
	v_fmac_f64_e32 v[2:3], v[24:25], v[22:23]
	s_waitcnt lgkmcnt(2)
	v_add_f64 v[22:23], v[26:27], -v[114:115]
	ds_bpermute_b32 v24, v113, v110 offset:12
	ds_bpermute_b32 v25, v113, v111 offset:12
	v_mul_f64 v[22:23], v[10:11], v[22:23]
	s_waitcnt lgkmcnt(2)
	v_fmac_f64_e32 v[2:3], v[22:23], v[8:9]
	ds_bpermute_b32 v8, v113, v108 offset:12
	ds_bpermute_b32 v9, v113, v109 offset:12
	v_add_f64 v[6:7], v[10:11], v[6:7]
	s_waitcnt lgkmcnt(2)
	v_add_f64 v[10:11], v[28:29], -v[24:25]
	ds_bpermute_b32 v22, v113, v110 offset:16
	ds_bpermute_b32 v23, v113, v111 offset:16
	v_mul_f64 v[10:11], v[12:13], v[10:11]
	s_waitcnt lgkmcnt(2)
	v_fmac_f64_e32 v[2:3], v[10:11], v[8:9]
	v_add_f64 v[6:7], v[12:13], v[6:7]
	ds_bpermute_b32 v8, v113, v108 offset:16
	ds_bpermute_b32 v9, v113, v109 offset:16
	;; [unrolled: 1-line block ×4, first 2 shown]
	s_waitcnt lgkmcnt(4)
	v_add_f64 v[10:11], v[30:31], -v[22:23]
	v_mul_f64 v[10:11], v[14:15], v[10:11]
	s_waitcnt lgkmcnt(2)
	v_fmac_f64_e32 v[2:3], v[10:11], v[8:9]
	ds_bpermute_b32 v8, v113, v108 offset:20
	ds_bpermute_b32 v9, v113, v109 offset:20
	s_waitcnt lgkmcnt(2)
	v_add_f64 v[10:11], v[32:33], -v[12:13]
	ds_bpermute_b32 v12, v113, v110 offset:24
	ds_bpermute_b32 v13, v113, v111 offset:24
	v_mul_f64 v[10:11], v[16:17], v[10:11]
	s_waitcnt lgkmcnt(2)
	v_fmac_f64_e32 v[2:3], v[10:11], v[8:9]
	ds_bpermute_b32 v8, v113, v108 offset:24
	ds_bpermute_b32 v9, v113, v109 offset:24
	s_waitcnt lgkmcnt(2)
	v_add_f64 v[10:11], v[34:35], -v[12:13]
	ds_bpermute_b32 v12, v113, v110 offset:28
	ds_bpermute_b32 v13, v113, v111 offset:28
	v_add_f64 v[6:7], v[14:15], v[6:7]
	ds_bpermute_b32 v14, v113, v108 offset:28
	ds_bpermute_b32 v15, v113, v109 offset:28
	v_mul_f64 v[10:11], v[18:19], v[10:11]
	s_waitcnt lgkmcnt(4)
	v_fmac_f64_e32 v[2:3], v[10:11], v[8:9]
	s_waitcnt lgkmcnt(2)
	v_add_f64 v[8:9], v[36:37], -v[12:13]
	v_add_f64 v[6:7], v[16:17], v[6:7]
	v_mul_f64 v[8:9], v[20:21], v[8:9]
	v_add_f64 v[6:7], v[18:19], v[6:7]
	s_waitcnt lgkmcnt(0)
	v_mul_f64 v[8:9], v[8:9], v[14:15]
	s_branch .LBB30_55
.LBB30_78:                              ;   in Loop: Header=BB30_56 Depth=1
                                        ; implicit-def: $vgpr20_vgpr21
                                        ; implicit-def: $vgpr8_vgpr9
                                        ; implicit-def: $vgpr6_vgpr7
                                        ; implicit-def: $vgpr2_vgpr3
	s_cbranch_execz .LBB30_55
; %bb.79:                               ;   in Loop: Header=BB30_56 Depth=1
	s_load_dword s0, s[2:3], 0x0
	v_pk_mov_b32 v[2:3], 0, 0
	v_pk_mov_b32 v[6:7], v[2:3], v[2:3] op_sel:[0,1]
	s_waitcnt lgkmcnt(0)
	s_cmp_lt_u32 s6, s0
	s_cselect_b32 s0, 12, 18
	s_add_u32 s0, s2, s0
	s_addc_u32 s1, s3, 0
	global_load_ushort v5, v4, s[0:1]
	s_waitcnt vmcnt(0)
	v_mad_u32_u24 v5, v103, v5, v112
	v_and_b32_e32 v5, 63, v5
	v_cmp_gt_u32_e32 vcc, 8, v5
	s_and_saveexec_b64 s[0:1], vcc
	s_cbranch_execz .LBB30_54
; %bb.80:                               ;   in Loop: Header=BB30_56 Depth=1
	v_add_co_u32_e32 v8, vcc, v106, v5
	v_addc_co_u32_e32 v9, vcc, 0, v107, vcc
	v_pk_mov_b32 v[6:7], 0, 0
	v_cmp_gt_i64_e32 vcc, s[36:37], v[8:9]
	v_pk_mov_b32 v[2:3], v[6:7], v[6:7] op_sel:[0,1]
	s_and_saveexec_b64 s[14:15], vcc
	s_cbranch_execz .LBB30_53
; %bb.81:                               ;   in Loop: Header=BB30_56 Depth=1
	v_lshlrev_b64 v[2:3], 3, v[8:9]
	v_mov_b32_e32 v5, s31
	v_add_co_u32_e32 v8, vcc, s30, v2
	v_addc_co_u32_e32 v9, vcc, v5, v3, vcc
	v_mov_b32_e32 v5, s29
	v_add_co_u32_e32 v10, vcc, s28, v2
	v_addc_co_u32_e32 v11, vcc, v5, v3, vcc
	global_load_dwordx2 v[6:7], v[10:11], off
	global_load_dwordx2 v[2:3], v[8:9], off
	s_branch .LBB30_53
.LBB30_82:
	s_mov_b32 s7, 0
	s_lshl_b64 s[0:1], s[6:7], 6
	v_and_b32_e32 v1, 0x3ff, v0
	v_or_b32_e32 v4, s0, v1
	v_mov_b32_e32 v5, s1
	v_cmp_gt_i64_e32 vcc, s[38:39], v[4:5]
	s_and_saveexec_b64 s[0:1], vcc
	s_cbranch_execz .LBB30_87
; %bb.83:
	s_load_dword s6, s[4:5], 0x4c
	s_load_dwordx4 s[0:3], s[4:5], 0x30
	v_bfe_u32 v0, v0, 10, 10
	v_mov_b32_e32 v1, 0
	v_mov_b32_e32 v2, s8
	s_waitcnt lgkmcnt(0)
	s_lshr_b32 s4, s6, 16
	v_mad_u64_u32 v[2:3], s[4:5], s4, v2, v[0:1]
	s_cmp_eq_u64 s[0:1], 0
	v_mul_lo_u32 v3, v3, s38
	v_mul_lo_u32 v6, v2, s39
	v_lshlrev_b64 v[0:1], 3, v[4:5]
	s_cbranch_scc1 .LBB30_85
; %bb.84:
	v_mad_u64_u32 v[4:5], s[4:5], v2, s38, 0
	v_add3_u32 v5, v5, v6, v3
	v_lshlrev_b64 v[4:5], 3, v[4:5]
	v_mov_b32_e32 v7, s1
	v_add_co_u32_e32 v4, vcc, s0, v4
	v_addc_co_u32_e32 v5, vcc, v7, v5, vcc
	v_add_co_u32_e32 v4, vcc, v4, v0
	v_addc_co_u32_e32 v5, vcc, v5, v1, vcc
	global_store_dwordx2 v[4:5], v[52:53], off
.LBB30_85:
	s_cmp_eq_u64 s[2:3], 0
	s_cbranch_scc1 .LBB30_87
; %bb.86:
	v_mad_u64_u32 v[4:5], s[0:1], v2, s38, 0
	v_add3_u32 v5, v5, v6, v3
	v_lshlrev_b64 v[2:3], 3, v[4:5]
	v_mov_b32_e32 v4, s3
	v_add_co_u32_e32 v2, vcc, s2, v2
	v_addc_co_u32_e32 v3, vcc, v4, v3, vcc
	v_add_co_u32_e32 v0, vcc, v2, v0
	v_addc_co_u32_e32 v1, vcc, v3, v1, vcc
	global_store_dwordx2 v[0:1], v[50:51], off
.LBB30_87:
	s_endpgm
	.section	.rodata,"a",@progbits
	.p2align	6, 0x0
	.amdhsa_kernel _ZN2at6native12_GLOBAL__N_135GammaBetaBackwardCUDAKernelTemplateIddLj64ELj1ELj8ELb1ELb0ELb0EEEvllPKT_S5_PKT0_S8_PS3_S9_
		.amdhsa_group_segment_fixed_size 0
		.amdhsa_private_segment_fixed_size 0
		.amdhsa_kernarg_size 320
		.amdhsa_user_sgpr_count 6
		.amdhsa_user_sgpr_private_segment_buffer 1
		.amdhsa_user_sgpr_dispatch_ptr 0
		.amdhsa_user_sgpr_queue_ptr 0
		.amdhsa_user_sgpr_kernarg_segment_ptr 1
		.amdhsa_user_sgpr_dispatch_id 0
		.amdhsa_user_sgpr_flat_scratch_init 0
		.amdhsa_user_sgpr_kernarg_preload_length 0
		.amdhsa_user_sgpr_kernarg_preload_offset 0
		.amdhsa_user_sgpr_private_segment_size 0
		.amdhsa_uses_dynamic_stack 0
		.amdhsa_system_sgpr_private_segment_wavefront_offset 0
		.amdhsa_system_sgpr_workgroup_id_x 1
		.amdhsa_system_sgpr_workgroup_id_y 1
		.amdhsa_system_sgpr_workgroup_id_z 0
		.amdhsa_system_sgpr_workgroup_info 0
		.amdhsa_system_vgpr_workitem_id 1
		.amdhsa_next_free_vgpr 118
		.amdhsa_next_free_sgpr 56
		.amdhsa_accum_offset 120
		.amdhsa_reserve_vcc 1
		.amdhsa_reserve_flat_scratch 0
		.amdhsa_float_round_mode_32 0
		.amdhsa_float_round_mode_16_64 0
		.amdhsa_float_denorm_mode_32 3
		.amdhsa_float_denorm_mode_16_64 3
		.amdhsa_dx10_clamp 1
		.amdhsa_ieee_mode 1
		.amdhsa_fp16_overflow 0
		.amdhsa_tg_split 0
		.amdhsa_exception_fp_ieee_invalid_op 0
		.amdhsa_exception_fp_denorm_src 0
		.amdhsa_exception_fp_ieee_div_zero 0
		.amdhsa_exception_fp_ieee_overflow 0
		.amdhsa_exception_fp_ieee_underflow 0
		.amdhsa_exception_fp_ieee_inexact 0
		.amdhsa_exception_int_div_zero 0
	.end_amdhsa_kernel
	.section	.text._ZN2at6native12_GLOBAL__N_135GammaBetaBackwardCUDAKernelTemplateIddLj64ELj1ELj8ELb1ELb0ELb0EEEvllPKT_S5_PKT0_S8_PS3_S9_,"axG",@progbits,_ZN2at6native12_GLOBAL__N_135GammaBetaBackwardCUDAKernelTemplateIddLj64ELj1ELj8ELb1ELb0ELb0EEEvllPKT_S5_PKT0_S8_PS3_S9_,comdat
.Lfunc_end30:
	.size	_ZN2at6native12_GLOBAL__N_135GammaBetaBackwardCUDAKernelTemplateIddLj64ELj1ELj8ELb1ELb0ELb0EEEvllPKT_S5_PKT0_S8_PS3_S9_, .Lfunc_end30-_ZN2at6native12_GLOBAL__N_135GammaBetaBackwardCUDAKernelTemplateIddLj64ELj1ELj8ELb1ELb0ELb0EEEvllPKT_S5_PKT0_S8_PS3_S9_
                                        ; -- End function
	.section	.AMDGPU.csdata,"",@progbits
; Kernel info:
; codeLenInByte = 8276
; NumSgprs: 60
; NumVgprs: 118
; NumAgprs: 0
; TotalNumVgprs: 118
; ScratchSize: 0
; MemoryBound: 1
; FloatMode: 240
; IeeeMode: 1
; LDSByteSize: 0 bytes/workgroup (compile time only)
; SGPRBlocks: 7
; VGPRBlocks: 14
; NumSGPRsForWavesPerEU: 60
; NumVGPRsForWavesPerEU: 118
; AccumOffset: 120
; Occupancy: 4
; WaveLimiterHint : 0
; COMPUTE_PGM_RSRC2:SCRATCH_EN: 0
; COMPUTE_PGM_RSRC2:USER_SGPR: 6
; COMPUTE_PGM_RSRC2:TRAP_HANDLER: 0
; COMPUTE_PGM_RSRC2:TGID_X_EN: 1
; COMPUTE_PGM_RSRC2:TGID_Y_EN: 1
; COMPUTE_PGM_RSRC2:TGID_Z_EN: 0
; COMPUTE_PGM_RSRC2:TIDIG_COMP_CNT: 1
; COMPUTE_PGM_RSRC3_GFX90A:ACCUM_OFFSET: 29
; COMPUTE_PGM_RSRC3_GFX90A:TG_SPLIT: 0
	.section	.text._ZN2at6native12_GLOBAL__N_135GammaBetaBackwardCUDAKernelTemplateIddLj64ELj8ELj64ELb0ELb1ELb0EEEvllPKT_S5_PKT0_S8_PS3_S9_,"axG",@progbits,_ZN2at6native12_GLOBAL__N_135GammaBetaBackwardCUDAKernelTemplateIddLj64ELj8ELj64ELb0ELb1ELb0EEEvllPKT_S5_PKT0_S8_PS3_S9_,comdat
	.globl	_ZN2at6native12_GLOBAL__N_135GammaBetaBackwardCUDAKernelTemplateIddLj64ELj8ELj64ELb0ELb1ELb0EEEvllPKT_S5_PKT0_S8_PS3_S9_ ; -- Begin function _ZN2at6native12_GLOBAL__N_135GammaBetaBackwardCUDAKernelTemplateIddLj64ELj8ELj64ELb0ELb1ELb0EEEvllPKT_S5_PKT0_S8_PS3_S9_
	.p2align	8
	.type	_ZN2at6native12_GLOBAL__N_135GammaBetaBackwardCUDAKernelTemplateIddLj64ELj8ELj64ELb0ELb1ELb0EEEvllPKT_S5_PKT0_S8_PS3_S9_,@function
_ZN2at6native12_GLOBAL__N_135GammaBetaBackwardCUDAKernelTemplateIddLj64ELj8ELj64ELb0ELb1ELb0EEEvllPKT_S5_PKT0_S8_PS3_S9_: ; @_ZN2at6native12_GLOBAL__N_135GammaBetaBackwardCUDAKernelTemplateIddLj64ELj8ELj64ELb0ELb1ELb0EEEvllPKT_S5_PKT0_S8_PS3_S9_
; %bb.0:
	s_load_dwordx4 s[20:23], s[4:5], 0x0
	s_lshl_b32 s24, s7, 6
	s_mov_b32 s25, 0
	v_bfe_u32 v18, v0, 10, 10
	s_waitcnt lgkmcnt(0)
	v_pk_mov_b32 v[2:3], s[20:21], s[20:21] op_sel:[0,1]
	v_cmp_lt_i64_e32 vcc, s[24:25], v[2:3]
	s_cbranch_vccnz .LBB31_2
; %bb.1:
	s_mov_b64 s[0:1], 0
	s_mov_b64 s[2:3], 0
	v_bfe_u32 v6, v0, 10, 10
	s_branch .LBB31_3
.LBB31_2:
	s_mov_b64 s[0:1], -1
                                        ; implicit-def: $sgpr2_sgpr3
                                        ; implicit-def: $vgpr6
.LBB31_3:
	s_load_dwordx4 s[16:19], s[4:5], 0x30
	v_and_b32_e32 v16, 0x3ff, v0
	s_andn2_b64 vcc, exec, s[0:1]
	v_pk_mov_b32 v[10:11], s[2:3], s[2:3] op_sel:[0,1]
	v_mbcnt_lo_u32_b32 v17, -1, 0
	v_pk_mov_b32 v[4:5], s[2:3], s[2:3] op_sel:[0,1]
	s_cbranch_vccnz .LBB31_11
; %bb.4:
	s_load_dword s0, s[4:5], 0x4c
	s_load_dword s2, s[4:5], 0x44
	s_load_dwordx8 s[8:15], s[4:5], 0x10
	v_mbcnt_hi_u32_b32 v2, -1, v17
	v_lshlrev_b32_e32 v0, 3, v18
	s_waitcnt lgkmcnt(0)
	s_and_b32 s0, s0, 0xffff
	v_lshlrev_b32_e32 v2, 2, v2
	v_mad_u32_u24 v1, v18, s0, v16
	v_and_b32_e32 v19, 0x100, v2
	v_mov_b32_e32 v2, s25
	v_add_co_u32_e32 v6, vcc, s24, v0
	v_and_b32_e32 v1, 63, v1
	v_addc_co_u32_e32 v7, vcc, 0, v2, vcc
	v_add_co_u32_e32 v0, vcc, v6, v1
	v_cmp_gt_u32_e64 s[0:1], 8, v1
	s_lshl_b32 s4, s2, 6
	v_addc_co_u32_e32 v1, vcc, 0, v7, vcc
	v_mul_lo_u32 v8, s23, v6
	v_mul_lo_u32 v9, s22, v7
	v_mad_u64_u32 v[6:7], s[2:3], s22, v6, 0
	v_mov_b32_e32 v5, 0
	v_lshl_add_u32 v4, s6, 6, v16
	v_add3_u32 v7, v7, v9, v8
	s_mov_b32 s5, 0
	v_lshlrev_b64 v[6:7], 3, v[6:7]
	v_lshlrev_b64 v[4:5], 3, v[4:5]
	s_mul_i32 s2, s23, s4
	s_mul_hi_u32 s3, s22, s4
	s_lshl_b64 s[26:27], s[4:5], 3
	v_add_co_u32_e32 v6, vcc, v6, v4
	s_add_i32 s3, s3, s2
	s_mul_i32 s2, s22, s4
	s_lshl_b64 s[22:23], s[22:23], 3
	v_pk_mov_b32 v[8:9], 0, 0
	v_or_b32_e32 v20, 4, v19
	v_or_b32_e32 v21, 8, v19
	;; [unrolled: 1-line block ×7, first 2 shown]
	v_lshlrev_b64 v[2:3], 3, v[0:1]
	v_addc_co_u32_e32 v7, vcc, v7, v5, vcc
	s_lshl_b64 s[28:29], s[2:3], 3
	v_mov_b32_e32 v27, s9
	v_mov_b32_e32 v28, s11
	;; [unrolled: 1-line block ×4, first 2 shown]
	v_pk_mov_b32 v[4:5], v[8:9], v[8:9] op_sel:[0,1]
	v_pk_mov_b32 v[10:11], v[8:9], v[8:9] op_sel:[0,1]
	s_branch .LBB31_7
.LBB31_5:                               ;   in Loop: Header=BB31_7 Depth=1
	s_or_b64 exec, exec, s[30:31]
.LBB31_6:                               ;   in Loop: Header=BB31_7 Depth=1
	s_or_b64 exec, exec, s[2:3]
	v_add_co_u32_e32 v32, vcc, s10, v6
	v_addc_co_u32_e32 v33, vcc, v28, v7, vcc
	v_add_co_u32_e32 v36, vcc, s8, v6
	v_addc_co_u32_e32 v37, vcc, v27, v7, vcc
	global_load_dwordx2 v[34:35], v[32:33], off
	v_add_co_u32_e32 v32, vcc, s22, v32
	global_load_dwordx2 v[38:39], v[36:37], off
	v_addc_co_u32_e32 v33, vcc, v33, v29, vcc
	global_load_dwordx2 v[40:41], v[32:33], off
	v_add_co_u32_e32 v36, vcc, s22, v36
	v_addc_co_u32_e32 v37, vcc, v37, v29, vcc
	global_load_dwordx2 v[42:43], v[36:37], off
	v_add_co_u32_e64 v32, s[2:3], s22, v32
	v_add_co_u32_e32 v36, vcc, s22, v36
	v_addc_co_u32_e64 v33, s[2:3], v33, v29, s[2:3]
	global_load_dwordx2 v[44:45], v[32:33], off
	v_addc_co_u32_e32 v37, vcc, v37, v29, vcc
	global_load_dwordx2 v[46:47], v[36:37], off
	s_waitcnt vmcnt(7)
	ds_bpermute_b32 v50, v19, v14
	ds_bpermute_b32 v51, v19, v15
	s_waitcnt vmcnt(6)
	ds_bpermute_b32 v48, v19, v12
	ds_bpermute_b32 v49, v19, v13
	;; [unrolled: 1-line block ×4, first 2 shown]
	v_add_co_u32_e32 v36, vcc, s22, v36
	v_addc_co_u32_e32 v37, vcc, v37, v29, vcc
	v_add_co_u32_e32 v32, vcc, s22, v32
	v_addc_co_u32_e32 v33, vcc, v33, v29, vcc
	ds_bpermute_b32 v54, v20, v12
	ds_bpermute_b32 v55, v20, v13
	s_add_u32 s24, s24, s4
	s_addc_u32 s25, s25, 0
	s_waitcnt vmcnt(5) lgkmcnt(6)
	v_add_f64 v[34:35], v[34:35], -v[50:51]
	ds_bpermute_b32 v50, v21, v14
	ds_bpermute_b32 v51, v21, v15
	s_waitcnt vmcnt(4)
	v_mul_f64 v[34:35], v[38:39], v[34:35]
	s_waitcnt lgkmcnt(6)
	v_fmac_f64_e32 v[4:5], v[34:35], v[48:49]
	v_add_co_u32_e32 v48, vcc, s22, v36
	s_waitcnt vmcnt(3) lgkmcnt(4)
	v_add_f64 v[40:41], v[40:41], -v[52:53]
	v_add_co_u32_e64 v52, s[2:3], s22, v32
	v_addc_co_u32_e32 v49, vcc, v37, v29, vcc
	v_addc_co_u32_e64 v53, vcc, v33, v29, s[2:3]
	global_load_dwordx2 v[32:33], v[32:33], off
	s_waitcnt vmcnt(3)
	v_mul_f64 v[40:41], v[42:43], v[40:41]
	global_load_dwordx2 v[36:37], v[36:37], off
	s_waitcnt lgkmcnt(2)
	v_fmac_f64_e32 v[4:5], v[40:41], v[54:55]
	v_add_co_u32_e32 v40, vcc, s22, v48
	v_add_co_u32_e64 v54, s[2:3], s22, v52
	ds_bpermute_b32 v34, v21, v12
	ds_bpermute_b32 v35, v21, v13
	v_addc_co_u32_e32 v41, vcc, v49, v29, vcc
	v_addc_co_u32_e64 v55, vcc, v53, v29, s[2:3]
	global_load_dwordx2 v[52:53], v[52:53], off
	s_waitcnt vmcnt(4) lgkmcnt(2)
	v_add_f64 v[44:45], v[44:45], -v[50:51]
	global_load_dwordx2 v[48:49], v[48:49], off
	s_waitcnt vmcnt(4)
	v_mul_f64 v[44:45], v[46:47], v[44:45]
	v_add_co_u32_e32 v50, vcc, s22, v54
	s_waitcnt lgkmcnt(0)
	v_fmac_f64_e32 v[4:5], v[44:45], v[34:35]
	v_add_co_u32_e64 v34, s[2:3], s22, v40
	global_load_dwordx2 v[44:45], v[54:55], off
	v_addc_co_u32_e32 v51, vcc, v55, v29, vcc
	v_addc_co_u32_e64 v35, vcc, v41, v29, s[2:3]
	global_load_dwordx2 v[40:41], v[40:41], off
	v_add_co_u32_e32 v54, vcc, s22, v50
	v_addc_co_u32_e32 v55, vcc, v51, v29, vcc
	global_load_dwordx2 v[50:51], v[50:51], off
	v_add_f64 v[10:11], v[10:11], v[38:39]
	v_add_co_u32_e32 v38, vcc, s22, v34
	v_addc_co_u32_e32 v39, vcc, v35, v29, vcc
	global_load_dwordx2 v[56:57], v[34:35], off
	global_load_dwordx2 v[58:59], v[54:55], off
	;; [unrolled: 1-line block ×3, first 2 shown]
	ds_bpermute_b32 v34, v22, v14
	ds_bpermute_b32 v35, v22, v15
	;; [unrolled: 1-line block ×4, first 2 shown]
	v_add_f64 v[10:11], v[10:11], v[42:43]
	v_add_f64 v[10:11], v[10:11], v[46:47]
	v_add_co_u32_e32 v2, vcc, s26, v2
	v_addc_co_u32_e32 v3, vcc, v3, v30, vcc
	v_add_co_u32_e32 v0, vcc, s4, v0
	s_waitcnt vmcnt(9) lgkmcnt(2)
	v_add_f64 v[32:33], v[32:33], -v[34:35]
	ds_bpermute_b32 v34, v23, v14
	ds_bpermute_b32 v35, v23, v15
	s_waitcnt vmcnt(8)
	v_mul_f64 v[32:33], v[36:37], v[32:33]
	s_waitcnt lgkmcnt(2)
	v_fmac_f64_e32 v[4:5], v[32:33], v[38:39]
	ds_bpermute_b32 v32, v23, v12
	ds_bpermute_b32 v33, v23, v13
	v_add_f64 v[10:11], v[10:11], v[36:37]
	ds_bpermute_b32 v36, v24, v14
	ds_bpermute_b32 v37, v24, v15
	s_waitcnt vmcnt(7) lgkmcnt(4)
	v_add_f64 v[34:35], v[52:53], -v[34:35]
	s_waitcnt vmcnt(6)
	v_mul_f64 v[34:35], v[48:49], v[34:35]
	s_waitcnt lgkmcnt(2)
	v_fmac_f64_e32 v[4:5], v[34:35], v[32:33]
	ds_bpermute_b32 v32, v24, v12
	ds_bpermute_b32 v33, v24, v13
	v_add_f64 v[10:11], v[10:11], v[48:49]
	s_waitcnt vmcnt(5) lgkmcnt(2)
	v_add_f64 v[34:35], v[44:45], -v[36:37]
	ds_bpermute_b32 v36, v25, v14
	ds_bpermute_b32 v37, v25, v15
	;; [unrolled: 1-line block ×4, first 2 shown]
	s_waitcnt vmcnt(4)
	v_mul_f64 v[34:35], v[40:41], v[34:35]
	s_waitcnt lgkmcnt(4)
	v_fmac_f64_e32 v[4:5], v[34:35], v[32:33]
	ds_bpermute_b32 v32, v25, v12
	ds_bpermute_b32 v33, v25, v13
	;; [unrolled: 1-line block ×4, first 2 shown]
	s_waitcnt vmcnt(3) lgkmcnt(6)
	v_add_f64 v[34:35], v[50:51], -v[36:37]
	v_add_f64 v[10:11], v[10:11], v[40:41]
	s_waitcnt vmcnt(2)
	v_mul_f64 v[34:35], v[56:57], v[34:35]
	s_waitcnt vmcnt(1) lgkmcnt(4)
	v_add_f64 v[14:15], v[58:59], -v[14:15]
	s_waitcnt lgkmcnt(2)
	v_fmac_f64_e32 v[4:5], v[34:35], v[32:33]
	s_waitcnt vmcnt(0)
	v_mul_f64 v[14:15], v[60:61], v[14:15]
	s_waitcnt lgkmcnt(0)
	v_fmac_f64_e32 v[4:5], v[14:15], v[12:13]
	v_mov_b32_e32 v12, s5
	v_addc_co_u32_e32 v1, vcc, v1, v12, vcc
	v_mov_b32_e32 v12, s29
	v_add_co_u32_e32 v6, vcc, s28, v6
	v_addc_co_u32_e32 v7, vcc, v7, v12, vcc
	v_pk_mov_b32 v[12:13], s[20:21], s[20:21] op_sel:[0,1]
	v_add_f64 v[10:11], v[10:11], v[56:57]
	v_cmp_lt_i64_e32 vcc, s[24:25], v[12:13]
	v_add_f64 v[10:11], v[10:11], v[60:61]
	s_cbranch_vccz .LBB31_10
.LBB31_7:                               ; =>This Inner Loop Header: Depth=1
	v_pk_mov_b32 v[12:13], v[8:9], v[8:9] op_sel:[0,1]
	v_pk_mov_b32 v[14:15], v[8:9], v[8:9] op_sel:[0,1]
	s_and_saveexec_b64 s[2:3], s[0:1]
	s_cbranch_execz .LBB31_6
; %bb.8:                                ;   in Loop: Header=BB31_7 Depth=1
	v_pk_mov_b32 v[14:15], 0, 0
	v_cmp_gt_i64_e32 vcc, s[20:21], v[0:1]
	v_pk_mov_b32 v[12:13], v[14:15], v[14:15] op_sel:[0,1]
	s_and_saveexec_b64 s[30:31], vcc
	s_cbranch_execz .LBB31_5
; %bb.9:                                ;   in Loop: Header=BB31_7 Depth=1
	v_mov_b32_e32 v12, s15
	v_add_co_u32_e32 v32, vcc, s14, v2
	v_addc_co_u32_e32 v33, vcc, v12, v3, vcc
	v_mov_b32_e32 v12, s13
	v_add_co_u32_e32 v34, vcc, s12, v2
	v_addc_co_u32_e32 v35, vcc, v12, v3, vcc
	global_load_dwordx2 v[14:15], v[34:35], off
	global_load_dwordx2 v[12:13], v[32:33], off
	s_branch .LBB31_5
.LBB31_10:
	v_mov_b32_e32 v6, v18
.LBB31_11:
	s_movk_i32 s0, 0x41
	v_mad_u32_u24 v0, v6, s0, v16
	v_lshl_add_u32 v0, v0, 3, 0
	ds_write_b64 v0, v[4:5]
	ds_write_b64 v0, v[10:11] offset:4160
	v_lshrrev_b32_e32 v4, 6, v16
	v_add_u32_e32 v0, v4, v6
	s_mov_b32 s7, 0
	v_cmp_gt_u32_e32 vcc, 64, v0
	s_waitcnt lgkmcnt(0)
	s_barrier
	s_and_saveexec_b64 s[0:1], vcc
	s_cbranch_execz .LBB31_21
; %bb.12:
	v_and_b32_e32 v1, 63, v16
	v_cmp_gt_u32_e64 s[0:1], 8, v1
	v_mul_u32_u24_e32 v5, 0x41, v1
	v_mbcnt_hi_u32_b32 v1, -1, v17
	v_and_b32_e32 v2, 64, v1
	v_add_u32_e32 v2, 64, v2
	v_xor_b32_e32 v3, 4, v1
	v_cmp_lt_i32_e32 vcc, v3, v2
	v_cndmask_b32_e32 v3, v1, v3, vcc
	v_lshlrev_b32_e32 v8, 2, v3
	v_xor_b32_e32 v3, 2, v1
	v_cmp_lt_i32_e32 vcc, v3, v2
	v_cndmask_b32_e32 v3, v1, v3, vcc
	v_lshlrev_b32_e32 v9, 2, v3
	v_xor_b32_e32 v3, 1, v1
	s_lshl_b64 s[10:11], s[6:7], 6
	v_cmp_lt_i32_e32 vcc, v3, v2
	v_cndmask_b32_e32 v1, v1, v3, vcc
	v_add_u32_e32 v11, -8, v0
	v_or_b32_e32 v0, s10, v4
	v_lshlrev_b32_e32 v10, 2, v1
	v_mov_b32_e32 v1, s11
	v_add_co_u32_e32 v0, vcc, v0, v6
	v_addc_co_u32_e32 v1, vcc, 0, v1, vcc
	v_lshlrev_b64 v[2:3], 3, v[0:1]
	v_mov_b32_e32 v1, s19
	v_add_co_u32_e32 v0, vcc, s18, v2
	s_cmp_lg_u64 s[16:17], 0
	v_addc_co_u32_e32 v1, vcc, v1, v3, vcc
	s_cselect_b64 s[6:7], -1, 0
	s_cmp_lg_u64 s[18:19], 0
	v_mov_b32_e32 v7, s17
	v_add_co_u32_e32 v2, vcc, s16, v2
	v_add3_u32 v4, v5, v6, v4
	v_cmp_eq_u32_e64 s[2:3], 0, v16
	s_mov_b64 s[4:5], 0
	s_cselect_b64 s[8:9], -1, 0
	v_addc_co_u32_e32 v3, vcc, v7, v3, vcc
	v_lshl_add_u32 v12, v4, 3, 0
                                        ; implicit-def: $vgpr4_vgpr5
                                        ; implicit-def: $vgpr6_vgpr7
	s_branch .LBB31_14
.LBB31_13:                              ;   in Loop: Header=BB31_14 Depth=1
	s_or_b64 exec, exec, s[10:11]
	v_add_co_u32_e32 v0, vcc, 64, v0
	v_addc_co_u32_e32 v1, vcc, 0, v1, vcc
	v_add_co_u32_e32 v2, vcc, 64, v2
	v_add_u32_e32 v11, 8, v11
	v_addc_co_u32_e32 v3, vcc, 0, v3, vcc
	v_cmp_lt_u32_e32 vcc, 55, v11
	s_or_b64 s[4:5], vcc, s[4:5]
	v_add_u32_e32 v12, 64, v12
	s_andn2_b64 exec, exec, s[4:5]
	s_cbranch_execz .LBB31_21
.LBB31_14:                              ; =>This Inner Loop Header: Depth=1
	s_and_saveexec_b64 s[10:11], s[0:1]
	s_cbranch_execz .LBB31_16
; %bb.15:                               ;   in Loop: Header=BB31_14 Depth=1
	ds_read_b64 v[4:5], v12
	ds_read_b64 v[6:7], v12 offset:4160
.LBB31_16:                              ;   in Loop: Header=BB31_14 Depth=1
	s_or_b64 exec, exec, s[10:11]
	s_waitcnt lgkmcnt(1)
	ds_bpermute_b32 v14, v8, v4
	ds_bpermute_b32 v15, v8, v5
	s_waitcnt lgkmcnt(2)
	ds_bpermute_b32 v16, v8, v6
	ds_bpermute_b32 v17, v8, v7
	s_waitcnt lgkmcnt(2)
	v_add_f64 v[4:5], v[4:5], v[14:15]
	ds_bpermute_b32 v14, v9, v4
	s_waitcnt lgkmcnt(1)
	v_add_f64 v[6:7], v[6:7], v[16:17]
	ds_bpermute_b32 v15, v9, v5
	ds_bpermute_b32 v16, v9, v6
	;; [unrolled: 1-line block ×3, first 2 shown]
	s_waitcnt lgkmcnt(2)
	v_add_f64 v[4:5], v[4:5], v[14:15]
	ds_bpermute_b32 v14, v10, v4
	s_waitcnt lgkmcnt(1)
	v_add_f64 v[6:7], v[6:7], v[16:17]
	ds_bpermute_b32 v15, v10, v5
	ds_bpermute_b32 v16, v10, v6
	;; [unrolled: 1-line block ×3, first 2 shown]
	s_waitcnt lgkmcnt(2)
	v_add_f64 v[4:5], v[4:5], v[14:15]
	s_waitcnt lgkmcnt(0)
	v_add_f64 v[6:7], v[6:7], v[16:17]
	s_and_saveexec_b64 s[10:11], s[2:3]
	s_cbranch_execz .LBB31_13
; %bb.17:                               ;   in Loop: Header=BB31_14 Depth=1
	s_andn2_b64 vcc, exec, s[6:7]
	s_cbranch_vccnz .LBB31_19
; %bb.18:                               ;   in Loop: Header=BB31_14 Depth=1
	global_store_dwordx2 v[2:3], v[4:5], off
.LBB31_19:                              ;   in Loop: Header=BB31_14 Depth=1
	s_andn2_b64 vcc, exec, s[8:9]
	s_cbranch_vccnz .LBB31_13
; %bb.20:                               ;   in Loop: Header=BB31_14 Depth=1
	global_store_dwordx2 v[0:1], v[6:7], off
	s_branch .LBB31_13
.LBB31_21:
	s_endpgm
	.section	.rodata,"a",@progbits
	.p2align	6, 0x0
	.amdhsa_kernel _ZN2at6native12_GLOBAL__N_135GammaBetaBackwardCUDAKernelTemplateIddLj64ELj8ELj64ELb0ELb1ELb0EEEvllPKT_S5_PKT0_S8_PS3_S9_
		.amdhsa_group_segment_fixed_size 0
		.amdhsa_private_segment_fixed_size 0
		.amdhsa_kernarg_size 320
		.amdhsa_user_sgpr_count 6
		.amdhsa_user_sgpr_private_segment_buffer 1
		.amdhsa_user_sgpr_dispatch_ptr 0
		.amdhsa_user_sgpr_queue_ptr 0
		.amdhsa_user_sgpr_kernarg_segment_ptr 1
		.amdhsa_user_sgpr_dispatch_id 0
		.amdhsa_user_sgpr_flat_scratch_init 0
		.amdhsa_user_sgpr_kernarg_preload_length 0
		.amdhsa_user_sgpr_kernarg_preload_offset 0
		.amdhsa_user_sgpr_private_segment_size 0
		.amdhsa_uses_dynamic_stack 0
		.amdhsa_system_sgpr_private_segment_wavefront_offset 0
		.amdhsa_system_sgpr_workgroup_id_x 1
		.amdhsa_system_sgpr_workgroup_id_y 1
		.amdhsa_system_sgpr_workgroup_id_z 0
		.amdhsa_system_sgpr_workgroup_info 0
		.amdhsa_system_vgpr_workitem_id 1
		.amdhsa_next_free_vgpr 62
		.amdhsa_next_free_sgpr 32
		.amdhsa_accum_offset 64
		.amdhsa_reserve_vcc 1
		.amdhsa_reserve_flat_scratch 0
		.amdhsa_float_round_mode_32 0
		.amdhsa_float_round_mode_16_64 0
		.amdhsa_float_denorm_mode_32 3
		.amdhsa_float_denorm_mode_16_64 3
		.amdhsa_dx10_clamp 1
		.amdhsa_ieee_mode 1
		.amdhsa_fp16_overflow 0
		.amdhsa_tg_split 0
		.amdhsa_exception_fp_ieee_invalid_op 0
		.amdhsa_exception_fp_denorm_src 0
		.amdhsa_exception_fp_ieee_div_zero 0
		.amdhsa_exception_fp_ieee_overflow 0
		.amdhsa_exception_fp_ieee_underflow 0
		.amdhsa_exception_fp_ieee_inexact 0
		.amdhsa_exception_int_div_zero 0
	.end_amdhsa_kernel
	.section	.text._ZN2at6native12_GLOBAL__N_135GammaBetaBackwardCUDAKernelTemplateIddLj64ELj8ELj64ELb0ELb1ELb0EEEvllPKT_S5_PKT0_S8_PS3_S9_,"axG",@progbits,_ZN2at6native12_GLOBAL__N_135GammaBetaBackwardCUDAKernelTemplateIddLj64ELj8ELj64ELb0ELb1ELb0EEEvllPKT_S5_PKT0_S8_PS3_S9_,comdat
.Lfunc_end31:
	.size	_ZN2at6native12_GLOBAL__N_135GammaBetaBackwardCUDAKernelTemplateIddLj64ELj8ELj64ELb0ELb1ELb0EEEvllPKT_S5_PKT0_S8_PS3_S9_, .Lfunc_end31-_ZN2at6native12_GLOBAL__N_135GammaBetaBackwardCUDAKernelTemplateIddLj64ELj8ELj64ELb0ELb1ELb0EEEvllPKT_S5_PKT0_S8_PS3_S9_
                                        ; -- End function
	.section	.AMDGPU.csdata,"",@progbits
; Kernel info:
; codeLenInByte = 1988
; NumSgprs: 36
; NumVgprs: 62
; NumAgprs: 0
; TotalNumVgprs: 62
; ScratchSize: 0
; MemoryBound: 0
; FloatMode: 240
; IeeeMode: 1
; LDSByteSize: 0 bytes/workgroup (compile time only)
; SGPRBlocks: 4
; VGPRBlocks: 7
; NumSGPRsForWavesPerEU: 36
; NumVGPRsForWavesPerEU: 62
; AccumOffset: 64
; Occupancy: 8
; WaveLimiterHint : 0
; COMPUTE_PGM_RSRC2:SCRATCH_EN: 0
; COMPUTE_PGM_RSRC2:USER_SGPR: 6
; COMPUTE_PGM_RSRC2:TRAP_HANDLER: 0
; COMPUTE_PGM_RSRC2:TGID_X_EN: 1
; COMPUTE_PGM_RSRC2:TGID_Y_EN: 1
; COMPUTE_PGM_RSRC2:TGID_Z_EN: 0
; COMPUTE_PGM_RSRC2:TIDIG_COMP_CNT: 1
; COMPUTE_PGM_RSRC3_GFX90A:ACCUM_OFFSET: 15
; COMPUTE_PGM_RSRC3_GFX90A:TG_SPLIT: 0
	.section	.text._ZN2at6native12_GLOBAL__N_135GammaBetaBackwardCUDAKernelTemplateIddLj64ELj8ELj64ELb0ELb0ELb0EEEvllPKT_S5_PKT0_S8_PS3_S9_,"axG",@progbits,_ZN2at6native12_GLOBAL__N_135GammaBetaBackwardCUDAKernelTemplateIddLj64ELj8ELj64ELb0ELb0ELb0EEEvllPKT_S5_PKT0_S8_PS3_S9_,comdat
	.globl	_ZN2at6native12_GLOBAL__N_135GammaBetaBackwardCUDAKernelTemplateIddLj64ELj8ELj64ELb0ELb0ELb0EEEvllPKT_S5_PKT0_S8_PS3_S9_ ; -- Begin function _ZN2at6native12_GLOBAL__N_135GammaBetaBackwardCUDAKernelTemplateIddLj64ELj8ELj64ELb0ELb0ELb0EEEvllPKT_S5_PKT0_S8_PS3_S9_
	.p2align	8
	.type	_ZN2at6native12_GLOBAL__N_135GammaBetaBackwardCUDAKernelTemplateIddLj64ELj8ELj64ELb0ELb0ELb0EEEvllPKT_S5_PKT0_S8_PS3_S9_,@function
_ZN2at6native12_GLOBAL__N_135GammaBetaBackwardCUDAKernelTemplateIddLj64ELj8ELj64ELb0ELb0ELb0EEEvllPKT_S5_PKT0_S8_PS3_S9_: ; @_ZN2at6native12_GLOBAL__N_135GammaBetaBackwardCUDAKernelTemplateIddLj64ELj8ELj64ELb0ELb0ELb0EEEvllPKT_S5_PKT0_S8_PS3_S9_
; %bb.0:
	s_load_dwordx8 s[36:43], s[4:5], 0x0
	s_load_dwordx4 s[28:31], s[4:5], 0x20
	s_lshl_b32 s33, s6, 6
	s_or_b32 s34, s33, 63
	s_mov_b32 s35, 0
	s_waitcnt lgkmcnt(0)
	v_pk_mov_b32 v[2:3], s[38:39], s[38:39] op_sel:[0,1]
	v_cmp_ge_i64_e32 vcc, s[34:35], v[2:3]
	s_lshl_b32 s34, s7, 6
	v_pk_mov_b32 v[2:3], s[36:37], s[36:37] op_sel:[0,1]
	v_cmp_lt_i64_e64 s[0:1], s[34:35], v[2:3]
	v_cndmask_b32_e64 v1, 0, 1, s[0:1]
	v_cmp_ne_u32_e64 s[0:1], 1, v1
	s_cbranch_vccz .LBB32_49
; %bb.1:
	v_pk_mov_b32 v[50:51], 0, 0
	s_mov_b64 s[10:11], 0
	s_and_b64 vcc, exec, s[0:1]
	v_pk_mov_b32 v[56:57], v[50:51], v[50:51] op_sel:[0,1]
	s_cbranch_vccnz .LBB32_50
; %bb.2:
	v_bfe_u32 v89, v0, 10, 10
	v_lshlrev_b32_e32 v52, 3, v89
	v_mov_b32_e32 v1, s35
	v_add_co_u32_e32 v5, vcc, s34, v52
	v_and_b32_e32 v87, 0x3ff, v0
	v_mov_b32_e32 v4, 0
	v_addc_co_u32_e32 v6, vcc, 0, v1, vcc
	v_add_u32_e32 v2, s33, v87
	v_mov_b32_e32 v3, v4
	v_add_co_u32_e32 v1, vcc, 7, v5
	v_cmp_gt_i64_e64 s[2:3], s[38:39], v[2:3]
	v_lshlrev_b64 v[54:55], 3, v[2:3]
	v_addc_co_u32_e32 v2, vcc, 0, v6, vcc
	v_mul_lo_u32 v7, s39, v1
	v_mul_lo_u32 v8, s38, v2
	v_mad_u64_u32 v[2:3], s[8:9], s38, v1, 0
	s_load_dword s7, s[4:5], 0x44
	v_add3_u32 v3, v3, v8, v7
	v_lshlrev_b64 v[2:3], 3, v[2:3]
	v_mov_b32_e32 v7, s41
	v_add_co_u32_e32 v58, vcc, s40, v2
	v_addc_co_u32_e32 v1, vcc, v7, v3, vcc
	s_add_u32 s44, s4, 64
	v_mov_b32_e32 v8, s43
	v_add_co_u32_e32 v60, vcc, s42, v2
	s_addc_u32 s45, s5, 0
	s_waitcnt lgkmcnt(0)
	s_lshl_b32 s7, s7, 6
	v_addc_co_u32_e32 v53, vcc, v8, v3, vcc
	s_mul_i32 s8, s39, s7
	s_mul_hi_u32 s9, s38, s7
	v_add_co_u32_e32 v2, vcc, 6, v5
	s_add_i32 s9, s9, s8
	s_mul_i32 s8, s38, s7
	v_addc_co_u32_e32 v3, vcc, 0, v6, vcc
	s_lshl_b64 s[46:47], s[8:9], 3
	v_mul_lo_u32 v9, s39, v2
	v_mul_lo_u32 v10, s38, v3
	v_mad_u64_u32 v[2:3], s[8:9], s38, v2, 0
	v_add3_u32 v3, v3, v10, v9
	v_lshlrev_b64 v[2:3], 3, v[2:3]
	v_add_co_u32_e32 v62, vcc, s40, v2
	v_addc_co_u32_e32 v59, vcc, v7, v3, vcc
	v_add_co_u32_e32 v64, vcc, s42, v2
	v_addc_co_u32_e32 v61, vcc, v8, v3, vcc
	v_add_co_u32_e32 v2, vcc, 5, v5
	v_addc_co_u32_e32 v3, vcc, 0, v6, vcc
	v_mul_lo_u32 v9, s39, v2
	v_mul_lo_u32 v10, s38, v3
	v_mad_u64_u32 v[2:3], s[8:9], s38, v2, 0
	v_add3_u32 v3, v3, v10, v9
	v_lshlrev_b64 v[2:3], 3, v[2:3]
	v_add_co_u32_e32 v66, vcc, s40, v2
	v_addc_co_u32_e32 v63, vcc, v7, v3, vcc
	v_add_co_u32_e32 v68, vcc, s42, v2
	v_addc_co_u32_e32 v65, vcc, v8, v3, vcc
	v_add_co_u32_e32 v2, vcc, 4, v5
	v_addc_co_u32_e32 v3, vcc, 0, v6, vcc
	;; [unrolled: 11-line block ×4, first 2 shown]
	v_mul_lo_u32 v9, s39, v2
	v_mul_lo_u32 v10, s38, v3
	v_mad_u64_u32 v[2:3], s[8:9], s38, v2, 0
	v_add3_u32 v3, v3, v10, v9
	v_lshlrev_b64 v[2:3], 3, v[2:3]
	v_add_co_u32_e32 v78, vcc, s40, v2
	v_addc_co_u32_e32 v75, vcc, v7, v3, vcc
	v_add_co_u32_e32 v80, vcc, s42, v2
	v_addc_co_u32_e32 v77, vcc, v8, v3, vcc
	v_pk_mov_b32 v[2:3], s[38:39], s[38:39] op_sel:[0,1]
	v_mad_u64_u32 v[2:3], s[8:9], s38, v5, v[2:3]
	v_mul_lo_u32 v6, s38, v6
	v_mul_lo_u32 v9, s39, v5
	v_add3_u32 v3, v9, v3, v6
	v_lshlrev_b64 v[2:3], 3, v[2:3]
	v_add_co_u32_e32 v82, vcc, s40, v2
	v_addc_co_u32_e32 v79, vcc, v7, v3, vcc
	v_add_co_u32_e32 v84, vcc, s42, v2
	v_addc_co_u32_e32 v81, vcc, v8, v3, vcc
	v_mad_u64_u32 v[2:3], s[8:9], s38, v5, 0
	v_add3_u32 v3, v3, v6, v9
	v_lshlrev_b64 v[2:3], 3, v[2:3]
	v_add_co_u32_e32 v86, vcc, s40, v2
	v_addc_co_u32_e32 v83, vcc, v7, v3, vcc
	v_add_co_u32_e32 v88, vcc, s42, v2
	v_mbcnt_lo_u32_b32 v2, -1, 0
	v_mbcnt_hi_u32_b32 v2, -1, v2
	s_add_u32 s48, s34, 63
	v_pk_mov_b32 v[90:91], 0, 0
	v_lshlrev_b32_e32 v2, 2, v2
	s_mov_b32 s12, 0
	s_addc_u32 s49, 0, 0
	v_addc_co_u32_e32 v85, vcc, v8, v3, vcc
	v_and_b32_e32 v96, 0x100, v2
	v_pk_mov_b32 v[50:51], v[90:91], v[90:91] op_sel:[0,1]
	s_mov_b64 s[50:51], s[34:35]
.LBB32_3:                               ; =>This Inner Loop Header: Depth=1
	v_pk_mov_b32 v[2:3], s[36:37], s[36:37] op_sel:[0,1]
	v_cmp_ge_i64_e32 vcc, s[48:49], v[2:3]
	v_mov_b32_e32 v2, s49
	v_add_co_u32_e64 v97, s[8:9], s48, v52
	v_addc_co_u32_e64 v98, s[8:9], 0, v2, s[8:9]
	s_cbranch_vccz .LBB32_25
; %bb.4:                                ;   in Loop: Header=BB32_3 Depth=1
	s_load_dword s8, s[44:45], 0xc
	v_pk_mov_b32 v[94:95], 0, 0
	v_pk_mov_b32 v[92:93], v[94:95], v[94:95] op_sel:[0,1]
	s_waitcnt lgkmcnt(0)
	s_and_b32 s8, s8, 0xffff
	v_mad_u32_u24 v2, v89, s8, v87
	v_and_b32_e32 v2, 63, v2
	v_cmp_gt_u32_e32 vcc, 8, v2
	s_and_saveexec_b64 s[8:9], vcc
	s_cbranch_execz .LBB32_8
; %bb.5:                                ;   in Loop: Header=BB32_3 Depth=1
	v_add_co_u32_e32 v2, vcc, v97, v2
	v_addc_co_u32_e32 v3, vcc, 0, v98, vcc
	v_add_co_u32_e32 v2, vcc, 0xffffffc1, v2
	v_addc_co_u32_e32 v3, vcc, -1, v3, vcc
	v_pk_mov_b32 v[92:93], 0, 0
	v_cmp_gt_i64_e32 vcc, s[36:37], v[2:3]
	v_pk_mov_b32 v[94:95], v[92:93], v[92:93] op_sel:[0,1]
	s_and_saveexec_b64 s[14:15], vcc
	s_cbranch_execz .LBB32_7
; %bb.6:                                ;   in Loop: Header=BB32_3 Depth=1
	v_lshlrev_b64 v[2:3], 3, v[2:3]
	v_mov_b32_e32 v5, s31
	v_add_co_u32_e32 v6, vcc, s30, v2
	v_addc_co_u32_e32 v7, vcc, v5, v3, vcc
	v_mov_b32_e32 v5, s29
	v_add_co_u32_e32 v2, vcc, s28, v2
	v_addc_co_u32_e32 v3, vcc, v5, v3, vcc
	global_load_dwordx2 v[92:93], v[2:3], off
	global_load_dwordx2 v[94:95], v[6:7], off
.LBB32_7:                               ;   in Loop: Header=BB32_3 Depth=1
	s_or_b64 exec, exec, s[14:15]
.LBB32_8:                               ;   in Loop: Header=BB32_3 Depth=1
	s_or_b64 exec, exec, s[8:9]
	v_add_co_u32_e32 v2, vcc, 0xffffffc1, v97
	s_mov_b32 s26, s12
	s_mov_b32 s27, s12
	v_addc_co_u32_e32 v3, vcc, -1, v98, vcc
	s_mov_b32 s13, s12
	s_mov_b32 s14, s12
	;; [unrolled: 1-line block ×13, first 2 shown]
	v_pk_mov_b32 v[32:33], s[26:27], s[26:27] op_sel:[0,1]
	v_cmp_gt_i64_e32 vcc, s[36:37], v[2:3]
	v_pk_mov_b32 v[30:31], s[24:25], s[24:25] op_sel:[0,1]
	v_pk_mov_b32 v[28:29], s[22:23], s[22:23] op_sel:[0,1]
	;; [unrolled: 1-line block ×8, first 2 shown]
	s_and_b64 s[52:53], s[2:3], vcc
	v_pk_mov_b32 v[46:47], v[30:31], v[30:31] op_sel:[0,1]
	v_pk_mov_b32 v[44:45], v[28:29], v[28:29] op_sel:[0,1]
	;; [unrolled: 1-line block ×7, first 2 shown]
	s_and_saveexec_b64 s[8:9], s[52:53]
	s_cbranch_execz .LBB32_10
; %bb.9:                                ;   in Loop: Header=BB32_3 Depth=1
	v_add_co_u32_e32 v2, vcc, v86, v54
	v_addc_co_u32_e32 v3, vcc, v83, v55, vcc
	v_add_co_u32_e32 v6, vcc, v88, v54
	global_load_dwordx2 v[2:3], v[2:3], off
	v_addc_co_u32_e32 v7, vcc, v85, v55, vcc
	global_load_dwordx2 v[18:19], v[6:7], off
	v_mov_b32_e32 v16, v4
	v_mov_b32_e32 v17, v4
	;; [unrolled: 1-line block ×13, first 2 shown]
	s_waitcnt vmcnt(1)
	v_pk_mov_b32 v[48:49], v[16:17], v[16:17] op_sel:[0,1]
	v_mov_b32_e32 v20, v4
	v_mov_b32_e32 v21, v4
	;; [unrolled: 1-line block ×14, first 2 shown]
	v_pk_mov_b32 v[46:47], v[14:15], v[14:15] op_sel:[0,1]
	v_pk_mov_b32 v[44:45], v[12:13], v[12:13] op_sel:[0,1]
	;; [unrolled: 1-line block ×7, first 2 shown]
.LBB32_10:                              ;   in Loop: Header=BB32_3 Depth=1
	s_or_b64 exec, exec, s[8:9]
	v_add_co_u32_e32 v2, vcc, 0xffffffc2, v97
	v_addc_co_u32_e32 v3, vcc, -1, v98, vcc
	v_cmp_gt_i64_e32 vcc, s[36:37], v[2:3]
	s_and_b64 s[14:15], s[2:3], vcc
	s_and_saveexec_b64 s[8:9], s[14:15]
	s_cbranch_execz .LBB32_12
; %bb.11:                               ;   in Loop: Header=BB32_3 Depth=1
	v_add_co_u32_e32 v2, vcc, v82, v54
	v_addc_co_u32_e32 v3, vcc, v79, v55, vcc
	global_load_dwordx2 v[36:37], v[2:3], off
	v_add_co_u32_e32 v2, vcc, v84, v54
	v_addc_co_u32_e32 v3, vcc, v81, v55, vcc
	global_load_dwordx2 v[20:21], v[2:3], off
.LBB32_12:                              ;   in Loop: Header=BB32_3 Depth=1
	s_or_b64 exec, exec, s[8:9]
	v_add_co_u32_e32 v2, vcc, 0xffffffc3, v97
	v_addc_co_u32_e32 v3, vcc, -1, v98, vcc
	v_cmp_gt_i64_e32 vcc, s[36:37], v[2:3]
	s_and_b64 s[14:15], s[2:3], vcc
	s_and_saveexec_b64 s[8:9], s[14:15]
	s_cbranch_execz .LBB32_14
; %bb.13:                               ;   in Loop: Header=BB32_3 Depth=1
	v_add_co_u32_e32 v2, vcc, v78, v54
	v_addc_co_u32_e32 v3, vcc, v75, v55, vcc
	global_load_dwordx2 v[38:39], v[2:3], off
	v_add_co_u32_e32 v2, vcc, v80, v54
	v_addc_co_u32_e32 v3, vcc, v77, v55, vcc
	global_load_dwordx2 v[22:23], v[2:3], off
.LBB32_14:                              ;   in Loop: Header=BB32_3 Depth=1
	;; [unrolled: 15-line block ×7, first 2 shown]
	s_or_b64 exec, exec, s[8:9]
	s_waitcnt vmcnt(1)
	ds_bpermute_b32 v2, v96, v92
	ds_bpermute_b32 v3, v96, v93
	s_waitcnt vmcnt(0)
	ds_bpermute_b32 v6, v96, v94
	ds_bpermute_b32 v7, v96, v95
	ds_bpermute_b32 v8, v96, v92 offset:4
	ds_bpermute_b32 v9, v96, v93 offset:4
	s_waitcnt lgkmcnt(4)
	v_add_f64 v[2:3], v[18:19], -v[2:3]
	v_mul_f64 v[2:3], v[34:35], v[2:3]
	s_waitcnt lgkmcnt(2)
	v_fma_f64 v[56:57], v[2:3], v[6:7], v[90:91]
	ds_bpermute_b32 v6, v96, v94 offset:4
	ds_bpermute_b32 v7, v96, v95 offset:4
	;; [unrolled: 1-line block ×4, first 2 shown]
	s_waitcnt lgkmcnt(4)
	v_add_f64 v[8:9], v[20:21], -v[8:9]
	v_mul_f64 v[8:9], v[36:37], v[8:9]
	s_waitcnt lgkmcnt(2)
	v_fmac_f64_e32 v[56:57], v[8:9], v[6:7]
	ds_bpermute_b32 v6, v96, v94 offset:8
	ds_bpermute_b32 v7, v96, v95 offset:8
	s_waitcnt lgkmcnt(2)
	v_add_f64 v[8:9], v[22:23], -v[10:11]
	ds_bpermute_b32 v10, v96, v92 offset:12
	ds_bpermute_b32 v11, v96, v93 offset:12
	v_mul_f64 v[8:9], v[38:39], v[8:9]
	s_waitcnt lgkmcnt(2)
	v_fmac_f64_e32 v[56:57], v[8:9], v[6:7]
	ds_bpermute_b32 v6, v96, v94 offset:12
	ds_bpermute_b32 v7, v96, v95 offset:12
	s_waitcnt lgkmcnt(2)
	v_add_f64 v[8:9], v[24:25], -v[10:11]
	ds_bpermute_b32 v10, v96, v92 offset:16
	ds_bpermute_b32 v11, v96, v93 offset:16
	;; [unrolled: 9-line block ×3, first 2 shown]
	v_mul_f64 v[8:9], v[42:43], v[8:9]
	v_add_f64 v[2:3], v[50:51], v[34:35]
	s_waitcnt lgkmcnt(2)
	v_fmac_f64_e32 v[56:57], v[8:9], v[6:7]
	ds_bpermute_b32 v6, v96, v94 offset:20
	ds_bpermute_b32 v7, v96, v95 offset:20
	v_add_f64 v[2:3], v[36:37], v[2:3]
	v_add_f64 v[2:3], v[38:39], v[2:3]
	s_waitcnt lgkmcnt(2)
	v_add_f64 v[8:9], v[28:29], -v[10:11]
	ds_bpermute_b32 v10, v96, v92 offset:24
	ds_bpermute_b32 v11, v96, v93 offset:24
	v_add_f64 v[2:3], v[40:41], v[2:3]
	v_add_f64 v[2:3], v[42:43], v[2:3]
	v_mul_f64 v[8:9], v[44:45], v[8:9]
	ds_bpermute_b32 v12, v96, v94 offset:24
	ds_bpermute_b32 v13, v96, v95 offset:24
	s_waitcnt lgkmcnt(4)
	v_fmac_f64_e32 v[56:57], v[8:9], v[6:7]
	v_add_f64 v[8:9], v[44:45], v[2:3]
	ds_bpermute_b32 v2, v96, v94 offset:28
	ds_bpermute_b32 v3, v96, v95 offset:28
	;; [unrolled: 1-line block ×4, first 2 shown]
	s_waitcnt lgkmcnt(6)
	v_add_f64 v[10:11], v[30:31], -v[10:11]
	v_mul_f64 v[10:11], v[46:47], v[10:11]
	s_waitcnt lgkmcnt(4)
	v_fmac_f64_e32 v[56:57], v[10:11], v[12:13]
	v_add_f64 v[8:9], v[46:47], v[8:9]
	s_branch .LBB32_40
.LBB32_25:                              ;   in Loop: Header=BB32_3 Depth=1
                                        ; implicit-def: $vgpr2_vgpr3
                                        ; implicit-def: $vgpr18_vgpr19_vgpr20_vgpr21_vgpr22_vgpr23_vgpr24_vgpr25_vgpr26_vgpr27_vgpr28_vgpr29_vgpr30_vgpr31_vgpr32_vgpr33
                                        ; implicit-def: $vgpr34_vgpr35_vgpr36_vgpr37_vgpr38_vgpr39_vgpr40_vgpr41_vgpr42_vgpr43_vgpr44_vgpr45_vgpr46_vgpr47_vgpr48_vgpr49
                                        ; implicit-def: $vgpr6
                                        ; implicit-def: $vgpr8_vgpr9
                                        ; implicit-def: $vgpr56_vgpr57
	s_cbranch_execz .LBB32_40
; %bb.26:                               ;   in Loop: Header=BB32_3 Depth=1
	s_load_dword s8, s[44:45], 0x0
	v_pk_mov_b32 v[92:93], 0, 0
	v_pk_mov_b32 v[56:57], v[92:93], v[92:93] op_sel:[0,1]
	s_waitcnt lgkmcnt(0)
	s_cmp_lt_u32 s6, s8
	s_cselect_b32 s8, 12, 18
	s_add_u32 s8, s44, s8
	s_addc_u32 s9, s45, 0
	global_load_ushort v2, v4, s[8:9]
	s_waitcnt vmcnt(0)
	v_mad_u32_u24 v2, v89, v2, v87
	v_and_b32_e32 v2, 63, v2
	v_cmp_gt_u32_e32 vcc, 8, v2
	s_and_saveexec_b64 s[8:9], vcc
	s_cbranch_execz .LBB32_30
; %bb.27:                               ;   in Loop: Header=BB32_3 Depth=1
	v_add_co_u32_e32 v2, vcc, v97, v2
	v_addc_co_u32_e32 v3, vcc, 0, v98, vcc
	v_add_co_u32_e32 v2, vcc, 0xffffffc1, v2
	v_addc_co_u32_e32 v3, vcc, -1, v3, vcc
	v_pk_mov_b32 v[56:57], 0, 0
	v_cmp_gt_i64_e32 vcc, s[36:37], v[2:3]
	v_pk_mov_b32 v[92:93], v[56:57], v[56:57] op_sel:[0,1]
	s_and_saveexec_b64 s[14:15], vcc
	s_cbranch_execz .LBB32_29
; %bb.28:                               ;   in Loop: Header=BB32_3 Depth=1
	v_lshlrev_b64 v[2:3], 3, v[2:3]
	v_mov_b32_e32 v5, s31
	v_add_co_u32_e32 v6, vcc, s30, v2
	v_addc_co_u32_e32 v7, vcc, v5, v3, vcc
	v_mov_b32_e32 v5, s29
	v_add_co_u32_e32 v2, vcc, s28, v2
	v_addc_co_u32_e32 v3, vcc, v5, v3, vcc
	global_load_dwordx2 v[56:57], v[2:3], off
	global_load_dwordx2 v[92:93], v[6:7], off
.LBB32_29:                              ;   in Loop: Header=BB32_3 Depth=1
	s_or_b64 exec, exec, s[14:15]
.LBB32_30:                              ;   in Loop: Header=BB32_3 Depth=1
	s_or_b64 exec, exec, s[8:9]
	s_mov_b32 s26, s12
	s_mov_b32 s27, s12
	;; [unrolled: 1-line block ×15, first 2 shown]
	v_pk_mov_b32 v[32:33], s[26:27], s[26:27] op_sel:[0,1]
	v_pk_mov_b32 v[30:31], s[24:25], s[24:25] op_sel:[0,1]
	;; [unrolled: 1-line block ×16, first 2 shown]
	s_and_saveexec_b64 s[8:9], s[2:3]
	s_cbranch_execnz .LBB32_42
; %bb.31:                               ;   in Loop: Header=BB32_3 Depth=1
	s_or_b64 exec, exec, s[8:9]
	s_and_saveexec_b64 s[8:9], s[2:3]
	s_cbranch_execnz .LBB32_43
.LBB32_32:                              ;   in Loop: Header=BB32_3 Depth=1
	s_or_b64 exec, exec, s[8:9]
	s_and_saveexec_b64 s[8:9], s[2:3]
	s_cbranch_execnz .LBB32_44
.LBB32_33:                              ;   in Loop: Header=BB32_3 Depth=1
	s_or_b64 exec, exec, s[8:9]
	s_and_saveexec_b64 s[8:9], s[2:3]
	s_cbranch_execnz .LBB32_45
.LBB32_34:                              ;   in Loop: Header=BB32_3 Depth=1
	s_or_b64 exec, exec, s[8:9]
	s_and_saveexec_b64 s[8:9], s[2:3]
	s_cbranch_execnz .LBB32_46
.LBB32_35:                              ;   in Loop: Header=BB32_3 Depth=1
	s_or_b64 exec, exec, s[8:9]
	s_and_saveexec_b64 s[8:9], s[2:3]
	s_cbranch_execnz .LBB32_47
.LBB32_36:                              ;   in Loop: Header=BB32_3 Depth=1
	s_or_b64 exec, exec, s[8:9]
	s_and_saveexec_b64 s[8:9], s[2:3]
	s_cbranch_execnz .LBB32_48
.LBB32_37:                              ;   in Loop: Header=BB32_3 Depth=1
	s_or_b64 exec, exec, s[8:9]
	s_and_saveexec_b64 s[8:9], s[2:3]
	s_cbranch_execz .LBB32_39
.LBB32_38:                              ;   in Loop: Header=BB32_3 Depth=1
	v_add_co_u32_e32 v2, vcc, v58, v54
	v_addc_co_u32_e32 v3, vcc, v1, v55, vcc
	global_load_dwordx2 v[48:49], v[2:3], off
	v_add_co_u32_e32 v2, vcc, v60, v54
	v_addc_co_u32_e32 v3, vcc, v53, v55, vcc
	global_load_dwordx2 v[32:33], v[2:3], off
.LBB32_39:                              ;   in Loop: Header=BB32_3 Depth=1
	s_or_b64 exec, exec, s[8:9]
	s_waitcnt vmcnt(1)
	ds_bpermute_b32 v2, v96, v56
	ds_bpermute_b32 v3, v96, v57
	s_waitcnt vmcnt(0)
	ds_bpermute_b32 v6, v96, v92
	ds_bpermute_b32 v7, v96, v93
	ds_bpermute_b32 v8, v96, v56 offset:4
	ds_bpermute_b32 v9, v96, v57 offset:4
	s_waitcnt lgkmcnt(4)
	v_add_f64 v[2:3], v[18:19], -v[2:3]
	v_mul_f64 v[2:3], v[34:35], v[2:3]
	s_waitcnt lgkmcnt(2)
	v_fmac_f64_e32 v[90:91], v[2:3], v[6:7]
	ds_bpermute_b32 v6, v96, v92 offset:4
	ds_bpermute_b32 v7, v96, v93 offset:4
	ds_bpermute_b32 v10, v96, v56 offset:8
	ds_bpermute_b32 v11, v96, v57 offset:8
	s_waitcnt lgkmcnt(4)
	v_add_f64 v[8:9], v[20:21], -v[8:9]
	v_mul_f64 v[8:9], v[36:37], v[8:9]
	s_waitcnt lgkmcnt(2)
	v_fmac_f64_e32 v[90:91], v[8:9], v[6:7]
	ds_bpermute_b32 v6, v96, v92 offset:8
	ds_bpermute_b32 v7, v96, v93 offset:8
	s_waitcnt lgkmcnt(2)
	v_add_f64 v[8:9], v[22:23], -v[10:11]
	ds_bpermute_b32 v10, v96, v56 offset:12
	ds_bpermute_b32 v11, v96, v57 offset:12
	v_mul_f64 v[8:9], v[38:39], v[8:9]
	s_waitcnt lgkmcnt(2)
	v_fmac_f64_e32 v[90:91], v[8:9], v[6:7]
	ds_bpermute_b32 v6, v96, v92 offset:12
	ds_bpermute_b32 v7, v96, v93 offset:12
	s_waitcnt lgkmcnt(2)
	v_add_f64 v[8:9], v[24:25], -v[10:11]
	ds_bpermute_b32 v10, v96, v56 offset:16
	ds_bpermute_b32 v11, v96, v57 offset:16
	;; [unrolled: 9-line block ×4, first 2 shown]
	v_add_f64 v[2:3], v[50:51], v[34:35]
	ds_bpermute_b32 v12, v96, v92 offset:24
	ds_bpermute_b32 v13, v96, v93 offset:24
	v_add_f64 v[2:3], v[36:37], v[2:3]
	v_add_f64 v[2:3], v[38:39], v[2:3]
	;; [unrolled: 1-line block ×3, first 2 shown]
	v_mul_f64 v[8:9], v[44:45], v[8:9]
	s_waitcnt lgkmcnt(2)
	v_add_f64 v[10:11], v[30:31], -v[10:11]
	v_add_f64 v[2:3], v[42:43], v[2:3]
	v_fmac_f64_e32 v[90:91], v[8:9], v[6:7]
	v_mul_f64 v[10:11], v[46:47], v[10:11]
	v_add_f64 v[8:9], v[44:45], v[2:3]
	s_waitcnt lgkmcnt(0)
	v_fmac_f64_e32 v[90:91], v[10:11], v[12:13]
	ds_bpermute_b32 v2, v96, v92 offset:28
	ds_bpermute_b32 v3, v96, v93 offset:28
	;; [unrolled: 1-line block ×4, first 2 shown]
	v_add_f64 v[8:9], v[46:47], v[8:9]
	v_pk_mov_b32 v[56:57], v[90:91], v[90:91] op_sel:[0,1]
.LBB32_40:                              ;   in Loop: Header=BB32_3 Depth=1
	s_waitcnt lgkmcnt(0)
	v_add_f64 v[6:7], v[32:33], -v[6:7]
	v_mul_f64 v[6:7], v[48:49], v[6:7]
	v_fmac_f64_e32 v[56:57], v[6:7], v[2:3]
	v_mov_b32_e32 v2, s47
	v_add_co_u32_e32 v58, vcc, s46, v58
	v_addc_co_u32_e32 v1, vcc, v1, v2, vcc
	v_add_co_u32_e32 v60, vcc, s46, v60
	v_addc_co_u32_e32 v53, vcc, v53, v2, vcc
	;; [unrolled: 2-line block ×15, first 2 shown]
	s_add_u32 s50, s50, s7
	v_add_co_u32_e32 v88, vcc, s46, v88
	s_addc_u32 s51, s51, 0
	v_addc_co_u32_e32 v85, vcc, v85, v2, vcc
	v_pk_mov_b32 v[2:3], s[36:37], s[36:37] op_sel:[0,1]
	s_add_u32 s48, s48, s7
	v_cmp_lt_i64_e32 vcc, s[50:51], v[2:3]
	v_add_f64 v[50:51], v[8:9], v[48:49]
	s_addc_u32 s49, s49, 0
	s_cbranch_vccz .LBB32_50
; %bb.41:                               ;   in Loop: Header=BB32_3 Depth=1
	v_pk_mov_b32 v[90:91], v[56:57], v[56:57] op_sel:[0,1]
	s_branch .LBB32_3
.LBB32_42:                              ;   in Loop: Header=BB32_3 Depth=1
	v_add_co_u32_e32 v2, vcc, v86, v54
	v_addc_co_u32_e32 v3, vcc, v83, v55, vcc
	v_add_co_u32_e32 v6, vcc, v88, v54
	global_load_dwordx2 v[2:3], v[2:3], off
	v_addc_co_u32_e32 v7, vcc, v85, v55, vcc
	global_load_dwordx2 v[18:19], v[6:7], off
	v_mov_b32_e32 v16, v4
	v_mov_b32_e32 v17, v4
	;; [unrolled: 1-line block ×13, first 2 shown]
	s_waitcnt vmcnt(1)
	v_pk_mov_b32 v[48:49], v[16:17], v[16:17] op_sel:[0,1]
	v_mov_b32_e32 v20, v4
	v_mov_b32_e32 v21, v4
	;; [unrolled: 1-line block ×14, first 2 shown]
	v_pk_mov_b32 v[46:47], v[14:15], v[14:15] op_sel:[0,1]
	v_pk_mov_b32 v[44:45], v[12:13], v[12:13] op_sel:[0,1]
	;; [unrolled: 1-line block ×7, first 2 shown]
	s_or_b64 exec, exec, s[8:9]
	s_and_saveexec_b64 s[8:9], s[2:3]
	s_cbranch_execz .LBB32_32
.LBB32_43:                              ;   in Loop: Header=BB32_3 Depth=1
	v_add_co_u32_e32 v2, vcc, v82, v54
	v_addc_co_u32_e32 v3, vcc, v79, v55, vcc
	global_load_dwordx2 v[36:37], v[2:3], off
	v_add_co_u32_e32 v2, vcc, v84, v54
	v_addc_co_u32_e32 v3, vcc, v81, v55, vcc
	global_load_dwordx2 v[20:21], v[2:3], off
	s_or_b64 exec, exec, s[8:9]
	s_and_saveexec_b64 s[8:9], s[2:3]
	s_cbranch_execz .LBB32_33
.LBB32_44:                              ;   in Loop: Header=BB32_3 Depth=1
	v_add_co_u32_e32 v2, vcc, v78, v54
	v_addc_co_u32_e32 v3, vcc, v75, v55, vcc
	global_load_dwordx2 v[38:39], v[2:3], off
	v_add_co_u32_e32 v2, vcc, v80, v54
	v_addc_co_u32_e32 v3, vcc, v77, v55, vcc
	global_load_dwordx2 v[22:23], v[2:3], off
	s_or_b64 exec, exec, s[8:9]
	s_and_saveexec_b64 s[8:9], s[2:3]
	s_cbranch_execz .LBB32_34
.LBB32_45:                              ;   in Loop: Header=BB32_3 Depth=1
	v_add_co_u32_e32 v2, vcc, v74, v54
	v_addc_co_u32_e32 v3, vcc, v71, v55, vcc
	global_load_dwordx2 v[40:41], v[2:3], off
	v_add_co_u32_e32 v2, vcc, v76, v54
	v_addc_co_u32_e32 v3, vcc, v73, v55, vcc
	global_load_dwordx2 v[24:25], v[2:3], off
	s_or_b64 exec, exec, s[8:9]
	s_and_saveexec_b64 s[8:9], s[2:3]
	s_cbranch_execz .LBB32_35
.LBB32_46:                              ;   in Loop: Header=BB32_3 Depth=1
	v_add_co_u32_e32 v2, vcc, v70, v54
	v_addc_co_u32_e32 v3, vcc, v67, v55, vcc
	global_load_dwordx2 v[42:43], v[2:3], off
	v_add_co_u32_e32 v2, vcc, v72, v54
	v_addc_co_u32_e32 v3, vcc, v69, v55, vcc
	global_load_dwordx2 v[26:27], v[2:3], off
	s_or_b64 exec, exec, s[8:9]
	s_and_saveexec_b64 s[8:9], s[2:3]
	s_cbranch_execz .LBB32_36
.LBB32_47:                              ;   in Loop: Header=BB32_3 Depth=1
	v_add_co_u32_e32 v2, vcc, v66, v54
	v_addc_co_u32_e32 v3, vcc, v63, v55, vcc
	global_load_dwordx2 v[44:45], v[2:3], off
	v_add_co_u32_e32 v2, vcc, v68, v54
	v_addc_co_u32_e32 v3, vcc, v65, v55, vcc
	global_load_dwordx2 v[28:29], v[2:3], off
	s_or_b64 exec, exec, s[8:9]
	s_and_saveexec_b64 s[8:9], s[2:3]
	s_cbranch_execz .LBB32_37
.LBB32_48:                              ;   in Loop: Header=BB32_3 Depth=1
	v_add_co_u32_e32 v2, vcc, v62, v54
	v_addc_co_u32_e32 v3, vcc, v59, v55, vcc
	global_load_dwordx2 v[46:47], v[2:3], off
	v_add_co_u32_e32 v2, vcc, v64, v54
	v_addc_co_u32_e32 v3, vcc, v61, v55, vcc
	global_load_dwordx2 v[30:31], v[2:3], off
	s_or_b64 exec, exec, s[8:9]
	s_and_saveexec_b64 s[8:9], s[2:3]
	s_cbranch_execnz .LBB32_38
	s_branch .LBB32_39
.LBB32_49:
	s_mov_b64 s[10:11], -1
                                        ; implicit-def: $vgpr50_vgpr51
                                        ; implicit-def: $vgpr56_vgpr57
.LBB32_50:
	s_andn2_b64 vcc, exec, s[10:11]
	s_cbranch_vccnz .LBB32_82
; %bb.51:
	v_pk_mov_b32 v[50:51], 0, 0
	s_and_b64 vcc, exec, s[0:1]
	v_pk_mov_b32 v[56:57], v[50:51], v[50:51] op_sel:[0,1]
	s_cbranch_vccnz .LBB32_82
; %bb.52:
	s_load_dword s0, s[4:5], 0x44
	s_add_u32 s2, s4, 64
	s_addc_u32 s3, s5, 0
	v_bfe_u32 v101, v0, 10, 10
	v_lshlrev_b32_e32 v1, 6, v101
	s_waitcnt lgkmcnt(0)
	s_lshl_b32 s7, s0, 6
	s_add_u32 s24, s34, 63
	s_addc_u32 s25, 0, 0
	s_lshl_b64 s[0:1], s[34:35], 3
	v_mov_b32_e32 v2, s1
	v_add_co_u32_e32 v1, vcc, s0, v1
	v_addc_co_u32_e32 v4, vcc, 0, v2, vcc
	v_add_co_u32_e32 v6, vcc, 8, v1
	v_addc_co_u32_e32 v5, vcc, 0, v4, vcc
	v_add_co_u32_e32 v9, vcc, 16, v1
	v_mul_lo_u32 v7, s38, v5
	v_addc_co_u32_e32 v5, vcc, 0, v4, vcc
	v_add_co_u32_e32 v12, vcc, 24, v1
	v_mul_lo_u32 v10, s38, v5
	;; [unrolled: 3-line block ×5, first 2 shown]
	v_addc_co_u32_e32 v5, vcc, 0, v4, vcc
	v_add_co_u32_e32 v24, vcc, 56, v1
	v_lshlrev_b32_e32 v38, 3, v101
	v_addc_co_u32_e32 v1, vcc, 0, v4, vcc
	v_mul_lo_u32 v25, s38, v1
	v_mov_b32_e32 v1, s35
	v_add_co_u32_e32 v27, vcc, s34, v38
	v_pk_mov_b32 v[2:3], s[40:41], s[40:41] op_sel:[0,1]
	v_addc_co_u32_e32 v28, vcc, 0, v1, vcc
	v_mad_u64_u32 v[40:41], s[0:1], s38, v6, v[2:3]
	v_mad_u64_u32 v[42:43], s[0:1], s38, v9, v[2:3]
	;; [unrolled: 1-line block ×7, first 2 shown]
	v_mul_lo_u32 v29, s39, v27
	v_mul_lo_u32 v30, s38, v28
	v_mad_u64_u32 v[2:3], s[0:1], s38, v27, 0
	v_add3_u32 v3, v3, v30, v29
	v_lshlrev_b64 v[2:3], 3, v[2:3]
	v_mul_lo_u32 v22, s38, v5
	v_mov_b32_e32 v31, s41
	v_add_co_u32_e32 v58, vcc, s40, v2
	v_pk_mov_b32 v[4:5], s[42:43], s[42:43] op_sel:[0,1]
	v_mul_lo_u32 v17, s39, v15
	v_addc_co_u32_e32 v1, vcc, v31, v3, vcc
	v_mad_u64_u32 v[66:67], s[0:1], s38, v15, v[4:5]
	v_add3_u32 v47, v17, v47, v16
	v_add3_u32 v67, v17, v67, v16
	v_mov_b32_e32 v16, s43
	v_add_co_u32_e32 v74, vcc, s42, v2
	v_addc_co_u32_e32 v39, vcc, v16, v3, vcc
	v_add_co_u32_e32 v2, vcc, 7, v27
	v_addc_co_u32_e32 v3, vcc, 0, v28, vcc
	v_mad_u64_u32 v[60:61], s[0:1], s38, v6, v[4:5]
	v_mad_u64_u32 v[62:63], s[0:1], s38, v9, v[4:5]
	;; [unrolled: 1-line block ×6, first 2 shown]
	v_mul_lo_u32 v4, s39, v2
	v_mul_lo_u32 v5, s38, v3
	v_mad_u64_u32 v[2:3], s[0:1], s38, v2, 0
	v_add3_u32 v3, v3, v5, v4
	v_add_co_u32_e32 v4, vcc, 6, v27
	v_mul_lo_u32 v8, s39, v6
	v_addc_co_u32_e32 v5, vcc, 0, v28, vcc
	v_add3_u32 v41, v8, v41, v7
	v_add3_u32 v61, v8, v61, v7
	v_mul_lo_u32 v6, s39, v4
	v_mul_lo_u32 v7, s38, v5
	v_mad_u64_u32 v[4:5], s[0:1], s38, v4, 0
	v_add3_u32 v5, v5, v7, v6
	v_add_co_u32_e32 v6, vcc, 5, v27
	v_addc_co_u32_e32 v7, vcc, 0, v28, vcc
	v_mul_lo_u32 v11, s39, v9
	v_mul_lo_u32 v8, s39, v6
	;; [unrolled: 1-line block ×3, first 2 shown]
	v_mad_u64_u32 v[6:7], s[0:1], s38, v6, 0
	v_add3_u32 v7, v7, v9, v8
	v_add_co_u32_e32 v8, vcc, 4, v27
	v_addc_co_u32_e32 v9, vcc, 0, v28, vcc
	v_add3_u32 v43, v11, v43, v10
	v_add3_u32 v63, v11, v63, v10
	v_mul_lo_u32 v10, s39, v8
	v_mul_lo_u32 v11, s38, v9
	v_mad_u64_u32 v[8:9], s[0:1], s38, v8, 0
	v_add3_u32 v9, v9, v11, v10
	v_add_co_u32_e32 v10, vcc, 3, v27
	v_mul_lo_u32 v14, s39, v12
	v_addc_co_u32_e32 v11, vcc, 0, v28, vcc
	v_add3_u32 v45, v14, v45, v13
	v_add3_u32 v65, v14, v65, v13
	v_mul_lo_u32 v12, s39, v10
	v_mul_lo_u32 v13, s38, v11
	v_mad_u64_u32 v[10:11], s[0:1], s38, v10, 0
	v_add3_u32 v11, v11, v13, v12
	v_add_co_u32_e32 v12, vcc, 2, v27
	v_lshlrev_b64 v[2:3], 3, v[2:3]
	v_addc_co_u32_e32 v13, vcc, 0, v28, vcc
	v_add_co_u32_e32 v76, vcc, s40, v2
	v_addc_co_u32_e32 v59, vcc, v31, v3, vcc
	v_add_co_u32_e32 v78, vcc, s42, v2
	v_addc_co_u32_e32 v75, vcc, v16, v3, vcc
	v_lshlrev_b64 v[2:3], 3, v[4:5]
	v_add_co_u32_e32 v80, vcc, s40, v2
	v_addc_co_u32_e32 v77, vcc, v31, v3, vcc
	v_add_co_u32_e32 v82, vcc, s42, v2
	v_addc_co_u32_e32 v79, vcc, v16, v3, vcc
	v_lshlrev_b64 v[2:3], 3, v[6:7]
	;; [unrolled: 5-line block ×4, first 2 shown]
	v_add_co_u32_e32 v92, vcc, s40, v2
	v_mul_lo_u32 v14, s39, v12
	v_mul_lo_u32 v15, s38, v13
	v_mad_u64_u32 v[12:13], s[0:1], s38, v12, 0
	v_addc_co_u32_e32 v89, vcc, v31, v3, vcc
	v_add3_u32 v13, v13, v15, v14
	v_add_co_u32_e32 v94, vcc, s42, v2
	v_addc_co_u32_e32 v91, vcc, v16, v3, vcc
	v_lshlrev_b64 v[2:3], 3, v[12:13]
	v_pk_mov_b32 v[14:15], s[38:39], s[38:39] op_sel:[0,1]
	v_add_co_u32_e32 v96, vcc, s40, v2
	v_mad_u64_u32 v[14:15], s[0:1], s38, v27, v[14:15]
	v_addc_co_u32_e32 v93, vcc, v31, v3, vcc
	v_add3_u32 v15, v29, v15, v30
	v_add_co_u32_e32 v98, vcc, s42, v2
	v_addc_co_u32_e32 v95, vcc, v16, v3, vcc
	v_lshlrev_b64 v[2:3], 3, v[14:15]
	v_add_co_u32_e32 v100, vcc, s40, v2
	v_addc_co_u32_e32 v97, vcc, v31, v3, vcc
	v_add_co_u32_e32 v102, vcc, s42, v2
	v_and_b32_e32 v103, 0x3ff, v0
	v_mov_b32_e32 v4, 0
	v_addc_co_u32_e32 v99, vcc, v16, v3, vcc
	v_add_u32_e32 v2, s33, v103
	v_mov_b32_e32 v3, v4
	v_lshlrev_b64 v[104:105], 3, v[2:3]
	v_mbcnt_lo_u32_b32 v2, -1, 0
	s_mul_i32 s0, s39, s7
	s_mul_hi_u32 s1, s38, s7
	v_mbcnt_hi_u32_b32 v2, -1, v2
	v_mul_lo_u32 v20, s39, v18
	v_mul_lo_u32 v23, s39, v21
	;; [unrolled: 1-line block ×3, first 2 shown]
	s_add_i32 s1, s1, s0
	s_mul_i32 s0, s38, s7
	v_lshlrev_b32_e32 v2, 2, v2
	v_pk_mov_b32 v[56:57], 0, 0
	v_add3_u32 v49, v20, v49, v19
	v_add3_u32 v53, v23, v53, v22
	;; [unrolled: 1-line block ×6, first 2 shown]
	s_mov_b32 s8, 0
	s_lshl_b64 s[26:27], s[0:1], 3
	v_and_b32_e32 v110, 0x100, v2
	v_pk_mov_b32 v[50:51], v[56:57], v[56:57] op_sel:[0,1]
	s_branch .LBB32_56
.LBB32_53:                              ;   in Loop: Header=BB32_56 Depth=1
	s_or_b64 exec, exec, s[10:11]
.LBB32_54:                              ;   in Loop: Header=BB32_56 Depth=1
	s_or_b64 exec, exec, s[0:1]
	v_add_co_u32_e32 v8, vcc, v58, v104
	v_addc_co_u32_e32 v9, vcc, v1, v105, vcc
	v_add_co_u32_e32 v10, vcc, v74, v104
	v_addc_co_u32_e32 v11, vcc, v39, v105, vcc
	global_load_dwordx2 v[10:11], v[10:11], off
	v_add_co_u32_e32 v12, vcc, v40, v104
	v_addc_co_u32_e32 v13, vcc, v41, v105, vcc
	global_load_dwordx2 v[8:9], v[8:9], off
	;; [unrolled: 3-line block ×3, first 2 shown]
	global_load_dwordx2 v[18:19], v[12:13], off
	v_add_co_u32_e32 v12, vcc, v42, v104
	v_addc_co_u32_e32 v13, vcc, v43, v105, vcc
	v_add_co_u32_e32 v14, vcc, v62, v104
	v_addc_co_u32_e32 v15, vcc, v63, v105, vcc
	global_load_dwordx2 v[22:23], v[14:15], off
	global_load_dwordx2 v[24:25], v[12:13], off
	v_add_co_u32_e32 v12, vcc, v44, v104
	v_addc_co_u32_e32 v13, vcc, v45, v105, vcc
	v_add_co_u32_e32 v14, vcc, v64, v104
	v_addc_co_u32_e32 v15, vcc, v65, v105, vcc
	global_load_dwordx2 v[14:15], v[14:15], off
	v_add_co_u32_e32 v20, vcc, v46, v104
	v_addc_co_u32_e32 v21, vcc, v47, v105, vcc
	global_load_dwordx2 v[26:27], v[20:21], off
	v_add_co_u32_e32 v20, vcc, v66, v104
	global_load_dwordx2 v[12:13], v[12:13], off
	v_addc_co_u32_e32 v21, vcc, v67, v105, vcc
	global_load_dwordx2 v[28:29], v[20:21], off
	v_add_co_u32_e32 v20, vcc, v48, v104
	v_addc_co_u32_e32 v21, vcc, v49, v105, vcc
	global_load_dwordx2 v[30:31], v[20:21], off
	v_add_co_u32_e32 v20, vcc, v68, v104
	;; [unrolled: 3-line block ×5, first 2 shown]
	v_addc_co_u32_e32 v107, vcc, v55, v105, vcc
	v_add_co_u32_e32 v108, vcc, v72, v104
	v_addc_co_u32_e32 v109, vcc, v73, v105, vcc
	global_load_dwordx2 v[112:113], v[108:109], off
	global_load_dwordx2 v[20:21], v[106:107], off
	s_waitcnt vmcnt(17)
	ds_bpermute_b32 v106, v110, v6
	ds_bpermute_b32 v107, v110, v7
	s_waitcnt vmcnt(16)
	ds_bpermute_b32 v108, v110, v2
	ds_bpermute_b32 v109, v110, v3
	ds_bpermute_b32 v114, v110, v2 offset:4
	ds_bpermute_b32 v115, v110, v3 offset:4
	s_waitcnt vmcnt(15) lgkmcnt(4)
	v_add_f64 v[10:11], v[10:11], -v[106:107]
	ds_bpermute_b32 v106, v110, v6 offset:4
	ds_bpermute_b32 v107, v110, v7 offset:4
	s_waitcnt vmcnt(14)
	v_mul_f64 v[10:11], v[8:9], v[10:11]
	s_waitcnt lgkmcnt(4)
	v_fmac_f64_e32 v[56:57], v[10:11], v[108:109]
	v_add_f64 v[8:9], v[50:51], v[8:9]
	s_waitcnt vmcnt(13) lgkmcnt(0)
	v_add_f64 v[10:11], v[16:17], -v[106:107]
	ds_bpermute_b32 v16, v110, v6 offset:8
	ds_bpermute_b32 v17, v110, v7 offset:8
	;; [unrolled: 1-line block ×4, first 2 shown]
	s_waitcnt vmcnt(12)
	v_mul_f64 v[10:11], v[18:19], v[10:11]
	v_fmac_f64_e32 v[56:57], v[10:11], v[114:115]
	v_add_f64 v[8:9], v[8:9], v[18:19]
	s_waitcnt vmcnt(11) lgkmcnt(2)
	v_add_f64 v[10:11], v[22:23], -v[16:17]
	s_waitcnt vmcnt(10)
	v_mul_f64 v[10:11], v[24:25], v[10:11]
	s_waitcnt lgkmcnt(0)
	v_fmac_f64_e32 v[56:57], v[10:11], v[106:107]
	ds_bpermute_b32 v10, v110, v6 offset:12
	ds_bpermute_b32 v11, v110, v7 offset:12
	;; [unrolled: 1-line block ×4, first 2 shown]
	v_add_f64 v[8:9], v[8:9], v[24:25]
	s_waitcnt vmcnt(9) lgkmcnt(2)
	v_add_f64 v[10:11], v[14:15], -v[10:11]
	ds_bpermute_b32 v14, v110, v6 offset:16
	ds_bpermute_b32 v15, v110, v7 offset:16
	s_waitcnt vmcnt(7)
	v_mul_f64 v[10:11], v[12:13], v[10:11]
	s_waitcnt lgkmcnt(2)
	v_fmac_f64_e32 v[56:57], v[10:11], v[16:17]
	v_add_f64 v[8:9], v[8:9], v[12:13]
	ds_bpermute_b32 v10, v110, v2 offset:16
	ds_bpermute_b32 v11, v110, v3 offset:16
	s_waitcnt vmcnt(6) lgkmcnt(2)
	v_add_f64 v[12:13], v[28:29], -v[14:15]
	ds_bpermute_b32 v14, v110, v6 offset:20
	ds_bpermute_b32 v15, v110, v7 offset:20
	v_mul_f64 v[12:13], v[26:27], v[12:13]
	s_waitcnt lgkmcnt(2)
	v_fmac_f64_e32 v[56:57], v[12:13], v[10:11]
	ds_bpermute_b32 v10, v110, v2 offset:20
	ds_bpermute_b32 v11, v110, v3 offset:20
	v_add_f64 v[8:9], v[8:9], v[26:27]
	s_waitcnt vmcnt(4) lgkmcnt(2)
	v_add_f64 v[12:13], v[32:33], -v[14:15]
	ds_bpermute_b32 v14, v110, v6 offset:24
	ds_bpermute_b32 v15, v110, v7 offset:24
	v_mul_f64 v[12:13], v[30:31], v[12:13]
	s_waitcnt lgkmcnt(2)
	v_fmac_f64_e32 v[56:57], v[12:13], v[10:11]
	ds_bpermute_b32 v10, v110, v2 offset:24
	ds_bpermute_b32 v11, v110, v3 offset:24
	;; [unrolled: 1-line block ×4, first 2 shown]
	v_add_f64 v[8:9], v[8:9], v[30:31]
	s_waitcnt vmcnt(2) lgkmcnt(4)
	v_add_f64 v[12:13], v[36:37], -v[14:15]
	ds_bpermute_b32 v14, v110, v6 offset:28
	ds_bpermute_b32 v15, v110, v7 offset:28
	v_mul_f64 v[12:13], v[34:35], v[12:13]
	v_add_f64 v[6:7], v[8:9], v[34:35]
	s_waitcnt lgkmcnt(4)
	v_fmac_f64_e32 v[56:57], v[12:13], v[10:11]
	s_waitcnt vmcnt(1) lgkmcnt(0)
	v_add_f64 v[8:9], v[112:113], -v[14:15]
	s_waitcnt vmcnt(0)
	v_mul_f64 v[8:9], v[20:21], v[8:9]
	v_mul_f64 v[8:9], v[8:9], v[2:3]
	v_pk_mov_b32 v[2:3], v[56:57], v[56:57] op_sel:[0,1]
.LBB32_55:                              ;   in Loop: Header=BB32_56 Depth=1
	v_add_f64 v[56:57], v[2:3], v[8:9]
	v_mov_b32_e32 v2, s27
	v_add_co_u32_e32 v40, vcc, s26, v40
	v_addc_co_u32_e32 v41, vcc, v41, v2, vcc
	v_add_co_u32_e32 v42, vcc, s26, v42
	v_addc_co_u32_e32 v43, vcc, v43, v2, vcc
	;; [unrolled: 2-line block ×29, first 2 shown]
	s_add_u32 s34, s34, s7
	v_add_co_u32_e32 v102, vcc, s26, v102
	s_addc_u32 s35, s35, 0
	v_addc_co_u32_e32 v99, vcc, v99, v2, vcc
	v_pk_mov_b32 v[2:3], s[36:37], s[36:37] op_sel:[0,1]
	s_add_u32 s24, s24, s7
	v_cmp_ge_i64_e32 vcc, s[34:35], v[2:3]
	v_add_f64 v[50:51], v[6:7], v[20:21]
	s_addc_u32 s25, s25, 0
	s_cbranch_vccnz .LBB32_82
.LBB32_56:                              ; =>This Inner Loop Header: Depth=1
	v_pk_mov_b32 v[2:3], s[36:37], s[36:37] op_sel:[0,1]
	v_cmp_ge_i64_e32 vcc, s[24:25], v[2:3]
	v_mov_b32_e32 v2, s25
	v_add_co_u32_e64 v111, s[0:1], s24, v38
	v_addc_co_u32_e64 v112, s[0:1], 0, v2, s[0:1]
	s_cbranch_vccz .LBB32_78
; %bb.57:                               ;   in Loop: Header=BB32_56 Depth=1
	s_load_dword s0, s[2:3], 0xc
	v_pk_mov_b32 v[106:107], 0, 0
	v_pk_mov_b32 v[108:109], v[106:107], v[106:107] op_sel:[0,1]
	s_waitcnt lgkmcnt(0)
	s_and_b32 s0, s0, 0xffff
	v_mad_u32_u24 v2, v101, s0, v103
	v_and_b32_e32 v2, 63, v2
	v_cmp_gt_u32_e32 vcc, 8, v2
	s_and_saveexec_b64 s[0:1], vcc
	s_cbranch_execz .LBB32_61
; %bb.58:                               ;   in Loop: Header=BB32_56 Depth=1
	v_add_co_u32_e32 v2, vcc, v111, v2
	v_addc_co_u32_e32 v3, vcc, 0, v112, vcc
	v_add_co_u32_e32 v2, vcc, 0xffffffc1, v2
	v_addc_co_u32_e32 v3, vcc, -1, v3, vcc
	v_pk_mov_b32 v[108:109], 0, 0
	v_cmp_gt_i64_e32 vcc, s[36:37], v[2:3]
	v_pk_mov_b32 v[106:107], v[108:109], v[108:109] op_sel:[0,1]
	s_and_saveexec_b64 s[10:11], vcc
	s_cbranch_execz .LBB32_60
; %bb.59:                               ;   in Loop: Header=BB32_56 Depth=1
	v_lshlrev_b64 v[2:3], 3, v[2:3]
	v_mov_b32_e32 v5, s31
	v_add_co_u32_e32 v6, vcc, s30, v2
	v_addc_co_u32_e32 v7, vcc, v5, v3, vcc
	v_mov_b32_e32 v5, s29
	v_add_co_u32_e32 v2, vcc, s28, v2
	v_addc_co_u32_e32 v3, vcc, v5, v3, vcc
	global_load_dwordx2 v[108:109], v[2:3], off
	global_load_dwordx2 v[106:107], v[6:7], off
.LBB32_60:                              ;   in Loop: Header=BB32_56 Depth=1
	s_or_b64 exec, exec, s[10:11]
.LBB32_61:                              ;   in Loop: Header=BB32_56 Depth=1
	s_or_b64 exec, exec, s[0:1]
	s_mov_b32 s22, s8
	s_mov_b32 s23, s8
	s_mov_b32 s9, s8
	s_mov_b32 s10, s8
	s_mov_b32 s11, s8
	s_mov_b32 s12, s8
	s_mov_b32 s13, s8
	s_mov_b32 s14, s8
	s_mov_b32 s15, s8
	s_mov_b32 s16, s8
	s_mov_b32 s17, s8
	s_mov_b32 s18, s8
	s_mov_b32 s19, s8
	s_mov_b32 s20, s8
	s_mov_b32 s21, s8
	v_pk_mov_b32 v[36:37], s[22:23], s[22:23] op_sel:[0,1]
	v_add_co_u32_e32 v2, vcc, 0xffffffc1, v111
	v_pk_mov_b32 v[22:23], s[8:9], s[8:9] op_sel:[0,1]
	v_addc_co_u32_e32 v3, vcc, -1, v112, vcc
	v_pk_mov_b32 v[34:35], s[20:21], s[20:21] op_sel:[0,1]
	v_pk_mov_b32 v[32:33], s[18:19], s[18:19] op_sel:[0,1]
	;; [unrolled: 1-line block ×7, first 2 shown]
	v_cmp_gt_i64_e32 vcc, s[36:37], v[2:3]
	v_pk_mov_b32 v[8:9], v[24:25], v[24:25] op_sel:[0,1]
	v_pk_mov_b32 v[10:11], v[26:27], v[26:27] op_sel:[0,1]
	;; [unrolled: 1-line block ×7, first 2 shown]
	s_and_saveexec_b64 s[0:1], vcc
	s_cbranch_execz .LBB32_63
; %bb.62:                               ;   in Loop: Header=BB32_56 Depth=1
	v_add_co_u32_e32 v2, vcc, v58, v104
	v_addc_co_u32_e32 v3, vcc, v1, v105, vcc
	v_add_co_u32_e32 v6, vcc, v74, v104
	global_load_dwordx2 v[2:3], v[2:3], off
	v_addc_co_u32_e32 v7, vcc, v39, v105, vcc
	global_load_dwordx2 v[22:23], v[6:7], off
	v_mov_b32_e32 v6, v4
	v_mov_b32_e32 v7, v4
	;; [unrolled: 1-line block ×13, first 2 shown]
	s_waitcnt vmcnt(1)
	v_pk_mov_b32 v[20:21], v[16:17], v[16:17] op_sel:[0,1]
	v_mov_b32_e32 v24, v4
	v_mov_b32_e32 v25, v4
	;; [unrolled: 1-line block ×14, first 2 shown]
	v_pk_mov_b32 v[18:19], v[14:15], v[14:15] op_sel:[0,1]
	v_pk_mov_b32 v[16:17], v[12:13], v[12:13] op_sel:[0,1]
	;; [unrolled: 1-line block ×7, first 2 shown]
.LBB32_63:                              ;   in Loop: Header=BB32_56 Depth=1
	s_or_b64 exec, exec, s[0:1]
	v_add_co_u32_e32 v2, vcc, 0xffffffc2, v111
	v_addc_co_u32_e32 v3, vcc, -1, v112, vcc
	v_cmp_gt_i64_e32 vcc, s[36:37], v[2:3]
	s_and_saveexec_b64 s[0:1], vcc
	s_cbranch_execz .LBB32_65
; %bb.64:                               ;   in Loop: Header=BB32_56 Depth=1
	v_add_co_u32_e32 v2, vcc, v100, v104
	v_addc_co_u32_e32 v3, vcc, v97, v105, vcc
	global_load_dwordx2 v[8:9], v[2:3], off
	v_add_co_u32_e32 v2, vcc, v102, v104
	v_addc_co_u32_e32 v3, vcc, v99, v105, vcc
	global_load_dwordx2 v[24:25], v[2:3], off
.LBB32_65:                              ;   in Loop: Header=BB32_56 Depth=1
	s_or_b64 exec, exec, s[0:1]
	v_add_co_u32_e32 v2, vcc, 0xffffffc3, v111
	v_addc_co_u32_e32 v3, vcc, -1, v112, vcc
	v_cmp_gt_i64_e32 vcc, s[36:37], v[2:3]
	s_and_saveexec_b64 s[0:1], vcc
	s_cbranch_execz .LBB32_67
; %bb.66:                               ;   in Loop: Header=BB32_56 Depth=1
	v_add_co_u32_e32 v2, vcc, v96, v104
	v_addc_co_u32_e32 v3, vcc, v93, v105, vcc
	global_load_dwordx2 v[10:11], v[2:3], off
	v_add_co_u32_e32 v2, vcc, v98, v104
	v_addc_co_u32_e32 v3, vcc, v95, v105, vcc
	global_load_dwordx2 v[26:27], v[2:3], off
.LBB32_67:                              ;   in Loop: Header=BB32_56 Depth=1
	;; [unrolled: 14-line block ×7, first 2 shown]
	s_or_b64 exec, exec, s[0:1]
	s_waitcnt vmcnt(1)
	ds_bpermute_b32 v2, v110, v108
	ds_bpermute_b32 v3, v110, v109
	s_waitcnt vmcnt(0)
	ds_bpermute_b32 v114, v110, v106
	ds_bpermute_b32 v115, v110, v107
	ds_bpermute_b32 v116, v110, v108 offset:4
	ds_bpermute_b32 v117, v110, v109 offset:4
	s_waitcnt lgkmcnt(4)
	v_add_f64 v[2:3], v[22:23], -v[2:3]
	v_mul_f64 v[2:3], v[6:7], v[2:3]
	s_waitcnt lgkmcnt(2)
	v_fma_f64 v[2:3], v[2:3], v[114:115], v[56:57]
	ds_bpermute_b32 v22, v110, v106 offset:4
	ds_bpermute_b32 v23, v110, v107 offset:4
	ds_bpermute_b32 v114, v110, v108 offset:8
	ds_bpermute_b32 v115, v110, v109 offset:8
	v_add_f64 v[6:7], v[50:51], v[6:7]
	s_waitcnt lgkmcnt(4)
	v_add_f64 v[24:25], v[24:25], -v[116:117]
	v_mul_f64 v[24:25], v[8:9], v[24:25]
	v_add_f64 v[6:7], v[8:9], v[6:7]
	ds_bpermute_b32 v8, v110, v106 offset:8
	ds_bpermute_b32 v9, v110, v107 offset:8
	s_waitcnt lgkmcnt(4)
	v_fmac_f64_e32 v[2:3], v[24:25], v[22:23]
	s_waitcnt lgkmcnt(2)
	v_add_f64 v[22:23], v[26:27], -v[114:115]
	ds_bpermute_b32 v24, v110, v108 offset:12
	ds_bpermute_b32 v25, v110, v109 offset:12
	v_mul_f64 v[22:23], v[10:11], v[22:23]
	s_waitcnt lgkmcnt(2)
	v_fmac_f64_e32 v[2:3], v[22:23], v[8:9]
	ds_bpermute_b32 v8, v110, v106 offset:12
	ds_bpermute_b32 v9, v110, v107 offset:12
	v_add_f64 v[6:7], v[10:11], v[6:7]
	s_waitcnt lgkmcnt(2)
	v_add_f64 v[10:11], v[28:29], -v[24:25]
	ds_bpermute_b32 v22, v110, v108 offset:16
	ds_bpermute_b32 v23, v110, v109 offset:16
	v_mul_f64 v[10:11], v[12:13], v[10:11]
	s_waitcnt lgkmcnt(2)
	v_fmac_f64_e32 v[2:3], v[10:11], v[8:9]
	v_add_f64 v[6:7], v[12:13], v[6:7]
	ds_bpermute_b32 v8, v110, v106 offset:16
	ds_bpermute_b32 v9, v110, v107 offset:16
	ds_bpermute_b32 v12, v110, v108 offset:20
	ds_bpermute_b32 v13, v110, v109 offset:20
	s_waitcnt lgkmcnt(4)
	v_add_f64 v[10:11], v[30:31], -v[22:23]
	v_mul_f64 v[10:11], v[14:15], v[10:11]
	s_waitcnt lgkmcnt(2)
	v_fmac_f64_e32 v[2:3], v[10:11], v[8:9]
	ds_bpermute_b32 v8, v110, v106 offset:20
	ds_bpermute_b32 v9, v110, v107 offset:20
	s_waitcnt lgkmcnt(2)
	v_add_f64 v[10:11], v[32:33], -v[12:13]
	ds_bpermute_b32 v12, v110, v108 offset:24
	ds_bpermute_b32 v13, v110, v109 offset:24
	v_mul_f64 v[10:11], v[16:17], v[10:11]
	s_waitcnt lgkmcnt(2)
	v_fmac_f64_e32 v[2:3], v[10:11], v[8:9]
	ds_bpermute_b32 v8, v110, v106 offset:24
	ds_bpermute_b32 v9, v110, v107 offset:24
	s_waitcnt lgkmcnt(2)
	v_add_f64 v[10:11], v[34:35], -v[12:13]
	ds_bpermute_b32 v12, v110, v108 offset:28
	ds_bpermute_b32 v13, v110, v109 offset:28
	v_add_f64 v[6:7], v[14:15], v[6:7]
	ds_bpermute_b32 v14, v110, v106 offset:28
	ds_bpermute_b32 v15, v110, v107 offset:28
	v_mul_f64 v[10:11], v[18:19], v[10:11]
	s_waitcnt lgkmcnt(4)
	v_fmac_f64_e32 v[2:3], v[10:11], v[8:9]
	s_waitcnt lgkmcnt(2)
	v_add_f64 v[8:9], v[36:37], -v[12:13]
	v_add_f64 v[6:7], v[16:17], v[6:7]
	v_mul_f64 v[8:9], v[20:21], v[8:9]
	v_add_f64 v[6:7], v[18:19], v[6:7]
	s_waitcnt lgkmcnt(0)
	v_mul_f64 v[8:9], v[8:9], v[14:15]
	s_branch .LBB32_55
.LBB32_78:                              ;   in Loop: Header=BB32_56 Depth=1
                                        ; implicit-def: $vgpr20_vgpr21
                                        ; implicit-def: $vgpr8_vgpr9
                                        ; implicit-def: $vgpr6_vgpr7
                                        ; implicit-def: $vgpr2_vgpr3
	s_cbranch_execz .LBB32_55
; %bb.79:                               ;   in Loop: Header=BB32_56 Depth=1
	s_load_dword s0, s[2:3], 0x0
	v_pk_mov_b32 v[2:3], 0, 0
	v_pk_mov_b32 v[6:7], v[2:3], v[2:3] op_sel:[0,1]
	s_waitcnt lgkmcnt(0)
	s_cmp_lt_u32 s6, s0
	s_cselect_b32 s0, 12, 18
	s_add_u32 s0, s2, s0
	s_addc_u32 s1, s3, 0
	global_load_ushort v5, v4, s[0:1]
	s_waitcnt vmcnt(0)
	v_mad_u32_u24 v5, v101, v5, v103
	v_and_b32_e32 v5, 63, v5
	v_cmp_gt_u32_e32 vcc, 8, v5
	s_and_saveexec_b64 s[0:1], vcc
	s_cbranch_execz .LBB32_54
; %bb.80:                               ;   in Loop: Header=BB32_56 Depth=1
	v_add_co_u32_e32 v2, vcc, v111, v5
	v_addc_co_u32_e32 v3, vcc, 0, v112, vcc
	v_add_co_u32_e32 v8, vcc, 0xffffffc1, v2
	v_addc_co_u32_e32 v9, vcc, -1, v3, vcc
	v_pk_mov_b32 v[6:7], 0, 0
	v_cmp_gt_i64_e32 vcc, s[36:37], v[8:9]
	v_pk_mov_b32 v[2:3], v[6:7], v[6:7] op_sel:[0,1]
	s_and_saveexec_b64 s[10:11], vcc
	s_cbranch_execz .LBB32_53
; %bb.81:                               ;   in Loop: Header=BB32_56 Depth=1
	v_lshlrev_b64 v[2:3], 3, v[8:9]
	v_mov_b32_e32 v5, s31
	v_add_co_u32_e32 v8, vcc, s30, v2
	v_addc_co_u32_e32 v9, vcc, v5, v3, vcc
	v_mov_b32_e32 v5, s29
	v_add_co_u32_e32 v10, vcc, s28, v2
	v_addc_co_u32_e32 v11, vcc, v5, v3, vcc
	global_load_dwordx2 v[6:7], v[10:11], off
	global_load_dwordx2 v[2:3], v[8:9], off
	s_branch .LBB32_53
.LBB32_82:
	v_bfe_u32 v6, v0, 10, 10
	v_and_b32_e32 v0, 0x3ff, v0
	s_movk_i32 s0, 0x41
	v_mad_u32_u24 v1, v6, s0, v0
	v_lshl_add_u32 v1, v1, 3, 0
	v_lshrrev_b32_e32 v7, 6, v0
	ds_write_b64 v1, v[56:57]
	ds_write_b64 v1, v[50:51] offset:4160
	v_add_u32_e32 v1, v7, v6
	s_mov_b32 s7, 0
	v_cmp_gt_u32_e32 vcc, 64, v1
	s_waitcnt lgkmcnt(0)
	s_barrier
	s_and_saveexec_b64 s[0:1], vcc
	s_cbranch_execz .LBB32_92
; %bb.83:
	v_and_b32_e32 v1, 63, v0
	v_cmp_gt_u32_e64 s[0:1], 8, v1
	v_mul_u32_u24_e32 v8, 0x41, v1
	v_mbcnt_lo_u32_b32 v1, -1, 0
	v_mbcnt_hi_u32_b32 v1, -1, v1
	v_and_b32_e32 v2, 64, v1
	v_add_u32_e32 v2, 64, v2
	v_cmp_eq_u32_e64 s[2:3], 0, v0
	v_xor_b32_e32 v0, 4, v1
	v_cmp_lt_i32_e32 vcc, v0, v2
	v_cndmask_b32_e32 v0, v1, v0, vcc
	v_lshlrev_b32_e32 v10, 2, v0
	v_xor_b32_e32 v0, 2, v1
	v_cmp_lt_i32_e32 vcc, v0, v2
	v_cndmask_b32_e32 v0, v1, v0, vcc
	v_lshlrev_b32_e32 v11, 2, v0
	v_xor_b32_e32 v0, 1, v1
	v_cmp_lt_i32_e32 vcc, v0, v2
	s_load_dwordx4 s[8:11], s[4:5], 0x30
	v_cndmask_b32_e32 v0, v1, v0, vcc
	s_lshl_b64 s[4:5], s[6:7], 6
	v_lshlrev_b32_e32 v12, 2, v0
	v_add_co_u32_e32 v0, vcc, v7, v6
	v_addc_co_u32_e64 v1, s[16:17], 0, 0, vcc
	v_mov_b32_e32 v3, s5
	v_add_co_u32_e32 v2, vcc, s4, v0
	v_addc_co_u32_e32 v3, vcc, v1, v3, vcc
	v_lshlrev_b64 v[4:5], 3, v[2:3]
	s_waitcnt lgkmcnt(0)
	v_mov_b32_e32 v3, s11
	v_add_co_u32_e32 v2, vcc, s10, v4
	s_cmp_lg_u64 s[8:9], 0
	v_addc_co_u32_e32 v3, vcc, v3, v5, vcc
	s_cselect_b64 s[12:13], -1, 0
	s_cmp_lg_u64 s[10:11], 0
	v_mov_b32_e32 v9, s9
	v_add_co_u32_e32 v4, vcc, s8, v4
	v_add3_u32 v6, v8, v6, v7
	s_mov_b64 s[6:7], 0
	s_cselect_b64 s[14:15], -1, 0
	v_addc_co_u32_e32 v5, vcc, v9, v5, vcc
	v_lshl_add_u32 v13, v6, 3, 0
	v_mov_b32_e32 v14, s5
                                        ; implicit-def: $vgpr6_vgpr7
                                        ; implicit-def: $vgpr8_vgpr9
	s_branch .LBB32_85
.LBB32_84:                              ;   in Loop: Header=BB32_85 Depth=1
	s_or_b64 exec, exec, s[8:9]
	v_add_co_u32_e32 v0, vcc, 8, v0
	v_addc_co_u32_e32 v1, vcc, 0, v1, vcc
	v_add_co_u32_e32 v2, vcc, 64, v2
	v_addc_co_u32_e32 v3, vcc, 0, v3, vcc
	v_add_co_u32_e32 v4, vcc, 64, v4
	v_add_u32_e32 v15, -8, v0
	v_addc_co_u32_e32 v5, vcc, 0, v5, vcc
	v_cmp_lt_u32_e32 vcc, 55, v15
	s_or_b64 s[6:7], vcc, s[6:7]
	v_add_u32_e32 v13, 64, v13
	s_andn2_b64 exec, exec, s[6:7]
	s_cbranch_execz .LBB32_92
.LBB32_85:                              ; =>This Inner Loop Header: Depth=1
	s_and_saveexec_b64 s[8:9], s[0:1]
	s_cbranch_execz .LBB32_87
; %bb.86:                               ;   in Loop: Header=BB32_85 Depth=1
	ds_read_b64 v[6:7], v13
	ds_read_b64 v[8:9], v13 offset:4160
.LBB32_87:                              ;   in Loop: Header=BB32_85 Depth=1
	s_or_b64 exec, exec, s[8:9]
	s_waitcnt lgkmcnt(1)
	ds_bpermute_b32 v16, v10, v6
	ds_bpermute_b32 v17, v10, v7
	s_waitcnt lgkmcnt(2)
	ds_bpermute_b32 v18, v10, v8
	ds_bpermute_b32 v19, v10, v9
	s_waitcnt lgkmcnt(2)
	v_add_f64 v[6:7], v[6:7], v[16:17]
	ds_bpermute_b32 v16, v11, v6
	ds_bpermute_b32 v17, v11, v7
	s_waitcnt lgkmcnt(2)
	v_add_f64 v[8:9], v[8:9], v[18:19]
	ds_bpermute_b32 v18, v11, v8
	ds_bpermute_b32 v19, v11, v9
	s_waitcnt lgkmcnt(2)
	v_add_f64 v[6:7], v[6:7], v[16:17]
	ds_bpermute_b32 v16, v12, v6
	ds_bpermute_b32 v17, v12, v7
	s_waitcnt lgkmcnt(2)
	v_add_f64 v[8:9], v[8:9], v[18:19]
	ds_bpermute_b32 v18, v12, v8
	ds_bpermute_b32 v19, v12, v9
	s_waitcnt lgkmcnt(2)
	v_add_f64 v[6:7], v[6:7], v[16:17]
	v_add_co_u32_e32 v16, vcc, s4, v0
	v_addc_co_u32_e32 v17, vcc, v14, v1, vcc
	v_cmp_gt_i64_e32 vcc, s[38:39], v[16:17]
	s_waitcnt lgkmcnt(0)
	v_add_f64 v[8:9], v[8:9], v[18:19]
	s_and_b64 s[10:11], s[2:3], vcc
	s_and_saveexec_b64 s[8:9], s[10:11]
	s_cbranch_execz .LBB32_84
; %bb.88:                               ;   in Loop: Header=BB32_85 Depth=1
	s_andn2_b64 vcc, exec, s[12:13]
	s_cbranch_vccnz .LBB32_90
; %bb.89:                               ;   in Loop: Header=BB32_85 Depth=1
	global_store_dwordx2 v[4:5], v[6:7], off
.LBB32_90:                              ;   in Loop: Header=BB32_85 Depth=1
	s_andn2_b64 vcc, exec, s[14:15]
	s_cbranch_vccnz .LBB32_84
; %bb.91:                               ;   in Loop: Header=BB32_85 Depth=1
	global_store_dwordx2 v[2:3], v[8:9], off
	s_branch .LBB32_84
.LBB32_92:
	s_endpgm
	.section	.rodata,"a",@progbits
	.p2align	6, 0x0
	.amdhsa_kernel _ZN2at6native12_GLOBAL__N_135GammaBetaBackwardCUDAKernelTemplateIddLj64ELj8ELj64ELb0ELb0ELb0EEEvllPKT_S5_PKT0_S8_PS3_S9_
		.amdhsa_group_segment_fixed_size 0
		.amdhsa_private_segment_fixed_size 0
		.amdhsa_kernarg_size 320
		.amdhsa_user_sgpr_count 6
		.amdhsa_user_sgpr_private_segment_buffer 1
		.amdhsa_user_sgpr_dispatch_ptr 0
		.amdhsa_user_sgpr_queue_ptr 0
		.amdhsa_user_sgpr_kernarg_segment_ptr 1
		.amdhsa_user_sgpr_dispatch_id 0
		.amdhsa_user_sgpr_flat_scratch_init 0
		.amdhsa_user_sgpr_kernarg_preload_length 0
		.amdhsa_user_sgpr_kernarg_preload_offset 0
		.amdhsa_user_sgpr_private_segment_size 0
		.amdhsa_uses_dynamic_stack 0
		.amdhsa_system_sgpr_private_segment_wavefront_offset 0
		.amdhsa_system_sgpr_workgroup_id_x 1
		.amdhsa_system_sgpr_workgroup_id_y 1
		.amdhsa_system_sgpr_workgroup_id_z 0
		.amdhsa_system_sgpr_workgroup_info 0
		.amdhsa_system_vgpr_workitem_id 1
		.amdhsa_next_free_vgpr 118
		.amdhsa_next_free_sgpr 54
		.amdhsa_accum_offset 120
		.amdhsa_reserve_vcc 1
		.amdhsa_reserve_flat_scratch 0
		.amdhsa_float_round_mode_32 0
		.amdhsa_float_round_mode_16_64 0
		.amdhsa_float_denorm_mode_32 3
		.amdhsa_float_denorm_mode_16_64 3
		.amdhsa_dx10_clamp 1
		.amdhsa_ieee_mode 1
		.amdhsa_fp16_overflow 0
		.amdhsa_tg_split 0
		.amdhsa_exception_fp_ieee_invalid_op 0
		.amdhsa_exception_fp_denorm_src 0
		.amdhsa_exception_fp_ieee_div_zero 0
		.amdhsa_exception_fp_ieee_overflow 0
		.amdhsa_exception_fp_ieee_underflow 0
		.amdhsa_exception_fp_ieee_inexact 0
		.amdhsa_exception_int_div_zero 0
	.end_amdhsa_kernel
	.section	.text._ZN2at6native12_GLOBAL__N_135GammaBetaBackwardCUDAKernelTemplateIddLj64ELj8ELj64ELb0ELb0ELb0EEEvllPKT_S5_PKT0_S8_PS3_S9_,"axG",@progbits,_ZN2at6native12_GLOBAL__N_135GammaBetaBackwardCUDAKernelTemplateIddLj64ELj8ELj64ELb0ELb0ELb0EEEvllPKT_S5_PKT0_S8_PS3_S9_,comdat
.Lfunc_end32:
	.size	_ZN2at6native12_GLOBAL__N_135GammaBetaBackwardCUDAKernelTemplateIddLj64ELj8ELj64ELb0ELb0ELb0EEEvllPKT_S5_PKT0_S8_PS3_S9_, .Lfunc_end32-_ZN2at6native12_GLOBAL__N_135GammaBetaBackwardCUDAKernelTemplateIddLj64ELj8ELj64ELb0ELb0ELb0EEEvllPKT_S5_PKT0_S8_PS3_S9_
                                        ; -- End function
	.section	.AMDGPU.csdata,"",@progbits
; Kernel info:
; codeLenInByte = 8736
; NumSgprs: 58
; NumVgprs: 118
; NumAgprs: 0
; TotalNumVgprs: 118
; ScratchSize: 0
; MemoryBound: 1
; FloatMode: 240
; IeeeMode: 1
; LDSByteSize: 0 bytes/workgroup (compile time only)
; SGPRBlocks: 7
; VGPRBlocks: 14
; NumSGPRsForWavesPerEU: 58
; NumVGPRsForWavesPerEU: 118
; AccumOffset: 120
; Occupancy: 4
; WaveLimiterHint : 0
; COMPUTE_PGM_RSRC2:SCRATCH_EN: 0
; COMPUTE_PGM_RSRC2:USER_SGPR: 6
; COMPUTE_PGM_RSRC2:TRAP_HANDLER: 0
; COMPUTE_PGM_RSRC2:TGID_X_EN: 1
; COMPUTE_PGM_RSRC2:TGID_Y_EN: 1
; COMPUTE_PGM_RSRC2:TGID_Z_EN: 0
; COMPUTE_PGM_RSRC2:TIDIG_COMP_CNT: 1
; COMPUTE_PGM_RSRC3_GFX90A:ACCUM_OFFSET: 29
; COMPUTE_PGM_RSRC3_GFX90A:TG_SPLIT: 0
	.section	.text._ZN2at6native12_GLOBAL__N_135GammaBetaBackwardCUDAKernelTemplateIddLj64ELj16ELj128ELb0ELb1ELb0EEEvllPKT_S5_PKT0_S8_PS3_S9_,"axG",@progbits,_ZN2at6native12_GLOBAL__N_135GammaBetaBackwardCUDAKernelTemplateIddLj64ELj16ELj128ELb0ELb1ELb0EEEvllPKT_S5_PKT0_S8_PS3_S9_,comdat
	.globl	_ZN2at6native12_GLOBAL__N_135GammaBetaBackwardCUDAKernelTemplateIddLj64ELj16ELj128ELb0ELb1ELb0EEEvllPKT_S5_PKT0_S8_PS3_S9_ ; -- Begin function _ZN2at6native12_GLOBAL__N_135GammaBetaBackwardCUDAKernelTemplateIddLj64ELj16ELj128ELb0ELb1ELb0EEEvllPKT_S5_PKT0_S8_PS3_S9_
	.p2align	8
	.type	_ZN2at6native12_GLOBAL__N_135GammaBetaBackwardCUDAKernelTemplateIddLj64ELj16ELj128ELb0ELb1ELb0EEEvllPKT_S5_PKT0_S8_PS3_S9_,@function
_ZN2at6native12_GLOBAL__N_135GammaBetaBackwardCUDAKernelTemplateIddLj64ELj16ELj128ELb0ELb1ELb0EEEvllPKT_S5_PKT0_S8_PS3_S9_: ; @_ZN2at6native12_GLOBAL__N_135GammaBetaBackwardCUDAKernelTemplateIddLj64ELj16ELj128ELb0ELb1ELb0EEEvllPKT_S5_PKT0_S8_PS3_S9_
; %bb.0:
	s_load_dwordx4 s[20:23], s[4:5], 0x0
	s_lshl_b32 s24, s7, 7
	s_mov_b32 s25, 0
	v_bfe_u32 v24, v0, 10, 10
	s_waitcnt lgkmcnt(0)
	v_pk_mov_b32 v[2:3], s[20:21], s[20:21] op_sel:[0,1]
	v_cmp_lt_i64_e32 vcc, s[24:25], v[2:3]
	s_cbranch_vccnz .LBB33_2
; %bb.1:
	s_mov_b64 s[0:1], 0
	s_mov_b64 s[2:3], 0
	v_bfe_u32 v6, v0, 10, 10
	s_branch .LBB33_3
.LBB33_2:
	s_mov_b64 s[0:1], -1
                                        ; implicit-def: $sgpr2_sgpr3
                                        ; implicit-def: $vgpr6
.LBB33_3:
	s_load_dwordx4 s[16:19], s[4:5], 0x30
	v_and_b32_e32 v22, 0x3ff, v0
	s_andn2_b64 vcc, exec, s[0:1]
	v_pk_mov_b32 v[10:11], s[2:3], s[2:3] op_sel:[0,1]
	v_mbcnt_lo_u32_b32 v23, -1, 0
	v_pk_mov_b32 v[4:5], s[2:3], s[2:3] op_sel:[0,1]
	s_cbranch_vccnz .LBB33_11
; %bb.4:
	s_load_dword s0, s[4:5], 0x4c
	s_load_dword s2, s[4:5], 0x44
	s_load_dwordx8 s[8:15], s[4:5], 0x10
	v_mbcnt_hi_u32_b32 v2, -1, v23
	v_lshlrev_b32_e32 v0, 3, v24
	s_waitcnt lgkmcnt(0)
	s_and_b32 s0, s0, 0xffff
	v_lshlrev_b32_e32 v2, 2, v2
	v_mad_u32_u24 v1, v24, s0, v22
	v_and_b32_e32 v25, 0x100, v2
	v_mov_b32_e32 v2, s25
	v_add_co_u32_e32 v6, vcc, s24, v0
	v_and_b32_e32 v1, 63, v1
	v_addc_co_u32_e32 v7, vcc, 0, v2, vcc
	v_add_co_u32_e32 v0, vcc, v6, v1
	v_cmp_gt_u32_e64 s[0:1], 8, v1
	s_lshl_b32 s4, s2, 7
	v_addc_co_u32_e32 v1, vcc, 0, v7, vcc
	v_mul_lo_u32 v8, s23, v6
	v_mul_lo_u32 v9, s22, v7
	v_mad_u64_u32 v[6:7], s[2:3], s22, v6, 0
	v_mov_b32_e32 v5, 0
	v_lshl_add_u32 v4, s6, 6, v22
	v_add3_u32 v7, v7, v9, v8
	s_mov_b32 s5, 0
	v_lshlrev_b64 v[6:7], 3, v[6:7]
	v_lshlrev_b64 v[4:5], 3, v[4:5]
	s_mul_i32 s2, s23, s4
	s_mul_hi_u32 s3, s22, s4
	s_lshl_b64 s[26:27], s[4:5], 3
	v_add_co_u32_e32 v6, vcc, v6, v4
	s_add_i32 s3, s3, s2
	s_mul_i32 s2, s22, s4
	s_lshl_b64 s[22:23], s[22:23], 3
	v_pk_mov_b32 v[8:9], 0, 0
	v_or_b32_e32 v26, 4, v25
	v_or_b32_e32 v27, 8, v25
	;; [unrolled: 1-line block ×7, first 2 shown]
	v_lshlrev_b64 v[2:3], 3, v[0:1]
	v_addc_co_u32_e32 v7, vcc, v7, v5, vcc
	s_lshl_b64 s[28:29], s[2:3], 3
	v_mov_b32_e32 v33, s9
	v_mov_b32_e32 v34, s11
	;; [unrolled: 1-line block ×4, first 2 shown]
	v_pk_mov_b32 v[4:5], v[8:9], v[8:9] op_sel:[0,1]
	v_pk_mov_b32 v[10:11], v[8:9], v[8:9] op_sel:[0,1]
	s_branch .LBB33_7
.LBB33_5:                               ;   in Loop: Header=BB33_7 Depth=1
	s_or_b64 exec, exec, s[30:31]
.LBB33_6:                               ;   in Loop: Header=BB33_7 Depth=1
	s_or_b64 exec, exec, s[2:3]
	v_add_co_u32_e32 v20, vcc, s10, v6
	v_addc_co_u32_e32 v21, vcc, v34, v7, vcc
	v_add_co_u32_e32 v38, vcc, s8, v6
	v_addc_co_u32_e32 v39, vcc, v33, v7, vcc
	global_load_dwordx2 v[18:19], v[20:21], off
	v_add_co_u32_e32 v40, vcc, s22, v20
	global_load_dwordx2 v[16:17], v[38:39], off
	v_addc_co_u32_e32 v41, vcc, v21, v35, vcc
	global_load_dwordx2 v[42:43], v[40:41], off
	v_add_co_u32_e32 v38, vcc, s22, v38
	v_addc_co_u32_e32 v39, vcc, v39, v35, vcc
	global_load_dwordx2 v[20:21], v[38:39], off
	v_add_co_u32_e64 v40, s[2:3], s22, v40
	v_add_co_u32_e32 v38, vcc, s22, v38
	v_addc_co_u32_e64 v41, s[2:3], v41, v35, s[2:3]
	global_load_dwordx2 v[44:45], v[40:41], off
	v_addc_co_u32_e32 v39, vcc, v39, v35, vcc
	global_load_dwordx2 v[46:47], v[38:39], off
	s_waitcnt vmcnt(7)
	ds_bpermute_b32 v50, v25, v14
	ds_bpermute_b32 v51, v25, v15
	s_waitcnt vmcnt(6)
	ds_bpermute_b32 v48, v25, v12
	ds_bpermute_b32 v49, v25, v13
	;; [unrolled: 1-line block ×4, first 2 shown]
	v_add_co_u32_e32 v38, vcc, s22, v38
	v_addc_co_u32_e32 v39, vcc, v39, v35, vcc
	v_add_co_u32_e32 v40, vcc, s22, v40
	v_addc_co_u32_e32 v41, vcc, v41, v35, vcc
	ds_bpermute_b32 v54, v26, v12
	ds_bpermute_b32 v55, v26, v13
	s_add_u32 s24, s24, s4
	s_addc_u32 s25, s25, 0
	s_waitcnt vmcnt(5) lgkmcnt(6)
	v_add_f64 v[18:19], v[18:19], -v[50:51]
	ds_bpermute_b32 v50, v27, v14
	ds_bpermute_b32 v51, v27, v15
	s_waitcnt vmcnt(4)
	v_mul_f64 v[18:19], v[16:17], v[18:19]
	s_waitcnt lgkmcnt(6)
	v_fmac_f64_e32 v[4:5], v[18:19], v[48:49]
	v_add_co_u32_e32 v48, vcc, s22, v38
	s_waitcnt vmcnt(3) lgkmcnt(4)
	v_add_f64 v[42:43], v[42:43], -v[52:53]
	v_add_co_u32_e64 v52, s[2:3], s22, v40
	v_addc_co_u32_e32 v49, vcc, v39, v35, vcc
	v_addc_co_u32_e64 v53, vcc, v41, v35, s[2:3]
	global_load_dwordx2 v[40:41], v[40:41], off
	s_waitcnt vmcnt(3)
	v_mul_f64 v[42:43], v[20:21], v[42:43]
	global_load_dwordx2 v[38:39], v[38:39], off
	s_waitcnt lgkmcnt(2)
	v_fmac_f64_e32 v[4:5], v[42:43], v[54:55]
	v_add_co_u32_e32 v42, vcc, s22, v48
	v_add_co_u32_e64 v54, s[2:3], s22, v52
	ds_bpermute_b32 v18, v27, v12
	ds_bpermute_b32 v19, v27, v13
	v_addc_co_u32_e32 v43, vcc, v49, v35, vcc
	v_addc_co_u32_e64 v55, vcc, v53, v35, s[2:3]
	global_load_dwordx2 v[52:53], v[52:53], off
	s_waitcnt vmcnt(4) lgkmcnt(2)
	v_add_f64 v[44:45], v[44:45], -v[50:51]
	global_load_dwordx2 v[48:49], v[48:49], off
	s_waitcnt vmcnt(4)
	v_mul_f64 v[44:45], v[46:47], v[44:45]
	v_add_co_u32_e32 v50, vcc, s22, v54
	s_waitcnt lgkmcnt(0)
	v_fmac_f64_e32 v[4:5], v[44:45], v[18:19]
	v_add_co_u32_e64 v18, s[2:3], s22, v42
	global_load_dwordx2 v[44:45], v[54:55], off
	v_addc_co_u32_e32 v51, vcc, v55, v35, vcc
	v_addc_co_u32_e64 v19, vcc, v43, v35, s[2:3]
	global_load_dwordx2 v[42:43], v[42:43], off
	v_add_co_u32_e32 v54, vcc, s22, v50
	v_addc_co_u32_e32 v55, vcc, v51, v35, vcc
	global_load_dwordx2 v[50:51], v[50:51], off
	v_add_f64 v[10:11], v[10:11], v[16:17]
	v_add_co_u32_e32 v16, vcc, s22, v18
	v_addc_co_u32_e32 v17, vcc, v19, v35, vcc
	global_load_dwordx2 v[56:57], v[18:19], off
	global_load_dwordx2 v[58:59], v[54:55], off
	;; [unrolled: 1-line block ×3, first 2 shown]
	ds_bpermute_b32 v16, v28, v14
	ds_bpermute_b32 v17, v28, v15
	;; [unrolled: 1-line block ×4, first 2 shown]
	v_add_f64 v[10:11], v[10:11], v[20:21]
	ds_bpermute_b32 v20, v29, v14
	ds_bpermute_b32 v21, v29, v15
	v_add_co_u32_e32 v2, vcc, s26, v2
	v_addc_co_u32_e32 v3, vcc, v3, v36, vcc
	v_add_f64 v[10:11], v[10:11], v[46:47]
	v_add_co_u32_e32 v0, vcc, s4, v0
	s_waitcnt vmcnt(9) lgkmcnt(4)
	v_add_f64 v[16:17], v[40:41], -v[16:17]
	s_waitcnt vmcnt(8)
	v_mul_f64 v[16:17], v[38:39], v[16:17]
	s_waitcnt lgkmcnt(2)
	v_fmac_f64_e32 v[4:5], v[16:17], v[18:19]
	ds_bpermute_b32 v16, v29, v12
	ds_bpermute_b32 v17, v29, v13
	v_add_f64 v[10:11], v[10:11], v[38:39]
	s_waitcnt vmcnt(7) lgkmcnt(2)
	v_add_f64 v[18:19], v[52:53], -v[20:21]
	ds_bpermute_b32 v20, v30, v14
	ds_bpermute_b32 v21, v30, v15
	s_waitcnt vmcnt(6)
	v_mul_f64 v[18:19], v[48:49], v[18:19]
	s_waitcnt lgkmcnt(2)
	v_fmac_f64_e32 v[4:5], v[18:19], v[16:17]
	ds_bpermute_b32 v16, v30, v12
	ds_bpermute_b32 v17, v30, v13
	v_add_f64 v[10:11], v[10:11], v[48:49]
	s_waitcnt vmcnt(5) lgkmcnt(2)
	v_add_f64 v[18:19], v[44:45], -v[20:21]
	ds_bpermute_b32 v20, v31, v14
	ds_bpermute_b32 v21, v31, v15
	;; [unrolled: 1-line block ×4, first 2 shown]
	s_waitcnt vmcnt(4)
	v_mul_f64 v[18:19], v[42:43], v[18:19]
	s_waitcnt lgkmcnt(4)
	v_fmac_f64_e32 v[4:5], v[18:19], v[16:17]
	ds_bpermute_b32 v16, v31, v12
	ds_bpermute_b32 v17, v31, v13
	;; [unrolled: 1-line block ×4, first 2 shown]
	s_waitcnt vmcnt(3) lgkmcnt(6)
	v_add_f64 v[18:19], v[50:51], -v[20:21]
	v_add_f64 v[10:11], v[10:11], v[42:43]
	s_waitcnt vmcnt(2)
	v_mul_f64 v[18:19], v[56:57], v[18:19]
	s_waitcnt vmcnt(1) lgkmcnt(4)
	v_add_f64 v[14:15], v[58:59], -v[14:15]
	s_waitcnt lgkmcnt(2)
	v_fmac_f64_e32 v[4:5], v[18:19], v[16:17]
	s_waitcnt vmcnt(0)
	v_mul_f64 v[14:15], v[60:61], v[14:15]
	s_waitcnt lgkmcnt(0)
	v_fmac_f64_e32 v[4:5], v[14:15], v[12:13]
	v_mov_b32_e32 v12, s5
	v_addc_co_u32_e32 v1, vcc, v1, v12, vcc
	v_mov_b32_e32 v12, s29
	v_add_co_u32_e32 v6, vcc, s28, v6
	v_addc_co_u32_e32 v7, vcc, v7, v12, vcc
	v_pk_mov_b32 v[12:13], s[20:21], s[20:21] op_sel:[0,1]
	v_add_f64 v[10:11], v[10:11], v[56:57]
	v_cmp_lt_i64_e32 vcc, s[24:25], v[12:13]
	v_add_f64 v[10:11], v[10:11], v[60:61]
	s_cbranch_vccz .LBB33_10
.LBB33_7:                               ; =>This Inner Loop Header: Depth=1
	v_pk_mov_b32 v[12:13], v[8:9], v[8:9] op_sel:[0,1]
	v_pk_mov_b32 v[14:15], v[8:9], v[8:9] op_sel:[0,1]
	s_and_saveexec_b64 s[2:3], s[0:1]
	s_cbranch_execz .LBB33_6
; %bb.8:                                ;   in Loop: Header=BB33_7 Depth=1
	v_pk_mov_b32 v[14:15], 0, 0
	v_cmp_gt_i64_e32 vcc, s[20:21], v[0:1]
	v_pk_mov_b32 v[12:13], v[14:15], v[14:15] op_sel:[0,1]
	s_and_saveexec_b64 s[30:31], vcc
	s_cbranch_execz .LBB33_5
; %bb.9:                                ;   in Loop: Header=BB33_7 Depth=1
	v_mov_b32_e32 v12, s15
	v_add_co_u32_e32 v16, vcc, s14, v2
	v_addc_co_u32_e32 v17, vcc, v12, v3, vcc
	v_mov_b32_e32 v12, s13
	v_add_co_u32_e32 v18, vcc, s12, v2
	v_addc_co_u32_e32 v19, vcc, v12, v3, vcc
	global_load_dwordx2 v[14:15], v[18:19], off
	global_load_dwordx2 v[12:13], v[16:17], off
	s_branch .LBB33_5
.LBB33_10:
	v_mov_b32_e32 v6, v24
.LBB33_11:
	s_movk_i32 s0, 0x41
	v_mad_u32_u24 v0, v6, s0, v22
	v_lshl_add_u32 v0, v0, 3, 0
	ds_write_b64 v0, v[4:5]
	ds_write_b64 v0, v[10:11] offset:8320
	v_lshrrev_b32_e32 v4, 6, v22
	v_add_u32_e32 v0, v4, v6
	s_mov_b32 s7, 0
	v_cmp_gt_u32_e32 vcc, 64, v0
	s_waitcnt lgkmcnt(0)
	s_barrier
	s_and_saveexec_b64 s[0:1], vcc
	s_cbranch_execz .LBB33_21
; %bb.12:
	v_and_b32_e32 v1, 63, v22
	v_cmp_gt_u32_e64 s[0:1], 16, v1
	v_mul_u32_u24_e32 v5, 0x41, v1
	v_mbcnt_hi_u32_b32 v1, -1, v23
	v_and_b32_e32 v2, 64, v1
	v_add_u32_e32 v2, 64, v2
	v_xor_b32_e32 v3, 8, v1
	v_cmp_lt_i32_e32 vcc, v3, v2
	v_cndmask_b32_e32 v3, v1, v3, vcc
	v_lshlrev_b32_e32 v8, 2, v3
	v_xor_b32_e32 v3, 4, v1
	v_cmp_lt_i32_e32 vcc, v3, v2
	v_cndmask_b32_e32 v3, v1, v3, vcc
	v_lshlrev_b32_e32 v9, 2, v3
	;; [unrolled: 4-line block ×3, first 2 shown]
	v_xor_b32_e32 v3, 1, v1
	s_lshl_b64 s[10:11], s[6:7], 6
	v_cmp_lt_i32_e32 vcc, v3, v2
	v_cndmask_b32_e32 v1, v1, v3, vcc
	v_add_u32_e32 v12, -16, v0
	v_or_b32_e32 v0, s10, v4
	v_lshlrev_b32_e32 v11, 2, v1
	v_mov_b32_e32 v1, s11
	v_add_co_u32_e32 v0, vcc, v0, v6
	v_addc_co_u32_e32 v1, vcc, 0, v1, vcc
	v_lshlrev_b64 v[2:3], 3, v[0:1]
	v_mov_b32_e32 v1, s19
	v_add_co_u32_e32 v0, vcc, s18, v2
	s_cmp_lg_u64 s[16:17], 0
	v_addc_co_u32_e32 v1, vcc, v1, v3, vcc
	s_cselect_b64 s[6:7], -1, 0
	s_cmp_lg_u64 s[18:19], 0
	v_mov_b32_e32 v7, s17
	v_add_co_u32_e32 v2, vcc, s16, v2
	v_add3_u32 v4, v5, v6, v4
	v_cmp_eq_u32_e64 s[2:3], 0, v22
	s_mov_b64 s[4:5], 0
	s_cselect_b64 s[8:9], -1, 0
	v_addc_co_u32_e32 v3, vcc, v7, v3, vcc
	v_lshl_add_u32 v13, v4, 3, 0
                                        ; implicit-def: $vgpr4_vgpr5
                                        ; implicit-def: $vgpr6_vgpr7
	s_branch .LBB33_14
.LBB33_13:                              ;   in Loop: Header=BB33_14 Depth=1
	s_or_b64 exec, exec, s[10:11]
	v_add_co_u32_e32 v0, vcc, 0x80, v0
	v_addc_co_u32_e32 v1, vcc, 0, v1, vcc
	v_add_co_u32_e32 v2, vcc, 0x80, v2
	v_add_u32_e32 v12, 16, v12
	v_addc_co_u32_e32 v3, vcc, 0, v3, vcc
	v_cmp_lt_u32_e32 vcc, 47, v12
	s_or_b64 s[4:5], vcc, s[4:5]
	v_add_u32_e32 v13, 0x80, v13
	s_andn2_b64 exec, exec, s[4:5]
	s_cbranch_execz .LBB33_21
.LBB33_14:                              ; =>This Inner Loop Header: Depth=1
	s_and_saveexec_b64 s[10:11], s[0:1]
	s_cbranch_execz .LBB33_16
; %bb.15:                               ;   in Loop: Header=BB33_14 Depth=1
	ds_read_b64 v[4:5], v13
	ds_read_b64 v[6:7], v13 offset:8320
.LBB33_16:                              ;   in Loop: Header=BB33_14 Depth=1
	s_or_b64 exec, exec, s[10:11]
	s_waitcnt lgkmcnt(1)
	ds_bpermute_b32 v14, v8, v4
	ds_bpermute_b32 v15, v8, v5
	s_waitcnt lgkmcnt(2)
	ds_bpermute_b32 v16, v8, v6
	ds_bpermute_b32 v17, v8, v7
	s_waitcnt lgkmcnt(2)
	v_add_f64 v[4:5], v[4:5], v[14:15]
	ds_bpermute_b32 v14, v9, v4
	s_waitcnt lgkmcnt(1)
	v_add_f64 v[6:7], v[6:7], v[16:17]
	ds_bpermute_b32 v15, v9, v5
	ds_bpermute_b32 v16, v9, v6
	ds_bpermute_b32 v17, v9, v7
	s_waitcnt lgkmcnt(2)
	v_add_f64 v[4:5], v[4:5], v[14:15]
	ds_bpermute_b32 v14, v10, v4
	s_waitcnt lgkmcnt(1)
	v_add_f64 v[6:7], v[6:7], v[16:17]
	ds_bpermute_b32 v15, v10, v5
	;; [unrolled: 8-line block ×3, first 2 shown]
	ds_bpermute_b32 v16, v11, v6
	ds_bpermute_b32 v17, v11, v7
	s_waitcnt lgkmcnt(2)
	v_add_f64 v[4:5], v[4:5], v[14:15]
	s_waitcnt lgkmcnt(0)
	v_add_f64 v[6:7], v[6:7], v[16:17]
	s_and_saveexec_b64 s[10:11], s[2:3]
	s_cbranch_execz .LBB33_13
; %bb.17:                               ;   in Loop: Header=BB33_14 Depth=1
	s_andn2_b64 vcc, exec, s[6:7]
	s_cbranch_vccnz .LBB33_19
; %bb.18:                               ;   in Loop: Header=BB33_14 Depth=1
	global_store_dwordx2 v[2:3], v[4:5], off
.LBB33_19:                              ;   in Loop: Header=BB33_14 Depth=1
	s_andn2_b64 vcc, exec, s[8:9]
	s_cbranch_vccnz .LBB33_13
; %bb.20:                               ;   in Loop: Header=BB33_14 Depth=1
	global_store_dwordx2 v[0:1], v[6:7], off
	s_branch .LBB33_13
.LBB33_21:
	s_endpgm
	.section	.rodata,"a",@progbits
	.p2align	6, 0x0
	.amdhsa_kernel _ZN2at6native12_GLOBAL__N_135GammaBetaBackwardCUDAKernelTemplateIddLj64ELj16ELj128ELb0ELb1ELb0EEEvllPKT_S5_PKT0_S8_PS3_S9_
		.amdhsa_group_segment_fixed_size 0
		.amdhsa_private_segment_fixed_size 0
		.amdhsa_kernarg_size 320
		.amdhsa_user_sgpr_count 6
		.amdhsa_user_sgpr_private_segment_buffer 1
		.amdhsa_user_sgpr_dispatch_ptr 0
		.amdhsa_user_sgpr_queue_ptr 0
		.amdhsa_user_sgpr_kernarg_segment_ptr 1
		.amdhsa_user_sgpr_dispatch_id 0
		.amdhsa_user_sgpr_flat_scratch_init 0
		.amdhsa_user_sgpr_kernarg_preload_length 0
		.amdhsa_user_sgpr_kernarg_preload_offset 0
		.amdhsa_user_sgpr_private_segment_size 0
		.amdhsa_uses_dynamic_stack 0
		.amdhsa_system_sgpr_private_segment_wavefront_offset 0
		.amdhsa_system_sgpr_workgroup_id_x 1
		.amdhsa_system_sgpr_workgroup_id_y 1
		.amdhsa_system_sgpr_workgroup_id_z 0
		.amdhsa_system_sgpr_workgroup_info 0
		.amdhsa_system_vgpr_workitem_id 1
		.amdhsa_next_free_vgpr 62
		.amdhsa_next_free_sgpr 32
		.amdhsa_accum_offset 64
		.amdhsa_reserve_vcc 1
		.amdhsa_reserve_flat_scratch 0
		.amdhsa_float_round_mode_32 0
		.amdhsa_float_round_mode_16_64 0
		.amdhsa_float_denorm_mode_32 3
		.amdhsa_float_denorm_mode_16_64 3
		.amdhsa_dx10_clamp 1
		.amdhsa_ieee_mode 1
		.amdhsa_fp16_overflow 0
		.amdhsa_tg_split 0
		.amdhsa_exception_fp_ieee_invalid_op 0
		.amdhsa_exception_fp_denorm_src 0
		.amdhsa_exception_fp_ieee_div_zero 0
		.amdhsa_exception_fp_ieee_overflow 0
		.amdhsa_exception_fp_ieee_underflow 0
		.amdhsa_exception_fp_ieee_inexact 0
		.amdhsa_exception_int_div_zero 0
	.end_amdhsa_kernel
	.section	.text._ZN2at6native12_GLOBAL__N_135GammaBetaBackwardCUDAKernelTemplateIddLj64ELj16ELj128ELb0ELb1ELb0EEEvllPKT_S5_PKT0_S8_PS3_S9_,"axG",@progbits,_ZN2at6native12_GLOBAL__N_135GammaBetaBackwardCUDAKernelTemplateIddLj64ELj16ELj128ELb0ELb1ELb0EEEvllPKT_S5_PKT0_S8_PS3_S9_,comdat
.Lfunc_end33:
	.size	_ZN2at6native12_GLOBAL__N_135GammaBetaBackwardCUDAKernelTemplateIddLj64ELj16ELj128ELb0ELb1ELb0EEEvllPKT_S5_PKT0_S8_PS3_S9_, .Lfunc_end33-_ZN2at6native12_GLOBAL__N_135GammaBetaBackwardCUDAKernelTemplateIddLj64ELj16ELj128ELb0ELb1ELb0EEEvllPKT_S5_PKT0_S8_PS3_S9_
                                        ; -- End function
	.section	.AMDGPU.csdata,"",@progbits
; Kernel info:
; codeLenInByte = 2072
; NumSgprs: 36
; NumVgprs: 62
; NumAgprs: 0
; TotalNumVgprs: 62
; ScratchSize: 0
; MemoryBound: 0
; FloatMode: 240
; IeeeMode: 1
; LDSByteSize: 0 bytes/workgroup (compile time only)
; SGPRBlocks: 4
; VGPRBlocks: 7
; NumSGPRsForWavesPerEU: 36
; NumVGPRsForWavesPerEU: 62
; AccumOffset: 64
; Occupancy: 8
; WaveLimiterHint : 0
; COMPUTE_PGM_RSRC2:SCRATCH_EN: 0
; COMPUTE_PGM_RSRC2:USER_SGPR: 6
; COMPUTE_PGM_RSRC2:TRAP_HANDLER: 0
; COMPUTE_PGM_RSRC2:TGID_X_EN: 1
; COMPUTE_PGM_RSRC2:TGID_Y_EN: 1
; COMPUTE_PGM_RSRC2:TGID_Z_EN: 0
; COMPUTE_PGM_RSRC2:TIDIG_COMP_CNT: 1
; COMPUTE_PGM_RSRC3_GFX90A:ACCUM_OFFSET: 15
; COMPUTE_PGM_RSRC3_GFX90A:TG_SPLIT: 0
	.section	.text._ZN2at6native12_GLOBAL__N_135GammaBetaBackwardCUDAKernelTemplateIddLj64ELj16ELj128ELb0ELb0ELb0EEEvllPKT_S5_PKT0_S8_PS3_S9_,"axG",@progbits,_ZN2at6native12_GLOBAL__N_135GammaBetaBackwardCUDAKernelTemplateIddLj64ELj16ELj128ELb0ELb0ELb0EEEvllPKT_S5_PKT0_S8_PS3_S9_,comdat
	.globl	_ZN2at6native12_GLOBAL__N_135GammaBetaBackwardCUDAKernelTemplateIddLj64ELj16ELj128ELb0ELb0ELb0EEEvllPKT_S5_PKT0_S8_PS3_S9_ ; -- Begin function _ZN2at6native12_GLOBAL__N_135GammaBetaBackwardCUDAKernelTemplateIddLj64ELj16ELj128ELb0ELb0ELb0EEEvllPKT_S5_PKT0_S8_PS3_S9_
	.p2align	8
	.type	_ZN2at6native12_GLOBAL__N_135GammaBetaBackwardCUDAKernelTemplateIddLj64ELj16ELj128ELb0ELb0ELb0EEEvllPKT_S5_PKT0_S8_PS3_S9_,@function
_ZN2at6native12_GLOBAL__N_135GammaBetaBackwardCUDAKernelTemplateIddLj64ELj16ELj128ELb0ELb0ELb0EEEvllPKT_S5_PKT0_S8_PS3_S9_: ; @_ZN2at6native12_GLOBAL__N_135GammaBetaBackwardCUDAKernelTemplateIddLj64ELj16ELj128ELb0ELb0ELb0EEEvllPKT_S5_PKT0_S8_PS3_S9_
; %bb.0:
	s_load_dwordx8 s[36:43], s[4:5], 0x0
	s_load_dwordx4 s[28:31], s[4:5], 0x20
	s_lshl_b32 s33, s6, 6
	s_or_b32 s34, s33, 63
	s_mov_b32 s35, 0
	s_waitcnt lgkmcnt(0)
	v_pk_mov_b32 v[2:3], s[38:39], s[38:39] op_sel:[0,1]
	v_cmp_ge_i64_e32 vcc, s[34:35], v[2:3]
	s_lshl_b32 s34, s7, 7
	v_pk_mov_b32 v[2:3], s[36:37], s[36:37] op_sel:[0,1]
	v_cmp_lt_i64_e64 s[0:1], s[34:35], v[2:3]
	v_cndmask_b32_e64 v1, 0, 1, s[0:1]
	v_cmp_ne_u32_e64 s[0:1], 1, v1
	s_cbranch_vccz .LBB34_49
; %bb.1:
	v_pk_mov_b32 v[50:51], 0, 0
	s_mov_b64 s[10:11], 0
	s_and_b64 vcc, exec, s[0:1]
	v_pk_mov_b32 v[58:59], v[50:51], v[50:51] op_sel:[0,1]
	s_cbranch_vccnz .LBB34_50
; %bb.2:
	v_bfe_u32 v89, v0, 10, 10
	v_lshlrev_b32_e32 v52, 3, v89
	v_mov_b32_e32 v1, s35
	v_add_co_u32_e32 v5, vcc, s34, v52
	v_and_b32_e32 v87, 0x3ff, v0
	v_mov_b32_e32 v4, 0
	v_addc_co_u32_e32 v6, vcc, 0, v1, vcc
	v_add_u32_e32 v2, s33, v87
	v_mov_b32_e32 v3, v4
	v_add_co_u32_e32 v1, vcc, 7, v5
	v_cmp_gt_i64_e64 s[2:3], s[38:39], v[2:3]
	v_lshlrev_b64 v[54:55], 3, v[2:3]
	v_addc_co_u32_e32 v2, vcc, 0, v6, vcc
	v_mul_lo_u32 v7, s39, v1
	v_mul_lo_u32 v8, s38, v2
	v_mad_u64_u32 v[2:3], s[8:9], s38, v1, 0
	s_load_dword s7, s[4:5], 0x44
	v_add3_u32 v3, v3, v8, v7
	v_lshlrev_b64 v[2:3], 3, v[2:3]
	v_mov_b32_e32 v7, s41
	v_add_co_u32_e32 v56, vcc, s40, v2
	v_addc_co_u32_e32 v1, vcc, v7, v3, vcc
	s_add_u32 s44, s4, 64
	v_mov_b32_e32 v8, s43
	v_add_co_u32_e32 v60, vcc, s42, v2
	s_addc_u32 s45, s5, 0
	s_waitcnt lgkmcnt(0)
	s_lshl_b32 s7, s7, 7
	v_addc_co_u32_e32 v53, vcc, v8, v3, vcc
	s_mul_i32 s8, s39, s7
	s_mul_hi_u32 s9, s38, s7
	v_add_co_u32_e32 v2, vcc, 6, v5
	s_add_i32 s9, s9, s8
	s_mul_i32 s8, s38, s7
	v_addc_co_u32_e32 v3, vcc, 0, v6, vcc
	s_lshl_b64 s[46:47], s[8:9], 3
	v_mul_lo_u32 v9, s39, v2
	v_mul_lo_u32 v10, s38, v3
	v_mad_u64_u32 v[2:3], s[8:9], s38, v2, 0
	v_add3_u32 v3, v3, v10, v9
	v_lshlrev_b64 v[2:3], 3, v[2:3]
	v_add_co_u32_e32 v62, vcc, s40, v2
	v_addc_co_u32_e32 v57, vcc, v7, v3, vcc
	v_add_co_u32_e32 v64, vcc, s42, v2
	v_addc_co_u32_e32 v61, vcc, v8, v3, vcc
	v_add_co_u32_e32 v2, vcc, 5, v5
	v_addc_co_u32_e32 v3, vcc, 0, v6, vcc
	v_mul_lo_u32 v9, s39, v2
	v_mul_lo_u32 v10, s38, v3
	v_mad_u64_u32 v[2:3], s[8:9], s38, v2, 0
	v_add3_u32 v3, v3, v10, v9
	v_lshlrev_b64 v[2:3], 3, v[2:3]
	v_add_co_u32_e32 v66, vcc, s40, v2
	v_addc_co_u32_e32 v63, vcc, v7, v3, vcc
	v_add_co_u32_e32 v68, vcc, s42, v2
	v_addc_co_u32_e32 v65, vcc, v8, v3, vcc
	v_add_co_u32_e32 v2, vcc, 4, v5
	v_addc_co_u32_e32 v3, vcc, 0, v6, vcc
	;; [unrolled: 11-line block ×4, first 2 shown]
	v_mul_lo_u32 v9, s39, v2
	v_mul_lo_u32 v10, s38, v3
	v_mad_u64_u32 v[2:3], s[8:9], s38, v2, 0
	v_add3_u32 v3, v3, v10, v9
	v_lshlrev_b64 v[2:3], 3, v[2:3]
	v_add_co_u32_e32 v78, vcc, s40, v2
	v_addc_co_u32_e32 v75, vcc, v7, v3, vcc
	v_add_co_u32_e32 v80, vcc, s42, v2
	v_addc_co_u32_e32 v77, vcc, v8, v3, vcc
	v_pk_mov_b32 v[2:3], s[38:39], s[38:39] op_sel:[0,1]
	v_mad_u64_u32 v[2:3], s[8:9], s38, v5, v[2:3]
	v_mul_lo_u32 v6, s38, v6
	v_mul_lo_u32 v9, s39, v5
	v_add3_u32 v3, v9, v3, v6
	v_lshlrev_b64 v[2:3], 3, v[2:3]
	v_add_co_u32_e32 v82, vcc, s40, v2
	v_addc_co_u32_e32 v79, vcc, v7, v3, vcc
	v_add_co_u32_e32 v84, vcc, s42, v2
	v_addc_co_u32_e32 v81, vcc, v8, v3, vcc
	v_mad_u64_u32 v[2:3], s[8:9], s38, v5, 0
	v_add3_u32 v3, v3, v6, v9
	v_lshlrev_b64 v[2:3], 3, v[2:3]
	v_add_co_u32_e32 v86, vcc, s40, v2
	v_addc_co_u32_e32 v83, vcc, v7, v3, vcc
	v_add_co_u32_e32 v88, vcc, s42, v2
	v_mbcnt_lo_u32_b32 v2, -1, 0
	v_mbcnt_hi_u32_b32 v2, -1, v2
	s_add_u32 s48, s34, 0x7f
	v_pk_mov_b32 v[90:91], 0, 0
	v_lshlrev_b32_e32 v2, 2, v2
	s_mov_b32 s12, 0
	s_addc_u32 s49, 0, 0
	v_addc_co_u32_e32 v85, vcc, v8, v3, vcc
	v_and_b32_e32 v96, 0x100, v2
	v_pk_mov_b32 v[50:51], v[90:91], v[90:91] op_sel:[0,1]
	s_mov_b64 s[50:51], s[34:35]
.LBB34_3:                               ; =>This Inner Loop Header: Depth=1
	v_pk_mov_b32 v[2:3], s[36:37], s[36:37] op_sel:[0,1]
	v_cmp_ge_i64_e32 vcc, s[48:49], v[2:3]
	v_mov_b32_e32 v2, s49
	v_add_co_u32_e64 v97, s[8:9], s48, v52
	v_addc_co_u32_e64 v98, s[8:9], 0, v2, s[8:9]
	s_cbranch_vccz .LBB34_25
; %bb.4:                                ;   in Loop: Header=BB34_3 Depth=1
	s_load_dword s8, s[44:45], 0xc
	v_pk_mov_b32 v[94:95], 0, 0
	v_pk_mov_b32 v[92:93], v[94:95], v[94:95] op_sel:[0,1]
	s_waitcnt lgkmcnt(0)
	s_and_b32 s8, s8, 0xffff
	v_mad_u32_u24 v2, v89, s8, v87
	v_and_b32_e32 v2, 63, v2
	v_cmp_gt_u32_e32 vcc, 8, v2
	s_and_saveexec_b64 s[8:9], vcc
	s_cbranch_execz .LBB34_8
; %bb.5:                                ;   in Loop: Header=BB34_3 Depth=1
	v_add_co_u32_e32 v2, vcc, v97, v2
	v_addc_co_u32_e32 v3, vcc, 0, v98, vcc
	v_add_co_u32_e32 v2, vcc, 0xffffff81, v2
	v_addc_co_u32_e32 v3, vcc, -1, v3, vcc
	v_pk_mov_b32 v[92:93], 0, 0
	v_cmp_gt_i64_e32 vcc, s[36:37], v[2:3]
	v_pk_mov_b32 v[94:95], v[92:93], v[92:93] op_sel:[0,1]
	s_and_saveexec_b64 s[14:15], vcc
	s_cbranch_execz .LBB34_7
; %bb.6:                                ;   in Loop: Header=BB34_3 Depth=1
	v_lshlrev_b64 v[2:3], 3, v[2:3]
	v_mov_b32_e32 v5, s31
	v_add_co_u32_e32 v6, vcc, s30, v2
	v_addc_co_u32_e32 v7, vcc, v5, v3, vcc
	v_mov_b32_e32 v5, s29
	v_add_co_u32_e32 v2, vcc, s28, v2
	v_addc_co_u32_e32 v3, vcc, v5, v3, vcc
	global_load_dwordx2 v[92:93], v[2:3], off
	global_load_dwordx2 v[94:95], v[6:7], off
.LBB34_7:                               ;   in Loop: Header=BB34_3 Depth=1
	s_or_b64 exec, exec, s[14:15]
.LBB34_8:                               ;   in Loop: Header=BB34_3 Depth=1
	s_or_b64 exec, exec, s[8:9]
	v_add_co_u32_e32 v2, vcc, 0xffffff81, v97
	s_mov_b32 s26, s12
	s_mov_b32 s27, s12
	v_addc_co_u32_e32 v3, vcc, -1, v98, vcc
	s_mov_b32 s13, s12
	s_mov_b32 s14, s12
	;; [unrolled: 1-line block ×13, first 2 shown]
	v_pk_mov_b32 v[32:33], s[26:27], s[26:27] op_sel:[0,1]
	v_cmp_gt_i64_e32 vcc, s[36:37], v[2:3]
	v_pk_mov_b32 v[30:31], s[24:25], s[24:25] op_sel:[0,1]
	v_pk_mov_b32 v[28:29], s[22:23], s[22:23] op_sel:[0,1]
	;; [unrolled: 1-line block ×8, first 2 shown]
	s_and_b64 s[52:53], s[2:3], vcc
	v_pk_mov_b32 v[46:47], v[30:31], v[30:31] op_sel:[0,1]
	v_pk_mov_b32 v[44:45], v[28:29], v[28:29] op_sel:[0,1]
	;; [unrolled: 1-line block ×7, first 2 shown]
	s_and_saveexec_b64 s[8:9], s[52:53]
	s_cbranch_execz .LBB34_10
; %bb.9:                                ;   in Loop: Header=BB34_3 Depth=1
	v_add_co_u32_e32 v2, vcc, v86, v54
	v_addc_co_u32_e32 v3, vcc, v83, v55, vcc
	v_add_co_u32_e32 v6, vcc, v88, v54
	global_load_dwordx2 v[2:3], v[2:3], off
	v_addc_co_u32_e32 v7, vcc, v85, v55, vcc
	global_load_dwordx2 v[18:19], v[6:7], off
	v_mov_b32_e32 v16, v4
	v_mov_b32_e32 v17, v4
	;; [unrolled: 1-line block ×13, first 2 shown]
	s_waitcnt vmcnt(1)
	v_pk_mov_b32 v[48:49], v[16:17], v[16:17] op_sel:[0,1]
	v_mov_b32_e32 v20, v4
	v_mov_b32_e32 v21, v4
	;; [unrolled: 1-line block ×14, first 2 shown]
	v_pk_mov_b32 v[46:47], v[14:15], v[14:15] op_sel:[0,1]
	v_pk_mov_b32 v[44:45], v[12:13], v[12:13] op_sel:[0,1]
	;; [unrolled: 1-line block ×7, first 2 shown]
.LBB34_10:                              ;   in Loop: Header=BB34_3 Depth=1
	s_or_b64 exec, exec, s[8:9]
	v_add_co_u32_e32 v2, vcc, 0xffffff82, v97
	v_addc_co_u32_e32 v3, vcc, -1, v98, vcc
	v_cmp_gt_i64_e32 vcc, s[36:37], v[2:3]
	s_and_b64 s[14:15], s[2:3], vcc
	s_and_saveexec_b64 s[8:9], s[14:15]
	s_cbranch_execz .LBB34_12
; %bb.11:                               ;   in Loop: Header=BB34_3 Depth=1
	v_add_co_u32_e32 v2, vcc, v82, v54
	v_addc_co_u32_e32 v3, vcc, v79, v55, vcc
	global_load_dwordx2 v[36:37], v[2:3], off
	v_add_co_u32_e32 v2, vcc, v84, v54
	v_addc_co_u32_e32 v3, vcc, v81, v55, vcc
	global_load_dwordx2 v[20:21], v[2:3], off
.LBB34_12:                              ;   in Loop: Header=BB34_3 Depth=1
	s_or_b64 exec, exec, s[8:9]
	v_add_co_u32_e32 v2, vcc, 0xffffff83, v97
	v_addc_co_u32_e32 v3, vcc, -1, v98, vcc
	v_cmp_gt_i64_e32 vcc, s[36:37], v[2:3]
	s_and_b64 s[14:15], s[2:3], vcc
	s_and_saveexec_b64 s[8:9], s[14:15]
	s_cbranch_execz .LBB34_14
; %bb.13:                               ;   in Loop: Header=BB34_3 Depth=1
	v_add_co_u32_e32 v2, vcc, v78, v54
	v_addc_co_u32_e32 v3, vcc, v75, v55, vcc
	global_load_dwordx2 v[38:39], v[2:3], off
	v_add_co_u32_e32 v2, vcc, v80, v54
	v_addc_co_u32_e32 v3, vcc, v77, v55, vcc
	global_load_dwordx2 v[22:23], v[2:3], off
.LBB34_14:                              ;   in Loop: Header=BB34_3 Depth=1
	;; [unrolled: 15-line block ×7, first 2 shown]
	s_or_b64 exec, exec, s[8:9]
	s_waitcnt vmcnt(1)
	ds_bpermute_b32 v2, v96, v92
	ds_bpermute_b32 v3, v96, v93
	s_waitcnt vmcnt(0)
	ds_bpermute_b32 v6, v96, v94
	ds_bpermute_b32 v7, v96, v95
	ds_bpermute_b32 v8, v96, v92 offset:4
	ds_bpermute_b32 v9, v96, v93 offset:4
	s_waitcnt lgkmcnt(4)
	v_add_f64 v[2:3], v[18:19], -v[2:3]
	v_mul_f64 v[2:3], v[34:35], v[2:3]
	s_waitcnt lgkmcnt(2)
	v_fma_f64 v[58:59], v[2:3], v[6:7], v[90:91]
	ds_bpermute_b32 v6, v96, v94 offset:4
	ds_bpermute_b32 v7, v96, v95 offset:4
	;; [unrolled: 1-line block ×4, first 2 shown]
	s_waitcnt lgkmcnt(4)
	v_add_f64 v[8:9], v[20:21], -v[8:9]
	v_mul_f64 v[8:9], v[36:37], v[8:9]
	s_waitcnt lgkmcnt(2)
	v_fmac_f64_e32 v[58:59], v[8:9], v[6:7]
	ds_bpermute_b32 v6, v96, v94 offset:8
	ds_bpermute_b32 v7, v96, v95 offset:8
	s_waitcnt lgkmcnt(2)
	v_add_f64 v[8:9], v[22:23], -v[10:11]
	ds_bpermute_b32 v10, v96, v92 offset:12
	ds_bpermute_b32 v11, v96, v93 offset:12
	v_mul_f64 v[8:9], v[38:39], v[8:9]
	s_waitcnt lgkmcnt(2)
	v_fmac_f64_e32 v[58:59], v[8:9], v[6:7]
	ds_bpermute_b32 v6, v96, v94 offset:12
	ds_bpermute_b32 v7, v96, v95 offset:12
	s_waitcnt lgkmcnt(2)
	v_add_f64 v[8:9], v[24:25], -v[10:11]
	ds_bpermute_b32 v10, v96, v92 offset:16
	ds_bpermute_b32 v11, v96, v93 offset:16
	;; [unrolled: 9-line block ×3, first 2 shown]
	v_mul_f64 v[8:9], v[42:43], v[8:9]
	v_add_f64 v[2:3], v[50:51], v[34:35]
	s_waitcnt lgkmcnt(2)
	v_fmac_f64_e32 v[58:59], v[8:9], v[6:7]
	ds_bpermute_b32 v6, v96, v94 offset:20
	ds_bpermute_b32 v7, v96, v95 offset:20
	v_add_f64 v[2:3], v[36:37], v[2:3]
	v_add_f64 v[2:3], v[38:39], v[2:3]
	s_waitcnt lgkmcnt(2)
	v_add_f64 v[8:9], v[28:29], -v[10:11]
	ds_bpermute_b32 v10, v96, v92 offset:24
	ds_bpermute_b32 v11, v96, v93 offset:24
	v_add_f64 v[2:3], v[40:41], v[2:3]
	v_add_f64 v[2:3], v[42:43], v[2:3]
	v_mul_f64 v[8:9], v[44:45], v[8:9]
	ds_bpermute_b32 v12, v96, v94 offset:24
	ds_bpermute_b32 v13, v96, v95 offset:24
	s_waitcnt lgkmcnt(4)
	v_fmac_f64_e32 v[58:59], v[8:9], v[6:7]
	v_add_f64 v[8:9], v[44:45], v[2:3]
	ds_bpermute_b32 v2, v96, v94 offset:28
	ds_bpermute_b32 v3, v96, v95 offset:28
	;; [unrolled: 1-line block ×4, first 2 shown]
	s_waitcnt lgkmcnt(6)
	v_add_f64 v[10:11], v[30:31], -v[10:11]
	v_mul_f64 v[10:11], v[46:47], v[10:11]
	s_waitcnt lgkmcnt(4)
	v_fmac_f64_e32 v[58:59], v[10:11], v[12:13]
	v_add_f64 v[8:9], v[46:47], v[8:9]
	s_branch .LBB34_40
.LBB34_25:                              ;   in Loop: Header=BB34_3 Depth=1
                                        ; implicit-def: $vgpr2_vgpr3
                                        ; implicit-def: $vgpr18_vgpr19_vgpr20_vgpr21_vgpr22_vgpr23_vgpr24_vgpr25_vgpr26_vgpr27_vgpr28_vgpr29_vgpr30_vgpr31_vgpr32_vgpr33
                                        ; implicit-def: $vgpr34_vgpr35_vgpr36_vgpr37_vgpr38_vgpr39_vgpr40_vgpr41_vgpr42_vgpr43_vgpr44_vgpr45_vgpr46_vgpr47_vgpr48_vgpr49
                                        ; implicit-def: $vgpr6
                                        ; implicit-def: $vgpr8_vgpr9
                                        ; implicit-def: $vgpr58_vgpr59
	s_cbranch_execz .LBB34_40
; %bb.26:                               ;   in Loop: Header=BB34_3 Depth=1
	s_load_dword s8, s[44:45], 0x0
	v_pk_mov_b32 v[92:93], 0, 0
	v_pk_mov_b32 v[58:59], v[92:93], v[92:93] op_sel:[0,1]
	s_waitcnt lgkmcnt(0)
	s_cmp_lt_u32 s6, s8
	s_cselect_b32 s8, 12, 18
	s_add_u32 s8, s44, s8
	s_addc_u32 s9, s45, 0
	global_load_ushort v2, v4, s[8:9]
	s_waitcnt vmcnt(0)
	v_mad_u32_u24 v2, v89, v2, v87
	v_and_b32_e32 v2, 63, v2
	v_cmp_gt_u32_e32 vcc, 8, v2
	s_and_saveexec_b64 s[8:9], vcc
	s_cbranch_execz .LBB34_30
; %bb.27:                               ;   in Loop: Header=BB34_3 Depth=1
	v_add_co_u32_e32 v2, vcc, v97, v2
	v_addc_co_u32_e32 v3, vcc, 0, v98, vcc
	v_add_co_u32_e32 v2, vcc, 0xffffff81, v2
	v_addc_co_u32_e32 v3, vcc, -1, v3, vcc
	v_pk_mov_b32 v[58:59], 0, 0
	v_cmp_gt_i64_e32 vcc, s[36:37], v[2:3]
	v_pk_mov_b32 v[92:93], v[58:59], v[58:59] op_sel:[0,1]
	s_and_saveexec_b64 s[14:15], vcc
	s_cbranch_execz .LBB34_29
; %bb.28:                               ;   in Loop: Header=BB34_3 Depth=1
	v_lshlrev_b64 v[2:3], 3, v[2:3]
	v_mov_b32_e32 v5, s31
	v_add_co_u32_e32 v6, vcc, s30, v2
	v_addc_co_u32_e32 v7, vcc, v5, v3, vcc
	v_mov_b32_e32 v5, s29
	v_add_co_u32_e32 v2, vcc, s28, v2
	v_addc_co_u32_e32 v3, vcc, v5, v3, vcc
	global_load_dwordx2 v[58:59], v[2:3], off
	global_load_dwordx2 v[92:93], v[6:7], off
.LBB34_29:                              ;   in Loop: Header=BB34_3 Depth=1
	s_or_b64 exec, exec, s[14:15]
.LBB34_30:                              ;   in Loop: Header=BB34_3 Depth=1
	s_or_b64 exec, exec, s[8:9]
	s_mov_b32 s26, s12
	s_mov_b32 s27, s12
	;; [unrolled: 1-line block ×15, first 2 shown]
	v_pk_mov_b32 v[32:33], s[26:27], s[26:27] op_sel:[0,1]
	v_pk_mov_b32 v[30:31], s[24:25], s[24:25] op_sel:[0,1]
	;; [unrolled: 1-line block ×16, first 2 shown]
	s_and_saveexec_b64 s[8:9], s[2:3]
	s_cbranch_execnz .LBB34_42
; %bb.31:                               ;   in Loop: Header=BB34_3 Depth=1
	s_or_b64 exec, exec, s[8:9]
	s_and_saveexec_b64 s[8:9], s[2:3]
	s_cbranch_execnz .LBB34_43
.LBB34_32:                              ;   in Loop: Header=BB34_3 Depth=1
	s_or_b64 exec, exec, s[8:9]
	s_and_saveexec_b64 s[8:9], s[2:3]
	s_cbranch_execnz .LBB34_44
.LBB34_33:                              ;   in Loop: Header=BB34_3 Depth=1
	s_or_b64 exec, exec, s[8:9]
	s_and_saveexec_b64 s[8:9], s[2:3]
	s_cbranch_execnz .LBB34_45
.LBB34_34:                              ;   in Loop: Header=BB34_3 Depth=1
	s_or_b64 exec, exec, s[8:9]
	s_and_saveexec_b64 s[8:9], s[2:3]
	s_cbranch_execnz .LBB34_46
.LBB34_35:                              ;   in Loop: Header=BB34_3 Depth=1
	s_or_b64 exec, exec, s[8:9]
	s_and_saveexec_b64 s[8:9], s[2:3]
	s_cbranch_execnz .LBB34_47
.LBB34_36:                              ;   in Loop: Header=BB34_3 Depth=1
	s_or_b64 exec, exec, s[8:9]
	s_and_saveexec_b64 s[8:9], s[2:3]
	s_cbranch_execnz .LBB34_48
.LBB34_37:                              ;   in Loop: Header=BB34_3 Depth=1
	s_or_b64 exec, exec, s[8:9]
	s_and_saveexec_b64 s[8:9], s[2:3]
	s_cbranch_execz .LBB34_39
.LBB34_38:                              ;   in Loop: Header=BB34_3 Depth=1
	v_add_co_u32_e32 v2, vcc, v56, v54
	v_addc_co_u32_e32 v3, vcc, v1, v55, vcc
	global_load_dwordx2 v[48:49], v[2:3], off
	v_add_co_u32_e32 v2, vcc, v60, v54
	v_addc_co_u32_e32 v3, vcc, v53, v55, vcc
	global_load_dwordx2 v[32:33], v[2:3], off
.LBB34_39:                              ;   in Loop: Header=BB34_3 Depth=1
	s_or_b64 exec, exec, s[8:9]
	s_waitcnt vmcnt(1)
	ds_bpermute_b32 v2, v96, v58
	ds_bpermute_b32 v3, v96, v59
	s_waitcnt vmcnt(0)
	ds_bpermute_b32 v6, v96, v92
	ds_bpermute_b32 v7, v96, v93
	ds_bpermute_b32 v8, v96, v58 offset:4
	ds_bpermute_b32 v9, v96, v59 offset:4
	s_waitcnt lgkmcnt(4)
	v_add_f64 v[2:3], v[18:19], -v[2:3]
	v_mul_f64 v[2:3], v[34:35], v[2:3]
	s_waitcnt lgkmcnt(2)
	v_fmac_f64_e32 v[90:91], v[2:3], v[6:7]
	ds_bpermute_b32 v6, v96, v92 offset:4
	ds_bpermute_b32 v7, v96, v93 offset:4
	;; [unrolled: 1-line block ×4, first 2 shown]
	s_waitcnt lgkmcnt(4)
	v_add_f64 v[8:9], v[20:21], -v[8:9]
	v_mul_f64 v[8:9], v[36:37], v[8:9]
	s_waitcnt lgkmcnt(2)
	v_fmac_f64_e32 v[90:91], v[8:9], v[6:7]
	ds_bpermute_b32 v6, v96, v92 offset:8
	ds_bpermute_b32 v7, v96, v93 offset:8
	s_waitcnt lgkmcnt(2)
	v_add_f64 v[8:9], v[22:23], -v[10:11]
	ds_bpermute_b32 v10, v96, v58 offset:12
	ds_bpermute_b32 v11, v96, v59 offset:12
	v_mul_f64 v[8:9], v[38:39], v[8:9]
	s_waitcnt lgkmcnt(2)
	v_fmac_f64_e32 v[90:91], v[8:9], v[6:7]
	ds_bpermute_b32 v6, v96, v92 offset:12
	ds_bpermute_b32 v7, v96, v93 offset:12
	s_waitcnt lgkmcnt(2)
	v_add_f64 v[8:9], v[24:25], -v[10:11]
	ds_bpermute_b32 v10, v96, v58 offset:16
	ds_bpermute_b32 v11, v96, v59 offset:16
	;; [unrolled: 9-line block ×4, first 2 shown]
	v_add_f64 v[2:3], v[50:51], v[34:35]
	ds_bpermute_b32 v12, v96, v92 offset:24
	ds_bpermute_b32 v13, v96, v93 offset:24
	v_add_f64 v[2:3], v[36:37], v[2:3]
	v_add_f64 v[2:3], v[38:39], v[2:3]
	;; [unrolled: 1-line block ×3, first 2 shown]
	v_mul_f64 v[8:9], v[44:45], v[8:9]
	s_waitcnt lgkmcnt(2)
	v_add_f64 v[10:11], v[30:31], -v[10:11]
	v_add_f64 v[2:3], v[42:43], v[2:3]
	v_fmac_f64_e32 v[90:91], v[8:9], v[6:7]
	v_mul_f64 v[10:11], v[46:47], v[10:11]
	v_add_f64 v[8:9], v[44:45], v[2:3]
	s_waitcnt lgkmcnt(0)
	v_fmac_f64_e32 v[90:91], v[10:11], v[12:13]
	ds_bpermute_b32 v2, v96, v92 offset:28
	ds_bpermute_b32 v3, v96, v93 offset:28
	;; [unrolled: 1-line block ×4, first 2 shown]
	v_add_f64 v[8:9], v[46:47], v[8:9]
	v_pk_mov_b32 v[58:59], v[90:91], v[90:91] op_sel:[0,1]
.LBB34_40:                              ;   in Loop: Header=BB34_3 Depth=1
	s_waitcnt lgkmcnt(0)
	v_add_f64 v[6:7], v[32:33], -v[6:7]
	v_mul_f64 v[6:7], v[48:49], v[6:7]
	v_fmac_f64_e32 v[58:59], v[6:7], v[2:3]
	v_mov_b32_e32 v2, s47
	v_add_co_u32_e32 v56, vcc, s46, v56
	v_addc_co_u32_e32 v1, vcc, v1, v2, vcc
	v_add_co_u32_e32 v60, vcc, s46, v60
	v_addc_co_u32_e32 v53, vcc, v53, v2, vcc
	;; [unrolled: 2-line block ×15, first 2 shown]
	s_add_u32 s50, s50, s7
	v_add_co_u32_e32 v88, vcc, s46, v88
	s_addc_u32 s51, s51, 0
	v_addc_co_u32_e32 v85, vcc, v85, v2, vcc
	v_pk_mov_b32 v[2:3], s[36:37], s[36:37] op_sel:[0,1]
	s_add_u32 s48, s48, s7
	v_cmp_lt_i64_e32 vcc, s[50:51], v[2:3]
	v_add_f64 v[50:51], v[8:9], v[48:49]
	s_addc_u32 s49, s49, 0
	s_cbranch_vccz .LBB34_50
; %bb.41:                               ;   in Loop: Header=BB34_3 Depth=1
	v_pk_mov_b32 v[90:91], v[58:59], v[58:59] op_sel:[0,1]
	s_branch .LBB34_3
.LBB34_42:                              ;   in Loop: Header=BB34_3 Depth=1
	v_add_co_u32_e32 v2, vcc, v86, v54
	v_addc_co_u32_e32 v3, vcc, v83, v55, vcc
	v_add_co_u32_e32 v6, vcc, v88, v54
	global_load_dwordx2 v[2:3], v[2:3], off
	v_addc_co_u32_e32 v7, vcc, v85, v55, vcc
	global_load_dwordx2 v[18:19], v[6:7], off
	v_mov_b32_e32 v16, v4
	v_mov_b32_e32 v17, v4
	v_mov_b32_e32 v5, v4
	v_mov_b32_e32 v6, v4
	v_mov_b32_e32 v7, v4
	v_mov_b32_e32 v8, v4
	v_mov_b32_e32 v9, v4
	v_mov_b32_e32 v10, v4
	v_mov_b32_e32 v11, v4
	v_mov_b32_e32 v12, v4
	v_mov_b32_e32 v13, v4
	v_mov_b32_e32 v14, v4
	v_mov_b32_e32 v15, v4
	s_waitcnt vmcnt(1)
	v_pk_mov_b32 v[48:49], v[16:17], v[16:17] op_sel:[0,1]
	v_mov_b32_e32 v20, v4
	v_mov_b32_e32 v21, v4
	;; [unrolled: 1-line block ×14, first 2 shown]
	v_pk_mov_b32 v[46:47], v[14:15], v[14:15] op_sel:[0,1]
	v_pk_mov_b32 v[44:45], v[12:13], v[12:13] op_sel:[0,1]
	;; [unrolled: 1-line block ×7, first 2 shown]
	s_or_b64 exec, exec, s[8:9]
	s_and_saveexec_b64 s[8:9], s[2:3]
	s_cbranch_execz .LBB34_32
.LBB34_43:                              ;   in Loop: Header=BB34_3 Depth=1
	v_add_co_u32_e32 v2, vcc, v82, v54
	v_addc_co_u32_e32 v3, vcc, v79, v55, vcc
	global_load_dwordx2 v[36:37], v[2:3], off
	v_add_co_u32_e32 v2, vcc, v84, v54
	v_addc_co_u32_e32 v3, vcc, v81, v55, vcc
	global_load_dwordx2 v[20:21], v[2:3], off
	s_or_b64 exec, exec, s[8:9]
	s_and_saveexec_b64 s[8:9], s[2:3]
	s_cbranch_execz .LBB34_33
.LBB34_44:                              ;   in Loop: Header=BB34_3 Depth=1
	v_add_co_u32_e32 v2, vcc, v78, v54
	v_addc_co_u32_e32 v3, vcc, v75, v55, vcc
	global_load_dwordx2 v[38:39], v[2:3], off
	v_add_co_u32_e32 v2, vcc, v80, v54
	v_addc_co_u32_e32 v3, vcc, v77, v55, vcc
	global_load_dwordx2 v[22:23], v[2:3], off
	s_or_b64 exec, exec, s[8:9]
	s_and_saveexec_b64 s[8:9], s[2:3]
	s_cbranch_execz .LBB34_34
.LBB34_45:                              ;   in Loop: Header=BB34_3 Depth=1
	v_add_co_u32_e32 v2, vcc, v74, v54
	v_addc_co_u32_e32 v3, vcc, v71, v55, vcc
	global_load_dwordx2 v[40:41], v[2:3], off
	v_add_co_u32_e32 v2, vcc, v76, v54
	v_addc_co_u32_e32 v3, vcc, v73, v55, vcc
	global_load_dwordx2 v[24:25], v[2:3], off
	s_or_b64 exec, exec, s[8:9]
	s_and_saveexec_b64 s[8:9], s[2:3]
	s_cbranch_execz .LBB34_35
.LBB34_46:                              ;   in Loop: Header=BB34_3 Depth=1
	v_add_co_u32_e32 v2, vcc, v70, v54
	v_addc_co_u32_e32 v3, vcc, v67, v55, vcc
	global_load_dwordx2 v[42:43], v[2:3], off
	v_add_co_u32_e32 v2, vcc, v72, v54
	v_addc_co_u32_e32 v3, vcc, v69, v55, vcc
	global_load_dwordx2 v[26:27], v[2:3], off
	s_or_b64 exec, exec, s[8:9]
	s_and_saveexec_b64 s[8:9], s[2:3]
	s_cbranch_execz .LBB34_36
.LBB34_47:                              ;   in Loop: Header=BB34_3 Depth=1
	v_add_co_u32_e32 v2, vcc, v66, v54
	v_addc_co_u32_e32 v3, vcc, v63, v55, vcc
	global_load_dwordx2 v[44:45], v[2:3], off
	v_add_co_u32_e32 v2, vcc, v68, v54
	v_addc_co_u32_e32 v3, vcc, v65, v55, vcc
	global_load_dwordx2 v[28:29], v[2:3], off
	s_or_b64 exec, exec, s[8:9]
	s_and_saveexec_b64 s[8:9], s[2:3]
	s_cbranch_execz .LBB34_37
.LBB34_48:                              ;   in Loop: Header=BB34_3 Depth=1
	v_add_co_u32_e32 v2, vcc, v62, v54
	v_addc_co_u32_e32 v3, vcc, v57, v55, vcc
	global_load_dwordx2 v[46:47], v[2:3], off
	v_add_co_u32_e32 v2, vcc, v64, v54
	v_addc_co_u32_e32 v3, vcc, v61, v55, vcc
	global_load_dwordx2 v[30:31], v[2:3], off
	s_or_b64 exec, exec, s[8:9]
	s_and_saveexec_b64 s[8:9], s[2:3]
	s_cbranch_execnz .LBB34_38
	s_branch .LBB34_39
.LBB34_49:
	s_mov_b64 s[10:11], -1
                                        ; implicit-def: $vgpr50_vgpr51
                                        ; implicit-def: $vgpr58_vgpr59
.LBB34_50:
	s_andn2_b64 vcc, exec, s[10:11]
	s_cbranch_vccnz .LBB34_82
; %bb.51:
	v_pk_mov_b32 v[50:51], 0, 0
	s_and_b64 vcc, exec, s[0:1]
	v_pk_mov_b32 v[58:59], v[50:51], v[50:51] op_sel:[0,1]
	s_cbranch_vccnz .LBB34_82
; %bb.52:
	s_load_dword s0, s[4:5], 0x44
	s_add_u32 s2, s4, 64
	s_addc_u32 s3, s5, 0
	v_bfe_u32 v101, v0, 10, 10
	v_lshlrev_b32_e32 v1, 6, v101
	s_waitcnt lgkmcnt(0)
	s_lshl_b32 s7, s0, 7
	s_add_u32 s24, s34, 0x7f
	s_addc_u32 s25, 0, 0
	s_lshl_b64 s[0:1], s[34:35], 3
	v_mov_b32_e32 v2, s1
	v_add_co_u32_e32 v1, vcc, s0, v1
	v_addc_co_u32_e32 v4, vcc, 0, v2, vcc
	v_add_co_u32_e32 v6, vcc, 8, v1
	v_addc_co_u32_e32 v5, vcc, 0, v4, vcc
	v_add_co_u32_e32 v9, vcc, 16, v1
	v_mul_lo_u32 v7, s38, v5
	v_addc_co_u32_e32 v5, vcc, 0, v4, vcc
	v_add_co_u32_e32 v12, vcc, 24, v1
	v_mul_lo_u32 v10, s38, v5
	;; [unrolled: 3-line block ×5, first 2 shown]
	v_addc_co_u32_e32 v5, vcc, 0, v4, vcc
	v_add_co_u32_e32 v24, vcc, 56, v1
	v_lshlrev_b32_e32 v38, 3, v101
	v_addc_co_u32_e32 v1, vcc, 0, v4, vcc
	v_mul_lo_u32 v25, s38, v1
	v_mov_b32_e32 v1, s35
	v_add_co_u32_e32 v27, vcc, s34, v38
	v_pk_mov_b32 v[2:3], s[40:41], s[40:41] op_sel:[0,1]
	v_addc_co_u32_e32 v28, vcc, 0, v1, vcc
	v_mad_u64_u32 v[40:41], s[0:1], s38, v6, v[2:3]
	v_mad_u64_u32 v[42:43], s[0:1], s38, v9, v[2:3]
	v_mad_u64_u32 v[44:45], s[0:1], s38, v12, v[2:3]
	v_mad_u64_u32 v[46:47], s[0:1], s38, v15, v[2:3]
	v_mad_u64_u32 v[48:49], s[0:1], s38, v18, v[2:3]
	v_mad_u64_u32 v[52:53], s[0:1], s38, v21, v[2:3]
	v_mad_u64_u32 v[54:55], s[0:1], s38, v24, v[2:3]
	v_mul_lo_u32 v29, s39, v27
	v_mul_lo_u32 v30, s38, v28
	v_mad_u64_u32 v[2:3], s[0:1], s38, v27, 0
	v_add3_u32 v3, v3, v30, v29
	v_lshlrev_b64 v[2:3], 3, v[2:3]
	v_mul_lo_u32 v22, s38, v5
	v_mov_b32_e32 v31, s41
	v_add_co_u32_e32 v56, vcc, s40, v2
	v_pk_mov_b32 v[4:5], s[42:43], s[42:43] op_sel:[0,1]
	v_mul_lo_u32 v17, s39, v15
	v_addc_co_u32_e32 v1, vcc, v31, v3, vcc
	v_mad_u64_u32 v[66:67], s[0:1], s38, v15, v[4:5]
	v_add3_u32 v47, v17, v47, v16
	v_add3_u32 v67, v17, v67, v16
	v_mov_b32_e32 v16, s43
	v_add_co_u32_e32 v74, vcc, s42, v2
	v_addc_co_u32_e32 v39, vcc, v16, v3, vcc
	v_add_co_u32_e32 v2, vcc, 7, v27
	v_addc_co_u32_e32 v3, vcc, 0, v28, vcc
	v_mad_u64_u32 v[60:61], s[0:1], s38, v6, v[4:5]
	v_mad_u64_u32 v[62:63], s[0:1], s38, v9, v[4:5]
	;; [unrolled: 1-line block ×6, first 2 shown]
	v_mul_lo_u32 v4, s39, v2
	v_mul_lo_u32 v5, s38, v3
	v_mad_u64_u32 v[2:3], s[0:1], s38, v2, 0
	v_add3_u32 v3, v3, v5, v4
	v_add_co_u32_e32 v4, vcc, 6, v27
	v_mul_lo_u32 v8, s39, v6
	v_addc_co_u32_e32 v5, vcc, 0, v28, vcc
	v_add3_u32 v41, v8, v41, v7
	v_add3_u32 v61, v8, v61, v7
	v_mul_lo_u32 v6, s39, v4
	v_mul_lo_u32 v7, s38, v5
	v_mad_u64_u32 v[4:5], s[0:1], s38, v4, 0
	v_add3_u32 v5, v5, v7, v6
	v_add_co_u32_e32 v6, vcc, 5, v27
	v_addc_co_u32_e32 v7, vcc, 0, v28, vcc
	v_mul_lo_u32 v11, s39, v9
	v_mul_lo_u32 v8, s39, v6
	;; [unrolled: 1-line block ×3, first 2 shown]
	v_mad_u64_u32 v[6:7], s[0:1], s38, v6, 0
	v_add3_u32 v7, v7, v9, v8
	v_add_co_u32_e32 v8, vcc, 4, v27
	v_addc_co_u32_e32 v9, vcc, 0, v28, vcc
	v_add3_u32 v43, v11, v43, v10
	v_add3_u32 v63, v11, v63, v10
	v_mul_lo_u32 v10, s39, v8
	v_mul_lo_u32 v11, s38, v9
	v_mad_u64_u32 v[8:9], s[0:1], s38, v8, 0
	v_add3_u32 v9, v9, v11, v10
	v_add_co_u32_e32 v10, vcc, 3, v27
	v_mul_lo_u32 v14, s39, v12
	v_addc_co_u32_e32 v11, vcc, 0, v28, vcc
	v_add3_u32 v45, v14, v45, v13
	v_add3_u32 v65, v14, v65, v13
	v_mul_lo_u32 v12, s39, v10
	v_mul_lo_u32 v13, s38, v11
	v_mad_u64_u32 v[10:11], s[0:1], s38, v10, 0
	v_add3_u32 v11, v11, v13, v12
	v_add_co_u32_e32 v12, vcc, 2, v27
	v_lshlrev_b64 v[2:3], 3, v[2:3]
	v_addc_co_u32_e32 v13, vcc, 0, v28, vcc
	v_add_co_u32_e32 v76, vcc, s40, v2
	v_addc_co_u32_e32 v57, vcc, v31, v3, vcc
	v_add_co_u32_e32 v78, vcc, s42, v2
	v_addc_co_u32_e32 v75, vcc, v16, v3, vcc
	v_lshlrev_b64 v[2:3], 3, v[4:5]
	v_add_co_u32_e32 v80, vcc, s40, v2
	v_addc_co_u32_e32 v77, vcc, v31, v3, vcc
	v_add_co_u32_e32 v82, vcc, s42, v2
	v_addc_co_u32_e32 v79, vcc, v16, v3, vcc
	v_lshlrev_b64 v[2:3], 3, v[6:7]
	;; [unrolled: 5-line block ×4, first 2 shown]
	v_add_co_u32_e32 v92, vcc, s40, v2
	v_mul_lo_u32 v14, s39, v12
	v_mul_lo_u32 v15, s38, v13
	v_mad_u64_u32 v[12:13], s[0:1], s38, v12, 0
	v_addc_co_u32_e32 v89, vcc, v31, v3, vcc
	v_add3_u32 v13, v13, v15, v14
	v_add_co_u32_e32 v94, vcc, s42, v2
	v_addc_co_u32_e32 v91, vcc, v16, v3, vcc
	v_lshlrev_b64 v[2:3], 3, v[12:13]
	v_pk_mov_b32 v[14:15], s[38:39], s[38:39] op_sel:[0,1]
	v_add_co_u32_e32 v96, vcc, s40, v2
	v_mad_u64_u32 v[14:15], s[0:1], s38, v27, v[14:15]
	v_addc_co_u32_e32 v93, vcc, v31, v3, vcc
	v_add3_u32 v15, v29, v15, v30
	v_add_co_u32_e32 v98, vcc, s42, v2
	v_addc_co_u32_e32 v95, vcc, v16, v3, vcc
	v_lshlrev_b64 v[2:3], 3, v[14:15]
	v_add_co_u32_e32 v100, vcc, s40, v2
	v_addc_co_u32_e32 v97, vcc, v31, v3, vcc
	v_add_co_u32_e32 v102, vcc, s42, v2
	v_and_b32_e32 v103, 0x3ff, v0
	v_mov_b32_e32 v4, 0
	v_addc_co_u32_e32 v99, vcc, v16, v3, vcc
	v_add_u32_e32 v2, s33, v103
	v_mov_b32_e32 v3, v4
	v_lshlrev_b64 v[104:105], 3, v[2:3]
	v_mbcnt_lo_u32_b32 v2, -1, 0
	s_mul_i32 s0, s39, s7
	s_mul_hi_u32 s1, s38, s7
	v_mbcnt_hi_u32_b32 v2, -1, v2
	v_mul_lo_u32 v20, s39, v18
	v_mul_lo_u32 v23, s39, v21
	;; [unrolled: 1-line block ×3, first 2 shown]
	s_add_i32 s1, s1, s0
	s_mul_i32 s0, s38, s7
	v_lshlrev_b32_e32 v2, 2, v2
	v_pk_mov_b32 v[58:59], 0, 0
	v_add3_u32 v49, v20, v49, v19
	v_add3_u32 v53, v23, v53, v22
	;; [unrolled: 1-line block ×6, first 2 shown]
	s_mov_b32 s8, 0
	s_lshl_b64 s[26:27], s[0:1], 3
	v_and_b32_e32 v110, 0x100, v2
	v_pk_mov_b32 v[50:51], v[58:59], v[58:59] op_sel:[0,1]
	s_branch .LBB34_56
.LBB34_53:                              ;   in Loop: Header=BB34_56 Depth=1
	s_or_b64 exec, exec, s[10:11]
.LBB34_54:                              ;   in Loop: Header=BB34_56 Depth=1
	s_or_b64 exec, exec, s[0:1]
	v_add_co_u32_e32 v8, vcc, v56, v104
	v_addc_co_u32_e32 v9, vcc, v1, v105, vcc
	global_load_dwordx2 v[12:13], v[8:9], off
	v_add_co_u32_e32 v8, vcc, v74, v104
	v_addc_co_u32_e32 v9, vcc, v39, v105, vcc
	global_load_dwordx2 v[30:31], v[8:9], off
	v_add_co_u32_e32 v8, vcc, v40, v104
	v_addc_co_u32_e32 v9, vcc, v41, v105, vcc
	v_add_co_u32_e32 v10, vcc, v60, v104
	v_addc_co_u32_e32 v11, vcc, v61, v105, vcc
	global_load_dwordx2 v[34:35], v[10:11], off
	global_load_dwordx2 v[24:25], v[8:9], off
	v_add_co_u32_e32 v8, vcc, v42, v104
	v_addc_co_u32_e32 v9, vcc, v43, v105, vcc
	v_add_co_u32_e32 v10, vcc, v62, v104
	v_addc_co_u32_e32 v11, vcc, v63, v105, vcc
	global_load_dwordx2 v[106:107], v[10:11], off
	global_load_dwordx2 v[32:33], v[8:9], off
	v_add_co_u32_e32 v8, vcc, v44, v104
	v_addc_co_u32_e32 v9, vcc, v45, v105, vcc
	global_load_dwordx2 v[22:23], v[8:9], off
	v_add_co_u32_e32 v8, vcc, v64, v104
	v_addc_co_u32_e32 v9, vcc, v65, v105, vcc
	;; [unrolled: 3-line block ×7, first 2 shown]
	v_add_co_u32_e32 v16, vcc, v70, v104
	v_addc_co_u32_e32 v17, vcc, v71, v105, vcc
	global_load_dwordx2 v[16:17], v[16:17], off
	v_add_co_u32_e32 v20, vcc, v54, v104
	v_addc_co_u32_e32 v21, vcc, v55, v105, vcc
	v_add_co_u32_e32 v18, vcc, v72, v104
	global_load_dwordx2 v[8:9], v[8:9], off
	v_addc_co_u32_e32 v19, vcc, v73, v105, vcc
	global_load_dwordx2 v[18:19], v[18:19], off
	s_nop 0
	global_load_dwordx2 v[20:21], v[20:21], off
	s_waitcnt vmcnt(17)
	ds_bpermute_b32 v108, v110, v6
	ds_bpermute_b32 v109, v110, v7
	s_waitcnt vmcnt(16)
	ds_bpermute_b32 v112, v110, v2
	ds_bpermute_b32 v113, v110, v3
	ds_bpermute_b32 v114, v110, v2 offset:4
	ds_bpermute_b32 v115, v110, v3 offset:4
	s_waitcnt vmcnt(14) lgkmcnt(4)
	v_add_f64 v[30:31], v[30:31], -v[108:109]
	ds_bpermute_b32 v108, v110, v6 offset:4
	ds_bpermute_b32 v109, v110, v7 offset:4
	v_mul_f64 v[30:31], v[12:13], v[30:31]
	s_waitcnt lgkmcnt(4)
	v_fmac_f64_e32 v[58:59], v[30:31], v[112:113]
	v_add_f64 v[12:13], v[50:51], v[12:13]
	s_waitcnt vmcnt(13) lgkmcnt(0)
	v_add_f64 v[30:31], v[34:35], -v[108:109]
	ds_bpermute_b32 v34, v110, v6 offset:8
	ds_bpermute_b32 v35, v110, v7 offset:8
	;; [unrolled: 1-line block ×4, first 2 shown]
	s_waitcnt vmcnt(12)
	v_mul_f64 v[30:31], v[24:25], v[30:31]
	v_fmac_f64_e32 v[58:59], v[30:31], v[114:115]
	v_add_f64 v[12:13], v[12:13], v[24:25]
	ds_bpermute_b32 v24, v110, v2 offset:12
	s_waitcnt vmcnt(11) lgkmcnt(3)
	v_add_f64 v[30:31], v[106:107], -v[34:35]
	s_waitcnt vmcnt(10)
	v_mul_f64 v[30:31], v[32:33], v[30:31]
	s_waitcnt lgkmcnt(1)
	v_fmac_f64_e32 v[58:59], v[30:31], v[108:109]
	ds_bpermute_b32 v30, v110, v6 offset:12
	ds_bpermute_b32 v31, v110, v7 offset:12
	v_add_f64 v[12:13], v[12:13], v[32:33]
	ds_bpermute_b32 v25, v110, v3 offset:12
	ds_bpermute_b32 v32, v110, v6 offset:16
	;; [unrolled: 1-line block ×3, first 2 shown]
	s_waitcnt vmcnt(9)
	v_add_f64 v[12:13], v[12:13], v[22:23]
	s_waitcnt vmcnt(8) lgkmcnt(3)
	v_add_f64 v[30:31], v[36:37], -v[30:31]
	v_mul_f64 v[30:31], v[22:23], v[30:31]
	ds_bpermute_b32 v22, v110, v2 offset:16
	ds_bpermute_b32 v23, v110, v3 offset:16
	s_waitcnt lgkmcnt(4)
	v_fmac_f64_e32 v[58:59], v[30:31], v[24:25]
	s_waitcnt vmcnt(7)
	v_add_f64 v[12:13], v[12:13], v[14:15]
	s_waitcnt vmcnt(6) lgkmcnt(2)
	v_add_f64 v[24:25], v[28:29], -v[32:33]
	ds_bpermute_b32 v28, v110, v6 offset:20
	ds_bpermute_b32 v29, v110, v7 offset:20
	v_mul_f64 v[24:25], v[14:15], v[24:25]
	s_waitcnt lgkmcnt(2)
	v_fmac_f64_e32 v[58:59], v[24:25], v[22:23]
	ds_bpermute_b32 v14, v110, v2 offset:20
	ds_bpermute_b32 v15, v110, v3 offset:20
	;; [unrolled: 1-line block ×4, first 2 shown]
	s_waitcnt vmcnt(4) lgkmcnt(4)
	v_add_f64 v[22:23], v[26:27], -v[28:29]
	v_mul_f64 v[22:23], v[10:11], v[22:23]
	s_waitcnt lgkmcnt(2)
	v_fmac_f64_e32 v[58:59], v[22:23], v[14:15]
	v_add_f64 v[10:11], v[12:13], v[10:11]
	ds_bpermute_b32 v12, v110, v2 offset:24
	ds_bpermute_b32 v13, v110, v3 offset:24
	;; [unrolled: 1-line block ×4, first 2 shown]
	s_waitcnt vmcnt(3) lgkmcnt(4)
	v_add_f64 v[14:15], v[16:17], -v[24:25]
	ds_bpermute_b32 v16, v110, v6 offset:28
	ds_bpermute_b32 v17, v110, v7 offset:28
	s_waitcnt vmcnt(2)
	v_mul_f64 v[14:15], v[8:9], v[14:15]
	v_add_f64 v[6:7], v[10:11], v[8:9]
	s_waitcnt vmcnt(1) lgkmcnt(0)
	v_add_f64 v[8:9], v[18:19], -v[16:17]
	v_fmac_f64_e32 v[58:59], v[14:15], v[12:13]
	s_waitcnt vmcnt(0)
	v_mul_f64 v[8:9], v[20:21], v[8:9]
	v_mul_f64 v[8:9], v[8:9], v[2:3]
	v_pk_mov_b32 v[2:3], v[58:59], v[58:59] op_sel:[0,1]
.LBB34_55:                              ;   in Loop: Header=BB34_56 Depth=1
	v_add_f64 v[58:59], v[2:3], v[8:9]
	v_mov_b32_e32 v2, s27
	v_add_co_u32_e32 v40, vcc, s26, v40
	v_addc_co_u32_e32 v41, vcc, v41, v2, vcc
	v_add_co_u32_e32 v42, vcc, s26, v42
	v_addc_co_u32_e32 v43, vcc, v43, v2, vcc
	;; [unrolled: 2-line block ×29, first 2 shown]
	s_add_u32 s34, s34, s7
	v_add_co_u32_e32 v102, vcc, s26, v102
	s_addc_u32 s35, s35, 0
	v_addc_co_u32_e32 v99, vcc, v99, v2, vcc
	v_pk_mov_b32 v[2:3], s[36:37], s[36:37] op_sel:[0,1]
	s_add_u32 s24, s24, s7
	v_cmp_ge_i64_e32 vcc, s[34:35], v[2:3]
	v_add_f64 v[50:51], v[6:7], v[20:21]
	s_addc_u32 s25, s25, 0
	s_cbranch_vccnz .LBB34_82
.LBB34_56:                              ; =>This Inner Loop Header: Depth=1
	v_pk_mov_b32 v[2:3], s[36:37], s[36:37] op_sel:[0,1]
	v_cmp_ge_i64_e32 vcc, s[24:25], v[2:3]
	v_mov_b32_e32 v2, s25
	v_add_co_u32_e64 v111, s[0:1], s24, v38
	v_addc_co_u32_e64 v112, s[0:1], 0, v2, s[0:1]
	s_cbranch_vccz .LBB34_78
; %bb.57:                               ;   in Loop: Header=BB34_56 Depth=1
	s_load_dword s0, s[2:3], 0xc
	v_pk_mov_b32 v[106:107], 0, 0
	v_pk_mov_b32 v[108:109], v[106:107], v[106:107] op_sel:[0,1]
	s_waitcnt lgkmcnt(0)
	s_and_b32 s0, s0, 0xffff
	v_mad_u32_u24 v2, v101, s0, v103
	v_and_b32_e32 v2, 63, v2
	v_cmp_gt_u32_e32 vcc, 8, v2
	s_and_saveexec_b64 s[0:1], vcc
	s_cbranch_execz .LBB34_61
; %bb.58:                               ;   in Loop: Header=BB34_56 Depth=1
	v_add_co_u32_e32 v2, vcc, v111, v2
	v_addc_co_u32_e32 v3, vcc, 0, v112, vcc
	v_add_co_u32_e32 v2, vcc, 0xffffff81, v2
	v_addc_co_u32_e32 v3, vcc, -1, v3, vcc
	v_pk_mov_b32 v[108:109], 0, 0
	v_cmp_gt_i64_e32 vcc, s[36:37], v[2:3]
	v_pk_mov_b32 v[106:107], v[108:109], v[108:109] op_sel:[0,1]
	s_and_saveexec_b64 s[10:11], vcc
	s_cbranch_execz .LBB34_60
; %bb.59:                               ;   in Loop: Header=BB34_56 Depth=1
	v_lshlrev_b64 v[2:3], 3, v[2:3]
	v_mov_b32_e32 v5, s31
	v_add_co_u32_e32 v6, vcc, s30, v2
	v_addc_co_u32_e32 v7, vcc, v5, v3, vcc
	v_mov_b32_e32 v5, s29
	v_add_co_u32_e32 v2, vcc, s28, v2
	v_addc_co_u32_e32 v3, vcc, v5, v3, vcc
	global_load_dwordx2 v[108:109], v[2:3], off
	global_load_dwordx2 v[106:107], v[6:7], off
.LBB34_60:                              ;   in Loop: Header=BB34_56 Depth=1
	s_or_b64 exec, exec, s[10:11]
.LBB34_61:                              ;   in Loop: Header=BB34_56 Depth=1
	s_or_b64 exec, exec, s[0:1]
	s_mov_b32 s22, s8
	s_mov_b32 s23, s8
	;; [unrolled: 1-line block ×15, first 2 shown]
	v_pk_mov_b32 v[36:37], s[22:23], s[22:23] op_sel:[0,1]
	v_add_co_u32_e32 v2, vcc, 0xffffff81, v111
	v_pk_mov_b32 v[22:23], s[8:9], s[8:9] op_sel:[0,1]
	v_addc_co_u32_e32 v3, vcc, -1, v112, vcc
	v_pk_mov_b32 v[34:35], s[20:21], s[20:21] op_sel:[0,1]
	v_pk_mov_b32 v[32:33], s[18:19], s[18:19] op_sel:[0,1]
	v_pk_mov_b32 v[30:31], s[16:17], s[16:17] op_sel:[0,1]
	v_pk_mov_b32 v[28:29], s[14:15], s[14:15] op_sel:[0,1]
	v_pk_mov_b32 v[26:27], s[12:13], s[12:13] op_sel:[0,1]
	v_pk_mov_b32 v[24:25], s[10:11], s[10:11] op_sel:[0,1]
	v_pk_mov_b32 v[6:7], v[22:23], v[22:23] op_sel:[0,1]
	v_cmp_gt_i64_e32 vcc, s[36:37], v[2:3]
	v_pk_mov_b32 v[8:9], v[24:25], v[24:25] op_sel:[0,1]
	v_pk_mov_b32 v[10:11], v[26:27], v[26:27] op_sel:[0,1]
	;; [unrolled: 1-line block ×7, first 2 shown]
	s_and_saveexec_b64 s[0:1], vcc
	s_cbranch_execz .LBB34_63
; %bb.62:                               ;   in Loop: Header=BB34_56 Depth=1
	v_add_co_u32_e32 v2, vcc, v56, v104
	v_addc_co_u32_e32 v3, vcc, v1, v105, vcc
	v_add_co_u32_e32 v6, vcc, v74, v104
	global_load_dwordx2 v[2:3], v[2:3], off
	v_addc_co_u32_e32 v7, vcc, v39, v105, vcc
	global_load_dwordx2 v[22:23], v[6:7], off
	v_mov_b32_e32 v6, v4
	v_mov_b32_e32 v7, v4
	;; [unrolled: 1-line block ×13, first 2 shown]
	s_waitcnt vmcnt(1)
	v_pk_mov_b32 v[20:21], v[16:17], v[16:17] op_sel:[0,1]
	v_mov_b32_e32 v24, v4
	v_mov_b32_e32 v25, v4
	;; [unrolled: 1-line block ×14, first 2 shown]
	v_pk_mov_b32 v[18:19], v[14:15], v[14:15] op_sel:[0,1]
	v_pk_mov_b32 v[16:17], v[12:13], v[12:13] op_sel:[0,1]
	;; [unrolled: 1-line block ×7, first 2 shown]
.LBB34_63:                              ;   in Loop: Header=BB34_56 Depth=1
	s_or_b64 exec, exec, s[0:1]
	v_add_co_u32_e32 v2, vcc, 0xffffff82, v111
	v_addc_co_u32_e32 v3, vcc, -1, v112, vcc
	v_cmp_gt_i64_e32 vcc, s[36:37], v[2:3]
	s_and_saveexec_b64 s[0:1], vcc
	s_cbranch_execz .LBB34_65
; %bb.64:                               ;   in Loop: Header=BB34_56 Depth=1
	v_add_co_u32_e32 v2, vcc, v100, v104
	v_addc_co_u32_e32 v3, vcc, v97, v105, vcc
	global_load_dwordx2 v[8:9], v[2:3], off
	v_add_co_u32_e32 v2, vcc, v102, v104
	v_addc_co_u32_e32 v3, vcc, v99, v105, vcc
	global_load_dwordx2 v[24:25], v[2:3], off
.LBB34_65:                              ;   in Loop: Header=BB34_56 Depth=1
	s_or_b64 exec, exec, s[0:1]
	v_add_co_u32_e32 v2, vcc, 0xffffff83, v111
	v_addc_co_u32_e32 v3, vcc, -1, v112, vcc
	v_cmp_gt_i64_e32 vcc, s[36:37], v[2:3]
	s_and_saveexec_b64 s[0:1], vcc
	s_cbranch_execz .LBB34_67
; %bb.66:                               ;   in Loop: Header=BB34_56 Depth=1
	v_add_co_u32_e32 v2, vcc, v96, v104
	v_addc_co_u32_e32 v3, vcc, v93, v105, vcc
	global_load_dwordx2 v[10:11], v[2:3], off
	v_add_co_u32_e32 v2, vcc, v98, v104
	v_addc_co_u32_e32 v3, vcc, v95, v105, vcc
	global_load_dwordx2 v[26:27], v[2:3], off
.LBB34_67:                              ;   in Loop: Header=BB34_56 Depth=1
	;; [unrolled: 14-line block ×7, first 2 shown]
	s_or_b64 exec, exec, s[0:1]
	s_waitcnt vmcnt(1)
	ds_bpermute_b32 v2, v110, v108
	ds_bpermute_b32 v3, v110, v109
	s_waitcnt vmcnt(0)
	ds_bpermute_b32 v114, v110, v106
	ds_bpermute_b32 v115, v110, v107
	ds_bpermute_b32 v116, v110, v108 offset:4
	ds_bpermute_b32 v117, v110, v109 offset:4
	s_waitcnt lgkmcnt(4)
	v_add_f64 v[2:3], v[22:23], -v[2:3]
	v_mul_f64 v[2:3], v[6:7], v[2:3]
	s_waitcnt lgkmcnt(2)
	v_fma_f64 v[2:3], v[2:3], v[114:115], v[58:59]
	ds_bpermute_b32 v22, v110, v106 offset:4
	ds_bpermute_b32 v23, v110, v107 offset:4
	;; [unrolled: 1-line block ×4, first 2 shown]
	v_add_f64 v[6:7], v[50:51], v[6:7]
	s_waitcnt lgkmcnt(4)
	v_add_f64 v[24:25], v[24:25], -v[116:117]
	v_mul_f64 v[24:25], v[8:9], v[24:25]
	v_add_f64 v[6:7], v[8:9], v[6:7]
	ds_bpermute_b32 v8, v110, v106 offset:8
	ds_bpermute_b32 v9, v110, v107 offset:8
	s_waitcnt lgkmcnt(4)
	v_fmac_f64_e32 v[2:3], v[24:25], v[22:23]
	s_waitcnt lgkmcnt(2)
	v_add_f64 v[22:23], v[26:27], -v[114:115]
	ds_bpermute_b32 v24, v110, v108 offset:12
	ds_bpermute_b32 v25, v110, v109 offset:12
	v_mul_f64 v[22:23], v[10:11], v[22:23]
	s_waitcnt lgkmcnt(2)
	v_fmac_f64_e32 v[2:3], v[22:23], v[8:9]
	ds_bpermute_b32 v8, v110, v106 offset:12
	ds_bpermute_b32 v9, v110, v107 offset:12
	v_add_f64 v[6:7], v[10:11], v[6:7]
	s_waitcnt lgkmcnt(2)
	v_add_f64 v[10:11], v[28:29], -v[24:25]
	ds_bpermute_b32 v22, v110, v108 offset:16
	ds_bpermute_b32 v23, v110, v109 offset:16
	v_mul_f64 v[10:11], v[12:13], v[10:11]
	s_waitcnt lgkmcnt(2)
	v_fmac_f64_e32 v[2:3], v[10:11], v[8:9]
	v_add_f64 v[6:7], v[12:13], v[6:7]
	ds_bpermute_b32 v8, v110, v106 offset:16
	ds_bpermute_b32 v9, v110, v107 offset:16
	;; [unrolled: 1-line block ×4, first 2 shown]
	s_waitcnt lgkmcnt(4)
	v_add_f64 v[10:11], v[30:31], -v[22:23]
	v_mul_f64 v[10:11], v[14:15], v[10:11]
	s_waitcnt lgkmcnt(2)
	v_fmac_f64_e32 v[2:3], v[10:11], v[8:9]
	ds_bpermute_b32 v8, v110, v106 offset:20
	ds_bpermute_b32 v9, v110, v107 offset:20
	s_waitcnt lgkmcnt(2)
	v_add_f64 v[10:11], v[32:33], -v[12:13]
	ds_bpermute_b32 v12, v110, v108 offset:24
	ds_bpermute_b32 v13, v110, v109 offset:24
	v_mul_f64 v[10:11], v[16:17], v[10:11]
	s_waitcnt lgkmcnt(2)
	v_fmac_f64_e32 v[2:3], v[10:11], v[8:9]
	ds_bpermute_b32 v8, v110, v106 offset:24
	ds_bpermute_b32 v9, v110, v107 offset:24
	s_waitcnt lgkmcnt(2)
	v_add_f64 v[10:11], v[34:35], -v[12:13]
	ds_bpermute_b32 v12, v110, v108 offset:28
	ds_bpermute_b32 v13, v110, v109 offset:28
	v_add_f64 v[6:7], v[14:15], v[6:7]
	ds_bpermute_b32 v14, v110, v106 offset:28
	ds_bpermute_b32 v15, v110, v107 offset:28
	v_mul_f64 v[10:11], v[18:19], v[10:11]
	s_waitcnt lgkmcnt(4)
	v_fmac_f64_e32 v[2:3], v[10:11], v[8:9]
	s_waitcnt lgkmcnt(2)
	v_add_f64 v[8:9], v[36:37], -v[12:13]
	v_add_f64 v[6:7], v[16:17], v[6:7]
	v_mul_f64 v[8:9], v[20:21], v[8:9]
	v_add_f64 v[6:7], v[18:19], v[6:7]
	s_waitcnt lgkmcnt(0)
	v_mul_f64 v[8:9], v[8:9], v[14:15]
	s_branch .LBB34_55
.LBB34_78:                              ;   in Loop: Header=BB34_56 Depth=1
                                        ; implicit-def: $vgpr20_vgpr21
                                        ; implicit-def: $vgpr8_vgpr9
                                        ; implicit-def: $vgpr6_vgpr7
                                        ; implicit-def: $vgpr2_vgpr3
	s_cbranch_execz .LBB34_55
; %bb.79:                               ;   in Loop: Header=BB34_56 Depth=1
	s_load_dword s0, s[2:3], 0x0
	v_pk_mov_b32 v[2:3], 0, 0
	v_pk_mov_b32 v[6:7], v[2:3], v[2:3] op_sel:[0,1]
	s_waitcnt lgkmcnt(0)
	s_cmp_lt_u32 s6, s0
	s_cselect_b32 s0, 12, 18
	s_add_u32 s0, s2, s0
	s_addc_u32 s1, s3, 0
	global_load_ushort v5, v4, s[0:1]
	s_waitcnt vmcnt(0)
	v_mad_u32_u24 v5, v101, v5, v103
	v_and_b32_e32 v5, 63, v5
	v_cmp_gt_u32_e32 vcc, 8, v5
	s_and_saveexec_b64 s[0:1], vcc
	s_cbranch_execz .LBB34_54
; %bb.80:                               ;   in Loop: Header=BB34_56 Depth=1
	v_add_co_u32_e32 v2, vcc, v111, v5
	v_addc_co_u32_e32 v3, vcc, 0, v112, vcc
	v_add_co_u32_e32 v8, vcc, 0xffffff81, v2
	v_addc_co_u32_e32 v9, vcc, -1, v3, vcc
	v_pk_mov_b32 v[6:7], 0, 0
	v_cmp_gt_i64_e32 vcc, s[36:37], v[8:9]
	v_pk_mov_b32 v[2:3], v[6:7], v[6:7] op_sel:[0,1]
	s_and_saveexec_b64 s[10:11], vcc
	s_cbranch_execz .LBB34_53
; %bb.81:                               ;   in Loop: Header=BB34_56 Depth=1
	v_lshlrev_b64 v[2:3], 3, v[8:9]
	v_mov_b32_e32 v5, s31
	v_add_co_u32_e32 v8, vcc, s30, v2
	v_addc_co_u32_e32 v9, vcc, v5, v3, vcc
	v_mov_b32_e32 v5, s29
	v_add_co_u32_e32 v2, vcc, s28, v2
	v_addc_co_u32_e32 v3, vcc, v5, v3, vcc
	global_load_dwordx2 v[6:7], v[2:3], off
	s_nop 0
	global_load_dwordx2 v[2:3], v[8:9], off
	s_branch .LBB34_53
.LBB34_82:
	v_bfe_u32 v6, v0, 10, 10
	v_and_b32_e32 v0, 0x3ff, v0
	s_movk_i32 s0, 0x41
	v_mad_u32_u24 v1, v6, s0, v0
	v_lshl_add_u32 v1, v1, 3, 0
	v_lshrrev_b32_e32 v7, 6, v0
	ds_write_b64 v1, v[58:59]
	ds_write_b64 v1, v[50:51] offset:8320
	v_add_u32_e32 v1, v7, v6
	s_mov_b32 s7, 0
	v_cmp_gt_u32_e32 vcc, 64, v1
	s_waitcnt lgkmcnt(0)
	s_barrier
	s_and_saveexec_b64 s[0:1], vcc
	s_cbranch_execz .LBB34_92
; %bb.83:
	v_and_b32_e32 v1, 63, v0
	v_cmp_gt_u32_e64 s[0:1], 16, v1
	v_mul_u32_u24_e32 v8, 0x41, v1
	v_mbcnt_lo_u32_b32 v1, -1, 0
	v_mbcnt_hi_u32_b32 v1, -1, v1
	v_and_b32_e32 v2, 64, v1
	v_add_u32_e32 v2, 64, v2
	v_cmp_eq_u32_e64 s[2:3], 0, v0
	v_xor_b32_e32 v0, 8, v1
	v_cmp_lt_i32_e32 vcc, v0, v2
	v_cndmask_b32_e32 v0, v1, v0, vcc
	v_lshlrev_b32_e32 v10, 2, v0
	v_xor_b32_e32 v0, 4, v1
	v_cmp_lt_i32_e32 vcc, v0, v2
	v_cndmask_b32_e32 v0, v1, v0, vcc
	v_lshlrev_b32_e32 v11, 2, v0
	;; [unrolled: 4-line block ×3, first 2 shown]
	v_xor_b32_e32 v0, 1, v1
	v_cmp_lt_i32_e32 vcc, v0, v2
	s_load_dwordx4 s[8:11], s[4:5], 0x30
	v_cndmask_b32_e32 v0, v1, v0, vcc
	s_lshl_b64 s[4:5], s[6:7], 6
	v_lshlrev_b32_e32 v13, 2, v0
	v_add_co_u32_e32 v0, vcc, v7, v6
	v_addc_co_u32_e64 v1, s[16:17], 0, 0, vcc
	v_mov_b32_e32 v3, s5
	v_add_co_u32_e32 v2, vcc, s4, v0
	v_addc_co_u32_e32 v3, vcc, v1, v3, vcc
	v_lshlrev_b64 v[4:5], 3, v[2:3]
	s_waitcnt lgkmcnt(0)
	v_mov_b32_e32 v3, s11
	v_add_co_u32_e32 v2, vcc, s10, v4
	s_cmp_lg_u64 s[8:9], 0
	v_addc_co_u32_e32 v3, vcc, v3, v5, vcc
	s_cselect_b64 s[12:13], -1, 0
	s_cmp_lg_u64 s[10:11], 0
	v_mov_b32_e32 v9, s9
	v_add_co_u32_e32 v4, vcc, s8, v4
	v_add3_u32 v6, v8, v6, v7
	s_mov_b64 s[6:7], 0
	s_cselect_b64 s[14:15], -1, 0
	v_addc_co_u32_e32 v5, vcc, v9, v5, vcc
	v_lshl_add_u32 v14, v6, 3, 0
	v_mov_b32_e32 v15, s5
                                        ; implicit-def: $vgpr6_vgpr7
                                        ; implicit-def: $vgpr8_vgpr9
	s_branch .LBB34_85
.LBB34_84:                              ;   in Loop: Header=BB34_85 Depth=1
	s_or_b64 exec, exec, s[8:9]
	v_add_co_u32_e32 v0, vcc, 16, v0
	v_addc_co_u32_e32 v1, vcc, 0, v1, vcc
	v_add_co_u32_e32 v2, vcc, 0x80, v2
	v_addc_co_u32_e32 v3, vcc, 0, v3, vcc
	v_add_co_u32_e32 v4, vcc, 0x80, v4
	v_add_u32_e32 v16, -16, v0
	v_addc_co_u32_e32 v5, vcc, 0, v5, vcc
	v_cmp_lt_u32_e32 vcc, 47, v16
	s_or_b64 s[6:7], vcc, s[6:7]
	v_add_u32_e32 v14, 0x80, v14
	s_andn2_b64 exec, exec, s[6:7]
	s_cbranch_execz .LBB34_92
.LBB34_85:                              ; =>This Inner Loop Header: Depth=1
	s_and_saveexec_b64 s[8:9], s[0:1]
	s_cbranch_execz .LBB34_87
; %bb.86:                               ;   in Loop: Header=BB34_85 Depth=1
	ds_read_b64 v[6:7], v14
	ds_read_b64 v[8:9], v14 offset:8320
.LBB34_87:                              ;   in Loop: Header=BB34_85 Depth=1
	s_or_b64 exec, exec, s[8:9]
	s_waitcnt lgkmcnt(1)
	ds_bpermute_b32 v16, v10, v6
	ds_bpermute_b32 v17, v10, v7
	s_waitcnt lgkmcnt(2)
	ds_bpermute_b32 v18, v10, v8
	ds_bpermute_b32 v19, v10, v9
	s_waitcnt lgkmcnt(2)
	v_add_f64 v[6:7], v[6:7], v[16:17]
	ds_bpermute_b32 v16, v11, v6
	ds_bpermute_b32 v17, v11, v7
	s_waitcnt lgkmcnt(2)
	v_add_f64 v[8:9], v[8:9], v[18:19]
	;; [unrolled: 4-line block ×7, first 2 shown]
	v_add_co_u32_e32 v16, vcc, s4, v0
	v_addc_co_u32_e32 v17, vcc, v15, v1, vcc
	v_cmp_gt_i64_e32 vcc, s[38:39], v[16:17]
	s_waitcnt lgkmcnt(0)
	v_add_f64 v[8:9], v[8:9], v[18:19]
	s_and_b64 s[10:11], s[2:3], vcc
	s_and_saveexec_b64 s[8:9], s[10:11]
	s_cbranch_execz .LBB34_84
; %bb.88:                               ;   in Loop: Header=BB34_85 Depth=1
	s_andn2_b64 vcc, exec, s[12:13]
	s_cbranch_vccnz .LBB34_90
; %bb.89:                               ;   in Loop: Header=BB34_85 Depth=1
	global_store_dwordx2 v[4:5], v[6:7], off
.LBB34_90:                              ;   in Loop: Header=BB34_85 Depth=1
	s_andn2_b64 vcc, exec, s[14:15]
	s_cbranch_vccnz .LBB34_84
; %bb.91:                               ;   in Loop: Header=BB34_85 Depth=1
	global_store_dwordx2 v[2:3], v[8:9], off
	s_branch .LBB34_84
.LBB34_92:
	s_endpgm
	.section	.rodata,"a",@progbits
	.p2align	6, 0x0
	.amdhsa_kernel _ZN2at6native12_GLOBAL__N_135GammaBetaBackwardCUDAKernelTemplateIddLj64ELj16ELj128ELb0ELb0ELb0EEEvllPKT_S5_PKT0_S8_PS3_S9_
		.amdhsa_group_segment_fixed_size 0
		.amdhsa_private_segment_fixed_size 0
		.amdhsa_kernarg_size 320
		.amdhsa_user_sgpr_count 6
		.amdhsa_user_sgpr_private_segment_buffer 1
		.amdhsa_user_sgpr_dispatch_ptr 0
		.amdhsa_user_sgpr_queue_ptr 0
		.amdhsa_user_sgpr_kernarg_segment_ptr 1
		.amdhsa_user_sgpr_dispatch_id 0
		.amdhsa_user_sgpr_flat_scratch_init 0
		.amdhsa_user_sgpr_kernarg_preload_length 0
		.amdhsa_user_sgpr_kernarg_preload_offset 0
		.amdhsa_user_sgpr_private_segment_size 0
		.amdhsa_uses_dynamic_stack 0
		.amdhsa_system_sgpr_private_segment_wavefront_offset 0
		.amdhsa_system_sgpr_workgroup_id_x 1
		.amdhsa_system_sgpr_workgroup_id_y 1
		.amdhsa_system_sgpr_workgroup_id_z 0
		.amdhsa_system_sgpr_workgroup_info 0
		.amdhsa_system_vgpr_workitem_id 1
		.amdhsa_next_free_vgpr 118
		.amdhsa_next_free_sgpr 54
		.amdhsa_accum_offset 120
		.amdhsa_reserve_vcc 1
		.amdhsa_reserve_flat_scratch 0
		.amdhsa_float_round_mode_32 0
		.amdhsa_float_round_mode_16_64 0
		.amdhsa_float_denorm_mode_32 3
		.amdhsa_float_denorm_mode_16_64 3
		.amdhsa_dx10_clamp 1
		.amdhsa_ieee_mode 1
		.amdhsa_fp16_overflow 0
		.amdhsa_tg_split 0
		.amdhsa_exception_fp_ieee_invalid_op 0
		.amdhsa_exception_fp_denorm_src 0
		.amdhsa_exception_fp_ieee_div_zero 0
		.amdhsa_exception_fp_ieee_overflow 0
		.amdhsa_exception_fp_ieee_underflow 0
		.amdhsa_exception_fp_ieee_inexact 0
		.amdhsa_exception_int_div_zero 0
	.end_amdhsa_kernel
	.section	.text._ZN2at6native12_GLOBAL__N_135GammaBetaBackwardCUDAKernelTemplateIddLj64ELj16ELj128ELb0ELb0ELb0EEEvllPKT_S5_PKT0_S8_PS3_S9_,"axG",@progbits,_ZN2at6native12_GLOBAL__N_135GammaBetaBackwardCUDAKernelTemplateIddLj64ELj16ELj128ELb0ELb0ELb0EEEvllPKT_S5_PKT0_S8_PS3_S9_,comdat
.Lfunc_end34:
	.size	_ZN2at6native12_GLOBAL__N_135GammaBetaBackwardCUDAKernelTemplateIddLj64ELj16ELj128ELb0ELb0ELb0EEEvllPKT_S5_PKT0_S8_PS3_S9_, .Lfunc_end34-_ZN2at6native12_GLOBAL__N_135GammaBetaBackwardCUDAKernelTemplateIddLj64ELj16ELj128ELb0ELb0ELb0EEEvllPKT_S5_PKT0_S8_PS3_S9_
                                        ; -- End function
	.section	.AMDGPU.csdata,"",@progbits
; Kernel info:
; codeLenInByte = 8836
; NumSgprs: 58
; NumVgprs: 118
; NumAgprs: 0
; TotalNumVgprs: 118
; ScratchSize: 0
; MemoryBound: 1
; FloatMode: 240
; IeeeMode: 1
; LDSByteSize: 0 bytes/workgroup (compile time only)
; SGPRBlocks: 7
; VGPRBlocks: 14
; NumSGPRsForWavesPerEU: 58
; NumVGPRsForWavesPerEU: 118
; AccumOffset: 120
; Occupancy: 4
; WaveLimiterHint : 0
; COMPUTE_PGM_RSRC2:SCRATCH_EN: 0
; COMPUTE_PGM_RSRC2:USER_SGPR: 6
; COMPUTE_PGM_RSRC2:TRAP_HANDLER: 0
; COMPUTE_PGM_RSRC2:TGID_X_EN: 1
; COMPUTE_PGM_RSRC2:TGID_Y_EN: 1
; COMPUTE_PGM_RSRC2:TGID_Z_EN: 0
; COMPUTE_PGM_RSRC2:TIDIG_COMP_CNT: 1
; COMPUTE_PGM_RSRC3_GFX90A:ACCUM_OFFSET: 29
; COMPUTE_PGM_RSRC3_GFX90A:TG_SPLIT: 0
	.section	.text._ZN2at6native12_GLOBAL__N_135GammaBetaBackwardCUDAKernelTemplateIddLj64ELj16ELj256ELb0ELb1ELb0EEEvllPKT_S5_PKT0_S8_PS3_S9_,"axG",@progbits,_ZN2at6native12_GLOBAL__N_135GammaBetaBackwardCUDAKernelTemplateIddLj64ELj16ELj256ELb0ELb1ELb0EEEvllPKT_S5_PKT0_S8_PS3_S9_,comdat
	.globl	_ZN2at6native12_GLOBAL__N_135GammaBetaBackwardCUDAKernelTemplateIddLj64ELj16ELj256ELb0ELb1ELb0EEEvllPKT_S5_PKT0_S8_PS3_S9_ ; -- Begin function _ZN2at6native12_GLOBAL__N_135GammaBetaBackwardCUDAKernelTemplateIddLj64ELj16ELj256ELb0ELb1ELb0EEEvllPKT_S5_PKT0_S8_PS3_S9_
	.p2align	8
	.type	_ZN2at6native12_GLOBAL__N_135GammaBetaBackwardCUDAKernelTemplateIddLj64ELj16ELj256ELb0ELb1ELb0EEEvllPKT_S5_PKT0_S8_PS3_S9_,@function
_ZN2at6native12_GLOBAL__N_135GammaBetaBackwardCUDAKernelTemplateIddLj64ELj16ELj256ELb0ELb1ELb0EEEvllPKT_S5_PKT0_S8_PS3_S9_: ; @_ZN2at6native12_GLOBAL__N_135GammaBetaBackwardCUDAKernelTemplateIddLj64ELj16ELj256ELb0ELb1ELb0EEEvllPKT_S5_PKT0_S8_PS3_S9_
; %bb.0:
	s_load_dwordx4 s[20:23], s[4:5], 0x0
	s_lshl_b32 s2, s7, 8
	s_mov_b32 s3, 0
	v_bfe_u32 v38, v0, 10, 10
	s_waitcnt lgkmcnt(0)
	v_pk_mov_b32 v[2:3], s[20:21], s[20:21] op_sel:[0,1]
	v_cmp_lt_i64_e32 vcc, s[2:3], v[2:3]
	s_cbranch_vccnz .LBB35_2
; %bb.1:
	s_mov_b64 s[0:1], 0
	s_mov_b64 s[8:9], 0
	v_bfe_u32 v6, v0, 10, 10
	s_branch .LBB35_3
.LBB35_2:
	s_mov_b64 s[0:1], -1
                                        ; implicit-def: $sgpr8_sgpr9
                                        ; implicit-def: $vgpr6
.LBB35_3:
	s_load_dwordx4 s[16:19], s[4:5], 0x30
	v_and_b32_e32 v36, 0x3ff, v0
	s_andn2_b64 vcc, exec, s[0:1]
	v_pk_mov_b32 v[14:15], s[8:9], s[8:9] op_sel:[0,1]
	v_mbcnt_lo_u32_b32 v37, -1, 0
	v_pk_mov_b32 v[4:5], s[8:9], s[8:9] op_sel:[0,1]
	s_cbranch_vccnz .LBB35_11
; %bb.4:
	s_load_dword s0, s[4:5], 0x4c
	s_load_dword s7, s[4:5], 0x44
	s_load_dwordx8 s[8:15], s[4:5], 0x10
	v_mbcnt_hi_u32_b32 v2, -1, v37
	v_lshlrev_b32_e32 v0, 4, v38
	s_waitcnt lgkmcnt(0)
	s_and_b32 s0, s0, 0xffff
	v_lshlrev_b32_e32 v2, 2, v2
	v_mad_u32_u24 v1, v38, s0, v36
	v_and_b32_e32 v39, 0x100, v2
	v_mov_b32_e32 v2, s3
	v_add_co_u32_e32 v6, vcc, s2, v0
	v_and_b32_e32 v1, 63, v1
	v_addc_co_u32_e32 v7, vcc, 0, v2, vcc
	v_add_co_u32_e32 v0, vcc, v6, v1
	v_cmp_gt_u32_e64 s[0:1], 16, v1
	v_addc_co_u32_e32 v1, vcc, 0, v7, vcc
	v_mul_lo_u32 v8, s23, v6
	v_mul_lo_u32 v9, s22, v7
	v_mad_u64_u32 v[6:7], s[26:27], s22, v6, 0
	v_mov_b32_e32 v5, 0
	v_lshl_add_u32 v4, s6, 6, v36
	s_lshl_b32 s4, s7, 8
	v_add3_u32 v7, v7, v9, v8
	v_lshlrev_b64 v[6:7], 3, v[6:7]
	v_lshlrev_b64 v[4:5], 3, v[4:5]
	s_mul_i32 s7, s23, s4
	s_mul_hi_u32 s26, s22, s4
	s_mov_b32 s5, 0
	v_add_co_u32_e32 v6, vcc, v6, v4
	s_add_i32 s27, s26, s7
	s_mul_i32 s26, s22, s4
	v_pk_mov_b32 v[8:9], 0, 0
	v_or_b32_e32 v40, 4, v39
	v_or_b32_e32 v41, 8, v39
	;; [unrolled: 1-line block ×15, first 2 shown]
	v_lshlrev_b64 v[2:3], 3, v[0:1]
	s_lshl_b64 s[24:25], s[4:5], 3
	v_addc_co_u32_e32 v7, vcc, v7, v5, vcc
	s_lshl_b64 s[26:27], s[26:27], 3
	s_lshl_b64 s[22:23], s[22:23], 3
	v_pk_mov_b32 v[4:5], v[8:9], v[8:9] op_sel:[0,1]
	v_pk_mov_b32 v[14:15], v[8:9], v[8:9] op_sel:[0,1]
	s_branch .LBB35_7
.LBB35_5:                               ;   in Loop: Header=BB35_7 Depth=1
	s_or_b64 exec, exec, s[30:31]
.LBB35_6:                               ;   in Loop: Header=BB35_7 Depth=1
	s_or_b64 exec, exec, s[28:29]
	v_mov_b32_e32 v17, s11
	v_add_co_u32_e32 v18, vcc, s10, v6
	v_addc_co_u32_e32 v19, vcc, v17, v7, vcc
	v_mov_b32_e32 v16, s9
	v_add_co_u32_e32 v22, vcc, s8, v6
	global_load_dwordx2 v[28:29], v[18:19], off
	v_addc_co_u32_e32 v23, vcc, v16, v7, vcc
	global_load_dwordx2 v[16:17], v[22:23], off
	v_mov_b32_e32 v55, s23
	v_add_co_u32_e32 v20, vcc, s22, v18
	v_addc_co_u32_e32 v21, vcc, v19, v55, vcc
	global_load_dwordx2 v[26:27], v[20:21], off
	v_add_co_u32_e32 v22, vcc, s22, v22
	v_addc_co_u32_e32 v23, vcc, v23, v55, vcc
	global_load_dwordx2 v[18:19], v[22:23], off
	;; [unrolled: 3-line block ×4, first 2 shown]
	v_add_co_u32_e32 v56, vcc, s22, v22
	v_addc_co_u32_e32 v57, vcc, v23, v55, vcc
	s_waitcnt vmcnt(7)
	ds_bpermute_b32 v30, v39, v12
	ds_bpermute_b32 v31, v39, v13
	v_add_co_u32_e32 v58, vcc, s22, v32
	v_addc_co_u32_e32 v59, vcc, v33, v55, vcc
	global_load_dwordx2 v[22:23], v[56:57], off
	global_load_dwordx2 v[32:33], v[58:59], off
	s_waitcnt vmcnt(8)
	ds_bpermute_b32 v24, v39, v10
	ds_bpermute_b32 v25, v39, v11
	v_add_co_u32_e32 v56, vcc, s22, v56
	v_addc_co_u32_e32 v57, vcc, v57, v55, vcc
	v_add_co_u32_e32 v58, vcc, s22, v58
	v_addc_co_u32_e32 v59, vcc, v59, v55, vcc
	ds_bpermute_b32 v60, v40, v12
	ds_bpermute_b32 v61, v40, v13
	ds_bpermute_b32 v62, v40, v10
	ds_bpermute_b32 v63, v40, v11
	s_add_u32 s2, s2, s4
	s_addc_u32 s3, s3, 0
	s_waitcnt vmcnt(7) lgkmcnt(6)
	v_add_f64 v[30:31], v[28:29], -v[30:31]
	global_load_dwordx2 v[28:29], v[58:59], off
	s_waitcnt vmcnt(7)
	v_mul_f64 v[30:31], v[16:17], v[30:31]
	s_waitcnt lgkmcnt(4)
	v_fmac_f64_e32 v[4:5], v[30:31], v[24:25]
	global_load_dwordx2 v[24:25], v[56:57], off
	v_add_co_u32_e32 v56, vcc, s22, v56
	v_addc_co_u32_e32 v57, vcc, v57, v55, vcc
	v_add_co_u32_e32 v58, vcc, s22, v58
	v_addc_co_u32_e32 v59, vcc, v59, v55, vcc
	global_load_dwordx2 v[30:31], v[58:59], off
	s_waitcnt vmcnt(8) lgkmcnt(2)
	v_add_f64 v[26:27], v[26:27], -v[60:61]
	s_waitcnt vmcnt(7)
	v_mul_f64 v[26:27], v[18:19], v[26:27]
	s_waitcnt lgkmcnt(0)
	v_fmac_f64_e32 v[4:5], v[26:27], v[62:63]
	global_load_dwordx2 v[26:27], v[56:57], off
	ds_bpermute_b32 v60, v41, v12
	ds_bpermute_b32 v61, v41, v13
	v_add_co_u32_e32 v56, vcc, s22, v56
	v_addc_co_u32_e32 v57, vcc, v57, v55, vcc
	s_waitcnt vmcnt(7) lgkmcnt(0)
	v_add_f64 v[34:35], v[34:35], -v[60:61]
	ds_bpermute_b32 v60, v41, v10
	ds_bpermute_b32 v61, v41, v11
	s_waitcnt vmcnt(6)
	v_mul_f64 v[34:35], v[20:21], v[34:35]
	v_add_co_u32_e32 v58, vcc, s22, v58
	v_addc_co_u32_e32 v59, vcc, v59, v55, vcc
	s_waitcnt lgkmcnt(0)
	v_fmac_f64_e32 v[4:5], v[34:35], v[60:61]
	ds_bpermute_b32 v34, v42, v12
	ds_bpermute_b32 v35, v42, v13
	;; [unrolled: 1-line block ×4, first 2 shown]
	v_add_co_u32_e32 v62, vcc, s22, v56
	s_waitcnt vmcnt(4) lgkmcnt(2)
	v_add_f64 v[32:33], v[32:33], -v[34:35]
	ds_bpermute_b32 v34, v43, v12
	ds_bpermute_b32 v35, v43, v13
	v_mul_f64 v[32:33], v[22:23], v[32:33]
	s_waitcnt lgkmcnt(2)
	v_fmac_f64_e32 v[4:5], v[32:33], v[60:61]
	ds_bpermute_b32 v60, v43, v10
	ds_bpermute_b32 v61, v43, v11
	global_load_dwordx2 v[32:33], v[58:59], off
	v_addc_co_u32_e32 v63, vcc, v57, v55, vcc
	v_add_f64 v[14:15], v[14:15], v[16:17]
	v_add_f64 v[14:15], v[14:15], v[18:19]
	v_add_f64 v[14:15], v[14:15], v[20:21]
	v_add_f64 v[14:15], v[14:15], v[22:23]
	s_waitcnt vmcnt(4) lgkmcnt(2)
	v_add_f64 v[34:35], v[28:29], -v[34:35]
	global_load_dwordx2 v[28:29], v[56:57], off
	v_add_co_u32_e32 v56, vcc, s22, v58
	s_waitcnt vmcnt(4)
	v_mul_f64 v[34:35], v[24:25], v[34:35]
	s_waitcnt lgkmcnt(0)
	v_fmac_f64_e32 v[4:5], v[34:35], v[60:61]
	ds_bpermute_b32 v34, v44, v12
	ds_bpermute_b32 v35, v44, v13
	v_addc_co_u32_e32 v57, vcc, v59, v55, vcc
	global_load_dwordx2 v[58:59], v[56:57], off
	ds_bpermute_b32 v60, v45, v12
	ds_bpermute_b32 v61, v45, v13
	s_waitcnt vmcnt(4) lgkmcnt(2)
	v_add_f64 v[30:31], v[30:31], -v[34:35]
	ds_bpermute_b32 v34, v44, v10
	ds_bpermute_b32 v35, v44, v11
	v_add_f64 v[14:15], v[14:15], v[24:25]
	s_waitcnt vmcnt(3)
	v_mul_f64 v[30:31], v[26:27], v[30:31]
	v_add_f64 v[14:15], v[14:15], v[26:27]
	s_waitcnt lgkmcnt(0)
	v_fmac_f64_e32 v[4:5], v[30:31], v[34:35]
	global_load_dwordx2 v[30:31], v[62:63], off
	v_add_co_u32_e32 v34, vcc, s22, v62
	v_addc_co_u32_e32 v35, vcc, v63, v55, vcc
	v_add_co_u32_e32 v56, vcc, s22, v56
	v_addc_co_u32_e32 v57, vcc, v57, v55, vcc
	ds_bpermute_b32 v62, v48, v10
	ds_bpermute_b32 v63, v48, v11
	s_waitcnt vmcnt(3)
	v_add_f64 v[32:33], v[32:33], -v[60:61]
	ds_bpermute_b32 v60, v45, v10
	ds_bpermute_b32 v61, v45, v11
	s_waitcnt vmcnt(2)
	v_mul_f64 v[32:33], v[28:29], v[32:33]
	s_waitcnt lgkmcnt(0)
	v_fmac_f64_e32 v[4:5], v[32:33], v[60:61]
	ds_bpermute_b32 v32, v46, v12
	ds_bpermute_b32 v33, v46, v13
	global_load_dwordx2 v[60:61], v[56:57], off
	v_add_co_u32_e32 v56, vcc, s22, v56
	v_addc_co_u32_e32 v57, vcc, v57, v55, vcc
	s_waitcnt vmcnt(2) lgkmcnt(0)
	v_add_f64 v[32:33], v[58:59], -v[32:33]
	ds_bpermute_b32 v58, v46, v10
	ds_bpermute_b32 v59, v46, v11
	v_add_f64 v[14:15], v[14:15], v[28:29]
	s_waitcnt vmcnt(1)
	v_mul_f64 v[32:33], v[30:31], v[32:33]
	s_waitcnt lgkmcnt(0)
	v_fmac_f64_e32 v[4:5], v[32:33], v[58:59]
	global_load_dwordx2 v[32:33], v[34:35], off
	ds_bpermute_b32 v58, v47, v12
	ds_bpermute_b32 v59, v47, v13
	v_add_f64 v[66:67], v[14:15], v[30:31]
	s_waitcnt vmcnt(1) lgkmcnt(0)
	v_add_f64 v[58:59], v[60:61], -v[58:59]
	ds_bpermute_b32 v60, v47, v10
	ds_bpermute_b32 v61, v47, v11
	s_waitcnt vmcnt(0)
	v_mul_f64 v[58:59], v[32:33], v[58:59]
	s_waitcnt lgkmcnt(0)
	v_fmac_f64_e32 v[4:5], v[58:59], v[60:61]
	global_load_dwordx2 v[58:59], v[56:57], off
	v_add_co_u32_e32 v60, vcc, s22, v34
	v_addc_co_u32_e32 v61, vcc, v35, v55, vcc
	ds_bpermute_b32 v34, v48, v12
	ds_bpermute_b32 v35, v48, v13
	v_add_f64 v[32:33], v[66:67], v[32:33]
	s_waitcnt vmcnt(0) lgkmcnt(0)
	v_add_f64 v[58:59], v[58:59], -v[34:35]
	global_load_dwordx2 v[34:35], v[60:61], off
	s_waitcnt vmcnt(0)
	v_mul_f64 v[58:59], v[34:35], v[58:59]
	v_fmac_f64_e32 v[4:5], v[58:59], v[62:63]
	v_add_co_u32_e32 v58, vcc, s22, v60
	v_addc_co_u32_e32 v59, vcc, v61, v55, vcc
	v_add_co_u32_e32 v56, vcc, s22, v56
	v_addc_co_u32_e32 v57, vcc, v57, v55, vcc
	;; [unrolled: 2-line block ×12, first 2 shown]
	global_load_dwordx2 v[56:57], v[56:57], off
	s_nop 0
	global_load_dwordx2 v[58:59], v[58:59], off
	s_nop 0
	global_load_dwordx2 v[70:71], v[16:17], off
	global_load_dwordx2 v[30:31], v[60:61], off
	;; [unrolled: 1-line block ×4, first 2 shown]
	s_nop 0
	global_load_dwordx2 v[24:25], v[24:25], off
	s_nop 0
	global_load_dwordx2 v[22:23], v[22:23], off
	;; [unrolled: 2-line block ×3, first 2 shown]
	global_load_dwordx2 v[18:19], v[62:63], off
	global_load_dwordx2 v[16:17], v[68:69], off
	s_nop 0
	global_load_dwordx2 v[14:15], v[14:15], off
	ds_bpermute_b32 v60, v49, v12
	ds_bpermute_b32 v61, v49, v13
	v_add_f64 v[32:33], v[32:33], v[34:35]
	ds_bpermute_b32 v34, v49, v10
	ds_bpermute_b32 v35, v49, v11
	v_add_co_u32_e32 v2, vcc, s24, v2
	s_waitcnt vmcnt(11) lgkmcnt(2)
	v_add_f64 v[56:57], v[56:57], -v[60:61]
	ds_bpermute_b32 v60, v50, v12
	ds_bpermute_b32 v61, v50, v13
	s_waitcnt vmcnt(10)
	v_mul_f64 v[56:57], v[58:59], v[56:57]
	s_waitcnt lgkmcnt(2)
	v_fmac_f64_e32 v[4:5], v[56:57], v[34:35]
	v_add_f64 v[32:33], v[32:33], v[58:59]
	ds_bpermute_b32 v34, v50, v10
	ds_bpermute_b32 v35, v50, v11
	;; [unrolled: 1-line block ×4, first 2 shown]
	s_waitcnt vmcnt(9) lgkmcnt(4)
	v_add_f64 v[56:57], v[70:71], -v[60:61]
	s_waitcnt vmcnt(8)
	v_mul_f64 v[56:57], v[30:31], v[56:57]
	v_add_f64 v[30:31], v[32:33], v[30:31]
	ds_bpermute_b32 v32, v51, v10
	ds_bpermute_b32 v33, v51, v11
	s_waitcnt lgkmcnt(4)
	v_fmac_f64_e32 v[4:5], v[56:57], v[34:35]
	s_waitcnt vmcnt(7) lgkmcnt(2)
	v_add_f64 v[28:29], v[28:29], -v[58:59]
	ds_bpermute_b32 v34, v52, v12
	ds_bpermute_b32 v35, v52, v13
	s_waitcnt vmcnt(6)
	v_mul_f64 v[28:29], v[26:27], v[28:29]
	s_waitcnt lgkmcnt(2)
	v_fmac_f64_e32 v[4:5], v[28:29], v[32:33]
	ds_bpermute_b32 v28, v52, v10
	ds_bpermute_b32 v29, v52, v11
	v_add_f64 v[26:27], v[30:31], v[26:27]
	s_waitcnt vmcnt(5) lgkmcnt(2)
	v_add_f64 v[24:25], v[24:25], -v[34:35]
	ds_bpermute_b32 v30, v53, v12
	ds_bpermute_b32 v31, v53, v13
	s_waitcnt vmcnt(4)
	v_mul_f64 v[24:25], v[22:23], v[24:25]
	ds_bpermute_b32 v12, v54, v12
	ds_bpermute_b32 v13, v54, v13
	s_waitcnt lgkmcnt(4)
	v_fmac_f64_e32 v[4:5], v[24:25], v[28:29]
	ds_bpermute_b32 v24, v53, v10
	ds_bpermute_b32 v25, v53, v11
	;; [unrolled: 1-line block ×4, first 2 shown]
	s_waitcnt vmcnt(3) lgkmcnt(6)
	v_add_f64 v[20:21], v[20:21], -v[30:31]
	s_waitcnt vmcnt(2)
	v_mul_f64 v[20:21], v[18:19], v[20:21]
	s_waitcnt vmcnt(1) lgkmcnt(4)
	v_add_f64 v[12:13], v[16:17], -v[12:13]
	s_waitcnt lgkmcnt(2)
	v_fmac_f64_e32 v[4:5], v[20:21], v[24:25]
	s_waitcnt vmcnt(0)
	v_mul_f64 v[12:13], v[14:15], v[12:13]
	s_waitcnt lgkmcnt(0)
	v_fmac_f64_e32 v[4:5], v[12:13], v[10:11]
	v_mov_b32_e32 v10, s25
	v_addc_co_u32_e32 v3, vcc, v3, v10, vcc
	v_mov_b32_e32 v10, s5
	v_add_co_u32_e32 v0, vcc, s4, v0
	v_addc_co_u32_e32 v1, vcc, v1, v10, vcc
	v_mov_b32_e32 v10, s27
	v_add_co_u32_e32 v6, vcc, s26, v6
	v_add_f64 v[22:23], v[26:27], v[22:23]
	v_addc_co_u32_e32 v7, vcc, v7, v10, vcc
	v_pk_mov_b32 v[10:11], s[20:21], s[20:21] op_sel:[0,1]
	v_add_f64 v[18:19], v[22:23], v[18:19]
	v_cmp_lt_i64_e32 vcc, s[2:3], v[10:11]
	v_add_f64 v[14:15], v[18:19], v[14:15]
	s_cbranch_vccz .LBB35_10
.LBB35_7:                               ; =>This Inner Loop Header: Depth=1
	v_pk_mov_b32 v[10:11], v[8:9], v[8:9] op_sel:[0,1]
	v_pk_mov_b32 v[12:13], v[8:9], v[8:9] op_sel:[0,1]
	s_and_saveexec_b64 s[28:29], s[0:1]
	s_cbranch_execz .LBB35_6
; %bb.8:                                ;   in Loop: Header=BB35_7 Depth=1
	v_pk_mov_b32 v[12:13], 0, 0
	v_cmp_gt_i64_e32 vcc, s[20:21], v[0:1]
	v_pk_mov_b32 v[10:11], v[12:13], v[12:13] op_sel:[0,1]
	s_and_saveexec_b64 s[30:31], vcc
	s_cbranch_execz .LBB35_5
; %bb.9:                                ;   in Loop: Header=BB35_7 Depth=1
	v_mov_b32_e32 v10, s15
	v_add_co_u32_e32 v16, vcc, s14, v2
	v_addc_co_u32_e32 v17, vcc, v10, v3, vcc
	v_mov_b32_e32 v10, s13
	v_add_co_u32_e32 v18, vcc, s12, v2
	v_addc_co_u32_e32 v19, vcc, v10, v3, vcc
	global_load_dwordx2 v[12:13], v[18:19], off
	global_load_dwordx2 v[10:11], v[16:17], off
	s_branch .LBB35_5
.LBB35_10:
	v_mov_b32_e32 v6, v38
.LBB35_11:
	s_movk_i32 s0, 0x41
	v_mad_u32_u24 v0, v6, s0, v36
	v_lshl_add_u32 v0, v0, 3, 0
	ds_write_b64 v0, v[4:5]
	ds_write_b64 v0, v[14:15] offset:8320
	v_lshrrev_b32_e32 v4, 6, v36
	v_add_u32_e32 v0, v4, v6
	s_mov_b32 s7, 0
	v_cmp_gt_u32_e32 vcc, 64, v0
	s_waitcnt lgkmcnt(0)
	s_barrier
	s_and_saveexec_b64 s[0:1], vcc
	s_cbranch_execz .LBB35_21
; %bb.12:
	v_and_b32_e32 v1, 63, v36
	v_cmp_gt_u32_e64 s[0:1], 16, v1
	v_mul_u32_u24_e32 v5, 0x41, v1
	v_mbcnt_hi_u32_b32 v1, -1, v37
	v_and_b32_e32 v2, 64, v1
	v_add_u32_e32 v2, 64, v2
	v_xor_b32_e32 v3, 8, v1
	v_cmp_lt_i32_e32 vcc, v3, v2
	v_cndmask_b32_e32 v3, v1, v3, vcc
	v_lshlrev_b32_e32 v8, 2, v3
	v_xor_b32_e32 v3, 4, v1
	v_cmp_lt_i32_e32 vcc, v3, v2
	v_cndmask_b32_e32 v3, v1, v3, vcc
	v_lshlrev_b32_e32 v9, 2, v3
	;; [unrolled: 4-line block ×3, first 2 shown]
	v_xor_b32_e32 v3, 1, v1
	s_lshl_b64 s[10:11], s[6:7], 6
	v_cmp_lt_i32_e32 vcc, v3, v2
	v_cndmask_b32_e32 v1, v1, v3, vcc
	v_add_u32_e32 v12, -16, v0
	v_or_b32_e32 v0, s10, v4
	v_lshlrev_b32_e32 v11, 2, v1
	v_mov_b32_e32 v1, s11
	v_add_co_u32_e32 v0, vcc, v0, v6
	v_addc_co_u32_e32 v1, vcc, 0, v1, vcc
	v_lshlrev_b64 v[2:3], 3, v[0:1]
	v_mov_b32_e32 v1, s19
	v_add_co_u32_e32 v0, vcc, s18, v2
	s_cmp_lg_u64 s[16:17], 0
	v_addc_co_u32_e32 v1, vcc, v1, v3, vcc
	s_cselect_b64 s[6:7], -1, 0
	s_cmp_lg_u64 s[18:19], 0
	v_mov_b32_e32 v7, s17
	v_add_co_u32_e32 v2, vcc, s16, v2
	v_add3_u32 v4, v5, v6, v4
	v_cmp_eq_u32_e64 s[2:3], 0, v36
	s_mov_b64 s[4:5], 0
	s_cselect_b64 s[8:9], -1, 0
	v_addc_co_u32_e32 v3, vcc, v7, v3, vcc
	v_lshl_add_u32 v13, v4, 3, 0
                                        ; implicit-def: $vgpr4_vgpr5
                                        ; implicit-def: $vgpr6_vgpr7
	s_branch .LBB35_14
.LBB35_13:                              ;   in Loop: Header=BB35_14 Depth=1
	s_or_b64 exec, exec, s[10:11]
	v_add_co_u32_e32 v0, vcc, 0x80, v0
	v_addc_co_u32_e32 v1, vcc, 0, v1, vcc
	v_add_co_u32_e32 v2, vcc, 0x80, v2
	v_add_u32_e32 v12, 16, v12
	v_addc_co_u32_e32 v3, vcc, 0, v3, vcc
	v_cmp_lt_u32_e32 vcc, 47, v12
	s_or_b64 s[4:5], vcc, s[4:5]
	v_add_u32_e32 v13, 0x80, v13
	s_andn2_b64 exec, exec, s[4:5]
	s_cbranch_execz .LBB35_21
.LBB35_14:                              ; =>This Inner Loop Header: Depth=1
	s_and_saveexec_b64 s[10:11], s[0:1]
	s_cbranch_execz .LBB35_16
; %bb.15:                               ;   in Loop: Header=BB35_14 Depth=1
	ds_read_b64 v[4:5], v13
	ds_read_b64 v[6:7], v13 offset:8320
.LBB35_16:                              ;   in Loop: Header=BB35_14 Depth=1
	s_or_b64 exec, exec, s[10:11]
	s_waitcnt lgkmcnt(1)
	ds_bpermute_b32 v14, v8, v4
	ds_bpermute_b32 v15, v8, v5
	s_waitcnt lgkmcnt(2)
	ds_bpermute_b32 v16, v8, v6
	ds_bpermute_b32 v17, v8, v7
	s_waitcnt lgkmcnt(2)
	v_add_f64 v[4:5], v[4:5], v[14:15]
	ds_bpermute_b32 v14, v9, v4
	s_waitcnt lgkmcnt(1)
	v_add_f64 v[6:7], v[6:7], v[16:17]
	ds_bpermute_b32 v15, v9, v5
	ds_bpermute_b32 v16, v9, v6
	ds_bpermute_b32 v17, v9, v7
	s_waitcnt lgkmcnt(2)
	v_add_f64 v[4:5], v[4:5], v[14:15]
	ds_bpermute_b32 v14, v10, v4
	s_waitcnt lgkmcnt(1)
	v_add_f64 v[6:7], v[6:7], v[16:17]
	ds_bpermute_b32 v15, v10, v5
	ds_bpermute_b32 v16, v10, v6
	ds_bpermute_b32 v17, v10, v7
	s_waitcnt lgkmcnt(2)
	v_add_f64 v[4:5], v[4:5], v[14:15]
	ds_bpermute_b32 v14, v11, v4
	s_waitcnt lgkmcnt(1)
	v_add_f64 v[6:7], v[6:7], v[16:17]
	ds_bpermute_b32 v15, v11, v5
	ds_bpermute_b32 v16, v11, v6
	ds_bpermute_b32 v17, v11, v7
	s_waitcnt lgkmcnt(2)
	v_add_f64 v[4:5], v[4:5], v[14:15]
	s_waitcnt lgkmcnt(0)
	v_add_f64 v[6:7], v[6:7], v[16:17]
	s_and_saveexec_b64 s[10:11], s[2:3]
	s_cbranch_execz .LBB35_13
; %bb.17:                               ;   in Loop: Header=BB35_14 Depth=1
	s_andn2_b64 vcc, exec, s[6:7]
	s_cbranch_vccnz .LBB35_19
; %bb.18:                               ;   in Loop: Header=BB35_14 Depth=1
	global_store_dwordx2 v[2:3], v[4:5], off
.LBB35_19:                              ;   in Loop: Header=BB35_14 Depth=1
	s_andn2_b64 vcc, exec, s[8:9]
	s_cbranch_vccnz .LBB35_13
; %bb.20:                               ;   in Loop: Header=BB35_14 Depth=1
	global_store_dwordx2 v[0:1], v[6:7], off
	s_branch .LBB35_13
.LBB35_21:
	s_endpgm
	.section	.rodata,"a",@progbits
	.p2align	6, 0x0
	.amdhsa_kernel _ZN2at6native12_GLOBAL__N_135GammaBetaBackwardCUDAKernelTemplateIddLj64ELj16ELj256ELb0ELb1ELb0EEEvllPKT_S5_PKT0_S8_PS3_S9_
		.amdhsa_group_segment_fixed_size 0
		.amdhsa_private_segment_fixed_size 0
		.amdhsa_kernarg_size 320
		.amdhsa_user_sgpr_count 6
		.amdhsa_user_sgpr_private_segment_buffer 1
		.amdhsa_user_sgpr_dispatch_ptr 0
		.amdhsa_user_sgpr_queue_ptr 0
		.amdhsa_user_sgpr_kernarg_segment_ptr 1
		.amdhsa_user_sgpr_dispatch_id 0
		.amdhsa_user_sgpr_flat_scratch_init 0
		.amdhsa_user_sgpr_kernarg_preload_length 0
		.amdhsa_user_sgpr_kernarg_preload_offset 0
		.amdhsa_user_sgpr_private_segment_size 0
		.amdhsa_uses_dynamic_stack 0
		.amdhsa_system_sgpr_private_segment_wavefront_offset 0
		.amdhsa_system_sgpr_workgroup_id_x 1
		.amdhsa_system_sgpr_workgroup_id_y 1
		.amdhsa_system_sgpr_workgroup_id_z 0
		.amdhsa_system_sgpr_workgroup_info 0
		.amdhsa_system_vgpr_workitem_id 1
		.amdhsa_next_free_vgpr 72
		.amdhsa_next_free_sgpr 32
		.amdhsa_accum_offset 72
		.amdhsa_reserve_vcc 1
		.amdhsa_reserve_flat_scratch 0
		.amdhsa_float_round_mode_32 0
		.amdhsa_float_round_mode_16_64 0
		.amdhsa_float_denorm_mode_32 3
		.amdhsa_float_denorm_mode_16_64 3
		.amdhsa_dx10_clamp 1
		.amdhsa_ieee_mode 1
		.amdhsa_fp16_overflow 0
		.amdhsa_tg_split 0
		.amdhsa_exception_fp_ieee_invalid_op 0
		.amdhsa_exception_fp_denorm_src 0
		.amdhsa_exception_fp_ieee_div_zero 0
		.amdhsa_exception_fp_ieee_overflow 0
		.amdhsa_exception_fp_ieee_underflow 0
		.amdhsa_exception_fp_ieee_inexact 0
		.amdhsa_exception_int_div_zero 0
	.end_amdhsa_kernel
	.section	.text._ZN2at6native12_GLOBAL__N_135GammaBetaBackwardCUDAKernelTemplateIddLj64ELj16ELj256ELb0ELb1ELb0EEEvllPKT_S5_PKT0_S8_PS3_S9_,"axG",@progbits,_ZN2at6native12_GLOBAL__N_135GammaBetaBackwardCUDAKernelTemplateIddLj64ELj16ELj256ELb0ELb1ELb0EEEvllPKT_S5_PKT0_S8_PS3_S9_,comdat
.Lfunc_end35:
	.size	_ZN2at6native12_GLOBAL__N_135GammaBetaBackwardCUDAKernelTemplateIddLj64ELj16ELj256ELb0ELb1ELb0EEEvllPKT_S5_PKT0_S8_PS3_S9_, .Lfunc_end35-_ZN2at6native12_GLOBAL__N_135GammaBetaBackwardCUDAKernelTemplateIddLj64ELj16ELj256ELb0ELb1ELb0EEEvllPKT_S5_PKT0_S8_PS3_S9_
                                        ; -- End function
	.section	.AMDGPU.csdata,"",@progbits
; Kernel info:
; codeLenInByte = 2920
; NumSgprs: 36
; NumVgprs: 72
; NumAgprs: 0
; TotalNumVgprs: 72
; ScratchSize: 0
; MemoryBound: 0
; FloatMode: 240
; IeeeMode: 1
; LDSByteSize: 0 bytes/workgroup (compile time only)
; SGPRBlocks: 4
; VGPRBlocks: 8
; NumSGPRsForWavesPerEU: 36
; NumVGPRsForWavesPerEU: 72
; AccumOffset: 72
; Occupancy: 7
; WaveLimiterHint : 0
; COMPUTE_PGM_RSRC2:SCRATCH_EN: 0
; COMPUTE_PGM_RSRC2:USER_SGPR: 6
; COMPUTE_PGM_RSRC2:TRAP_HANDLER: 0
; COMPUTE_PGM_RSRC2:TGID_X_EN: 1
; COMPUTE_PGM_RSRC2:TGID_Y_EN: 1
; COMPUTE_PGM_RSRC2:TGID_Z_EN: 0
; COMPUTE_PGM_RSRC2:TIDIG_COMP_CNT: 1
; COMPUTE_PGM_RSRC3_GFX90A:ACCUM_OFFSET: 17
; COMPUTE_PGM_RSRC3_GFX90A:TG_SPLIT: 0
	.section	.text._ZN2at6native12_GLOBAL__N_135GammaBetaBackwardCUDAKernelTemplateIddLj64ELj16ELj256ELb0ELb0ELb0EEEvllPKT_S5_PKT0_S8_PS3_S9_,"axG",@progbits,_ZN2at6native12_GLOBAL__N_135GammaBetaBackwardCUDAKernelTemplateIddLj64ELj16ELj256ELb0ELb0ELb0EEEvllPKT_S5_PKT0_S8_PS3_S9_,comdat
	.globl	_ZN2at6native12_GLOBAL__N_135GammaBetaBackwardCUDAKernelTemplateIddLj64ELj16ELj256ELb0ELb0ELb0EEEvllPKT_S5_PKT0_S8_PS3_S9_ ; -- Begin function _ZN2at6native12_GLOBAL__N_135GammaBetaBackwardCUDAKernelTemplateIddLj64ELj16ELj256ELb0ELb0ELb0EEEvllPKT_S5_PKT0_S8_PS3_S9_
	.p2align	8
	.type	_ZN2at6native12_GLOBAL__N_135GammaBetaBackwardCUDAKernelTemplateIddLj64ELj16ELj256ELb0ELb0ELb0EEEvllPKT_S5_PKT0_S8_PS3_S9_,@function
_ZN2at6native12_GLOBAL__N_135GammaBetaBackwardCUDAKernelTemplateIddLj64ELj16ELj256ELb0ELb0ELb0EEEvllPKT_S5_PKT0_S8_PS3_S9_: ; @_ZN2at6native12_GLOBAL__N_135GammaBetaBackwardCUDAKernelTemplateIddLj64ELj16ELj256ELb0ELb0ELb0EEEvllPKT_S5_PKT0_S8_PS3_S9_
; %bb.0:
	s_mov_b64 s[74:75], s[2:3]
	s_load_dwordx8 s[12:19], s[4:5], 0x0
	s_load_dwordx4 s[20:23], s[4:5], 0x20
	s_mov_b64 s[72:73], s[0:1]
	s_add_u32 s72, s72, s8
	s_addc_u32 s73, s73, 0
	s_lshl_b32 s33, s6, 6
	v_mov_b32_e32 v36, v0
	s_or_b32 s10, s33, 63
	s_mov_b32 s11, 0
	s_waitcnt lgkmcnt(0)
	v_pk_mov_b32 v[0:1], s[14:15], s[14:15] op_sel:[0,1]
	v_cmp_ge_i64_e32 vcc, s[10:11], v[0:1]
	s_lshl_b32 s10, s7, 8
	v_pk_mov_b32 v[0:1], s[12:13], s[12:13] op_sel:[0,1]
	v_cmp_lt_i64_e64 s[0:1], s[10:11], v[0:1]
	v_cndmask_b32_e64 v0, 0, 1, s[0:1]
	v_cmp_ne_u32_e64 s[0:1], 1, v0
	s_cbranch_vccz .LBB36_81
; %bb.1:
	v_pk_mov_b32 v[48:49], 0, 0
	s_mov_b64 s[24:25], 0
	s_and_b64 vcc, exec, s[0:1]
	v_pk_mov_b32 v[108:109], v[48:49], v[48:49] op_sel:[0,1]
	s_cbranch_vccnz .LBB36_82
; %bb.2:
	v_bfe_u32 v0, v36, 10, 10
	v_lshlrev_b32_e32 v2, 4, v0
	buffer_store_dword v0, off, s[72:75], 0 offset:120 ; 4-byte Folded Spill
	v_mov_b32_e32 v1, s11
	v_mov_b32_e32 v0, v2
	buffer_store_dword v0, off, s[72:75], 0 offset:128 ; 4-byte Folded Spill
	s_nop 0
	buffer_store_dword v1, off, s[72:75], 0 offset:132 ; 4-byte Folded Spill
	v_add_co_u32_e32 v0, vcc, s10, v2
	s_add_u32 s26, s4, 64
	s_addc_u32 s27, s5, 0
	v_pk_mov_b32 v[38:39], 0, 0
	s_mov_b32 s36, 0
	s_mov_b64 s[34:35], s[10:11]
	v_pk_mov_b32 v[48:49], v[38:39], v[38:39] op_sel:[0,1]
	v_addc_co_u32_e32 v6, vcc, 0, v1, vcc
	v_add_co_u32_e32 v1, vcc, 15, v0
	v_addc_co_u32_e32 v2, vcc, 0, v6, vcc
	v_mul_lo_u32 v4, s15, v1
	v_mul_lo_u32 v5, s14, v2
	v_mad_u64_u32 v[2:3], s[2:3], s14, v1, 0
	v_add3_u32 v3, v3, v5, v4
	v_lshlrev_b64 v[4:5], 3, v[2:3]
	v_add_co_u32_e32 v2, vcc, s16, v4
	buffer_store_dword v2, off, s[72:75], 0 ; 4-byte Folded Spill
	s_nop 0
	buffer_store_dword v3, off, s[72:75], 0 offset:4 ; 4-byte Folded Spill
	v_mov_b32_e32 v1, s17
	v_addc_co_u32_e32 v3, vcc, v1, v5, vcc
	v_add_co_u32_e32 v4, vcc, s18, v4
	buffer_store_dword v2, off, s[72:75], 0 offset:8 ; 4-byte Folded Spill
	s_nop 0
	buffer_store_dword v3, off, s[72:75], 0 offset:12 ; 4-byte Folded Spill
	buffer_store_dword v4, off, s[72:75], 0 offset:16 ; 4-byte Folded Spill
	s_nop 0
	buffer_store_dword v5, off, s[72:75], 0 offset:20 ; 4-byte Folded Spill
	v_mov_b32_e32 v2, s19
	v_addc_co_u32_e32 v3, vcc, v2, v5, vcc
	buffer_store_dword v2, off, s[72:75], 0 offset:24 ; 4-byte Folded Spill
	s_nop 0
	buffer_store_dword v3, off, s[72:75], 0 offset:28 ; 4-byte Folded Spill
	v_add_co_u32_e32 v3, vcc, 14, v0
	v_addc_co_u32_e32 v4, vcc, 0, v6, vcc
	v_mul_lo_u32 v7, s15, v3
	v_mul_lo_u32 v8, s14, v4
	v_mad_u64_u32 v[4:5], s[2:3], s14, v3, 0
	v_add3_u32 v5, v5, v8, v7
	v_lshlrev_b64 v[4:5], 3, v[4:5]
	v_add_co_u32_e32 v8, vcc, s16, v4
	v_addc_co_u32_e32 v105, vcc, v1, v5, vcc
	v_add_co_u32_e32 v4, vcc, s18, v4
	buffer_store_dword v8, off, s[72:75], 0 offset:32 ; 4-byte Folded Spill
	s_nop 0
	buffer_store_dword v9, off, s[72:75], 0 offset:36 ; 4-byte Folded Spill
	buffer_store_dword v4, off, s[72:75], 0 offset:40 ; 4-byte Folded Spill
	s_nop 0
	buffer_store_dword v5, off, s[72:75], 0 offset:44 ; 4-byte Folded Spill
	v_addc_co_u32_e32 v3, vcc, v2, v5, vcc
	buffer_store_dword v2, off, s[72:75], 0 offset:48 ; 4-byte Folded Spill
	s_nop 0
	buffer_store_dword v3, off, s[72:75], 0 offset:52 ; 4-byte Folded Spill
	v_add_co_u32_e32 v3, vcc, 13, v0
	v_addc_co_u32_e32 v4, vcc, 0, v6, vcc
	v_mul_lo_u32 v7, s15, v3
	v_mul_lo_u32 v8, s14, v4
	v_mad_u64_u32 v[4:5], s[2:3], s14, v3, 0
	v_add3_u32 v5, v5, v8, v7
	v_lshlrev_b64 v[4:5], 3, v[4:5]
	v_add_co_u32_e32 v8, vcc, s16, v4
	v_addc_co_u32_e32 v3, vcc, v1, v5, vcc
	v_add_co_u32_e32 v4, vcc, s18, v4
	buffer_store_dword v8, off, s[72:75], 0 offset:56 ; 4-byte Folded Spill
	s_nop 0
	buffer_store_dword v9, off, s[72:75], 0 offset:60 ; 4-byte Folded Spill
	buffer_store_dword v2, off, s[72:75], 0 offset:64 ; 4-byte Folded Spill
	s_nop 0
	buffer_store_dword v3, off, s[72:75], 0 offset:68 ; 4-byte Folded Spill
	;; [unrolled: 3-line block ×3, first 2 shown]
	v_addc_co_u32_e32 v3, vcc, v2, v5, vcc
	buffer_store_dword v2, off, s[72:75], 0 offset:80 ; 4-byte Folded Spill
	s_nop 0
	buffer_store_dword v3, off, s[72:75], 0 offset:84 ; 4-byte Folded Spill
	v_add_co_u32_e32 v3, vcc, 12, v0
	v_addc_co_u32_e32 v4, vcc, 0, v6, vcc
	v_mul_lo_u32 v7, s15, v3
	v_mul_lo_u32 v8, s14, v4
	v_mad_u64_u32 v[4:5], s[2:3], s14, v3, 0
	v_add3_u32 v5, v5, v8, v7
	v_lshlrev_b64 v[4:5], 3, v[4:5]
	v_add_co_u32_e32 v54, vcc, s16, v4
	v_addc_co_u32_e32 v3, vcc, v1, v5, vcc
	v_add_co_u32_e32 v56, vcc, s18, v4
	buffer_store_dword v2, off, s[72:75], 0 offset:88 ; 4-byte Folded Spill
	s_nop 0
	buffer_store_dword v3, off, s[72:75], 0 offset:92 ; 4-byte Folded Spill
	v_addc_co_u32_e32 v3, vcc, v2, v5, vcc
	buffer_store_dword v2, off, s[72:75], 0 offset:96 ; 4-byte Folded Spill
	s_nop 0
	buffer_store_dword v3, off, s[72:75], 0 offset:100 ; 4-byte Folded Spill
	v_add_co_u32_e32 v3, vcc, 11, v0
	v_addc_co_u32_e32 v4, vcc, 0, v6, vcc
	v_mul_lo_u32 v7, s15, v3
	v_mul_lo_u32 v8, s14, v4
	v_mad_u64_u32 v[4:5], s[2:3], s14, v3, 0
	v_add3_u32 v5, v5, v8, v7
	v_lshlrev_b64 v[4:5], 3, v[4:5]
	v_add_co_u32_e32 v58, vcc, s16, v4
	v_addc_co_u32_e32 v55, vcc, v1, v5, vcc
	v_add_co_u32_e32 v60, vcc, s18, v4
	s_load_dword s7, s[4:5], 0x44
	buffer_store_dword v36, off, s[72:75], 0 offset:584 ; 4-byte Folded Spill
	s_waitcnt lgkmcnt(0)
	s_lshl_b32 s7, s7, 8
	s_mul_i32 s8, s15, s7
	s_mul_hi_u32 s9, s14, s7
	s_add_i32 s9, s9, s8
	s_mul_i32 s8, s14, s7
	s_lshl_b64 s[28:29], s[8:9], 3
	s_add_u32 s30, s10, 0xff
	s_addc_u32 s31, 0, 0
	v_addc_co_u32_e32 v57, vcc, v2, v5, vcc
	v_add_co_u32_e32 v3, vcc, 10, v0
	v_addc_co_u32_e32 v4, vcc, 0, v6, vcc
	v_mul_lo_u32 v7, s15, v3
	v_mul_lo_u32 v8, s14, v4
	v_mad_u64_u32 v[4:5], s[2:3], s14, v3, 0
	v_add3_u32 v5, v5, v8, v7
	v_lshlrev_b64 v[4:5], 3, v[4:5]
	v_add_co_u32_e32 v62, vcc, s16, v4
	v_addc_co_u32_e32 v59, vcc, v1, v5, vcc
	v_add_co_u32_e32 v64, vcc, s18, v4
	v_addc_co_u32_e32 v61, vcc, v2, v5, vcc
	v_add_co_u32_e32 v3, vcc, 9, v0
	v_addc_co_u32_e32 v4, vcc, 0, v6, vcc
	v_mul_lo_u32 v7, s15, v3
	v_mul_lo_u32 v8, s14, v4
	v_mad_u64_u32 v[4:5], s[2:3], s14, v3, 0
	v_add3_u32 v5, v5, v8, v7
	v_lshlrev_b64 v[4:5], 3, v[4:5]
	v_add_co_u32_e32 v66, vcc, s16, v4
	v_addc_co_u32_e32 v63, vcc, v1, v5, vcc
	v_add_co_u32_e32 v68, vcc, s18, v4
	;; [unrolled: 11-line block ×9, first 2 shown]
	v_addc_co_u32_e32 v93, vcc, v2, v5, vcc
	v_pk_mov_b32 v[4:5], s[14:15], s[14:15] op_sel:[0,1]
	v_mad_u64_u32 v[4:5], s[2:3], s14, v0, v[4:5]
	v_mul_lo_u32 v3, s14, v6
	v_mul_lo_u32 v8, s15, v0
	v_add3_u32 v5, v8, v5, v3
	v_lshlrev_b64 v[4:5], 3, v[4:5]
	v_add_co_u32_e32 v98, vcc, s16, v4
	v_mad_u64_u32 v[6:7], s[2:3], s14, v0, 0
	v_addc_co_u32_e32 v95, vcc, v1, v5, vcc
	v_add3_u32 v7, v7, v3, v8
	v_add_co_u32_e32 v100, vcc, s18, v4
	v_addc_co_u32_e32 v97, vcc, v2, v5, vcc
	v_lshlrev_b64 v[4:5], 3, v[6:7]
	v_add_co_u32_e32 v102, vcc, s16, v4
	v_addc_co_u32_e32 v99, vcc, v1, v5, vcc
	v_add_co_u32_e32 v104, vcc, s18, v4
	v_and_b32_e32 v0, 0x3ff, v36
	v_mov_b32_e32 v4, 0
	buffer_store_dword v0, off, s[72:75], 0 offset:136 ; 4-byte Folded Spill
	v_add_u32_e32 v0, s33, v0
	v_mov_b32_e32 v1, v4
	v_cmp_gt_i64_e64 s[2:3], s[14:15], v[0:1]
	v_lshlrev_b64 v[106:107], 3, v[0:1]
	v_mbcnt_lo_u32_b32 v0, -1, 0
	v_mbcnt_hi_u32_b32 v0, -1, v0
	v_lshlrev_b32_e32 v0, 2, v0
	v_addc_co_u32_e32 v101, vcc, v2, v5, vcc
	v_and_b32_e32 v103, 0x100, v0
.LBB36_3:                               ; =>This Inner Loop Header: Depth=1
	buffer_load_dword v2, off, s[72:75], 0 offset:128 ; 4-byte Folded Reload
	buffer_load_dword v3, off, s[72:75], 0 offset:132 ; 4-byte Folded Reload
	v_pk_mov_b32 v[0:1], s[12:13], s[12:13] op_sel:[0,1]
	v_cmp_ge_i64_e32 vcc, s[30:31], v[0:1]
	v_mov_b32_e32 v0, s31
	s_waitcnt vmcnt(1)
	v_add_co_u32_e64 v44, s[8:9], s30, v2
	v_addc_co_u32_e64 v45, s[8:9], 0, v0, s[8:9]
	s_cbranch_vccz .LBB36_41
; %bb.4:                                ;   in Loop: Header=BB36_3 Depth=1
	s_load_dword s8, s[26:27], 0xc
	buffer_load_dword v0, off, s[72:75], 0 offset:120 ; 4-byte Folded Reload
	buffer_load_dword v1, off, s[72:75], 0 offset:136 ; 4-byte Folded Reload
	v_pk_mov_b32 v[114:115], 0, 0
	v_pk_mov_b32 v[112:113], v[114:115], v[114:115] op_sel:[0,1]
	v_pk_mov_b32 v[110:111], v[114:115], v[114:115] op_sel:[0,1]
	s_waitcnt lgkmcnt(0)
	s_and_b32 s8, s8, 0xffff
	s_waitcnt vmcnt(0)
	v_mad_u32_u24 v0, v0, s8, v1
	v_and_b32_e32 v0, 63, v0
	v_cmp_gt_u32_e32 vcc, 16, v0
	s_and_saveexec_b64 s[8:9], vcc
	s_cbranch_execz .LBB36_8
; %bb.5:                                ;   in Loop: Header=BB36_3 Depth=1
	v_add_co_u32_e32 v0, vcc, v44, v0
	v_addc_co_u32_e32 v1, vcc, 0, v45, vcc
	v_add_co_u32_e32 v0, vcc, 0xffffff01, v0
	v_addc_co_u32_e32 v1, vcc, -1, v1, vcc
	v_pk_mov_b32 v[110:111], 0, 0
	v_cmp_gt_i64_e32 vcc, s[12:13], v[0:1]
	v_pk_mov_b32 v[112:113], v[110:111], v[110:111] op_sel:[0,1]
	s_and_saveexec_b64 s[38:39], vcc
	s_cbranch_execz .LBB36_7
; %bb.6:                                ;   in Loop: Header=BB36_3 Depth=1
	v_lshlrev_b64 v[0:1], 3, v[0:1]
	v_mov_b32_e32 v3, s23
	v_add_co_u32_e32 v2, vcc, s22, v0
	v_addc_co_u32_e32 v3, vcc, v3, v1, vcc
	v_mov_b32_e32 v5, s21
	v_add_co_u32_e32 v0, vcc, s20, v0
	v_addc_co_u32_e32 v1, vcc, v5, v1, vcc
	global_load_dwordx2 v[110:111], v[0:1], off
	global_load_dwordx2 v[112:113], v[2:3], off
.LBB36_7:                               ;   in Loop: Header=BB36_3 Depth=1
	s_or_b64 exec, exec, s[38:39]
.LBB36_8:                               ;   in Loop: Header=BB36_3 Depth=1
	s_or_b64 exec, exec, s[8:9]
	v_add_co_u32_e32 v0, vcc, 0xffffff01, v44
	v_addc_co_u32_e32 v1, vcc, -1, v45, vcc
	s_mov_b32 s37, s36
	v_cmp_gt_i64_e32 vcc, s[12:13], v[0:1]
	s_mov_b32 s38, s36
	s_mov_b32 s39, s36
	;; [unrolled: 1-line block ×30, first 2 shown]
	v_pk_mov_b32 v[6:7], s[36:37], s[36:37] op_sel:[0,1]
	s_and_b64 s[68:69], s[2:3], vcc
	v_pk_mov_b32 v[8:9], s[38:39], s[38:39] op_sel:[0,1]
	v_pk_mov_b32 v[10:11], s[40:41], s[40:41] op_sel:[0,1]
	;; [unrolled: 1-line block ×16, first 2 shown]
	s_and_saveexec_b64 s[8:9], s[68:69]
	s_cbranch_execz .LBB36_10
; %bb.9:                                ;   in Loop: Header=BB36_3 Depth=1
	v_add_co_u32_e32 v0, vcc, v102, v106
	v_addc_co_u32_e32 v1, vcc, v99, v107, vcc
	global_load_dwordx2 v[2:3], v[0:1], off
	v_add_co_u32_e32 v0, vcc, v104, v106
	v_addc_co_u32_e32 v1, vcc, v101, v107, vcc
	global_load_dwordx2 v[108:109], v[0:1], off
	v_mov_b32_e32 v6, v4
	v_mov_b32_e32 v7, v4
	;; [unrolled: 1-line block ×29, first 2 shown]
	s_waitcnt vmcnt(1)
	v_pk_mov_b32 v[36:37], v[32:33], v[32:33] op_sel:[0,1]
	v_pk_mov_b32 v[34:35], v[30:31], v[30:31] op_sel:[0,1]
	;; [unrolled: 1-line block ×16, first 2 shown]
.LBB36_10:                              ;   in Loop: Header=BB36_3 Depth=1
	s_or_b64 exec, exec, s[8:9]
	v_add_co_u32_e32 v0, vcc, 0xffffff02, v44
	v_addc_co_u32_e32 v1, vcc, -1, v45, vcc
	v_cmp_gt_i64_e32 vcc, s[12:13], v[0:1]
	s_and_b64 s[38:39], s[2:3], vcc
	s_and_saveexec_b64 s[8:9], s[38:39]
	s_cbranch_execz .LBB36_12
; %bb.11:                               ;   in Loop: Header=BB36_3 Depth=1
	v_add_co_u32_e32 v0, vcc, v98, v106
	v_addc_co_u32_e32 v1, vcc, v95, v107, vcc
	global_load_dwordx2 v[8:9], v[0:1], off
	v_add_co_u32_e32 v0, vcc, v100, v106
	v_addc_co_u32_e32 v1, vcc, v97, v107, vcc
	global_load_dwordx2 v[114:115], v[0:1], off
.LBB36_12:                              ;   in Loop: Header=BB36_3 Depth=1
	s_or_b64 exec, exec, s[8:9]
	v_add_co_u32_e32 v0, vcc, 0xffffff03, v44
	v_addc_co_u32_e32 v1, vcc, -1, v45, vcc
	v_cmp_gt_i64_e32 vcc, s[12:13], v[0:1]
	v_pk_mov_b32 v[126:127], 0, 0
	s_and_b64 s[38:39], s[2:3], vcc
	v_pk_mov_b32 v[40:41], v[126:127], v[126:127] op_sel:[0,1]
	s_and_saveexec_b64 s[8:9], s[38:39]
	s_cbranch_execz .LBB36_14
; %bb.13:                               ;   in Loop: Header=BB36_3 Depth=1
	v_add_co_u32_e32 v0, vcc, v94, v106
	v_addc_co_u32_e32 v1, vcc, v91, v107, vcc
	global_load_dwordx2 v[10:11], v[0:1], off
	v_add_co_u32_e32 v0, vcc, v96, v106
	v_addc_co_u32_e32 v1, vcc, v93, v107, vcc
	global_load_dwordx2 v[40:41], v[0:1], off
.LBB36_14:                              ;   in Loop: Header=BB36_3 Depth=1
	s_or_b64 exec, exec, s[8:9]
	v_add_co_u32_e32 v0, vcc, 0xffffff04, v44
	v_addc_co_u32_e32 v1, vcc, -1, v45, vcc
	v_cmp_gt_i64_e32 vcc, s[12:13], v[0:1]
	s_and_b64 s[38:39], s[2:3], vcc
	s_and_saveexec_b64 s[8:9], s[38:39]
	s_cbranch_execz .LBB36_16
; %bb.15:                               ;   in Loop: Header=BB36_3 Depth=1
	v_add_co_u32_e32 v0, vcc, v90, v106
	v_addc_co_u32_e32 v1, vcc, v87, v107, vcc
	global_load_dwordx2 v[12:13], v[0:1], off
	v_add_co_u32_e32 v0, vcc, v92, v106
	v_addc_co_u32_e32 v1, vcc, v89, v107, vcc
	global_load_dwordx2 v[126:127], v[0:1], off
.LBB36_16:                              ;   in Loop: Header=BB36_3 Depth=1
	s_or_b64 exec, exec, s[8:9]
	v_add_co_u32_e32 v0, vcc, 0xffffff05, v44
	v_addc_co_u32_e32 v1, vcc, -1, v45, vcc
	v_cmp_gt_i64_e32 vcc, s[12:13], v[0:1]
	v_pk_mov_b32 v[124:125], 0, 0
	s_and_b64 s[38:39], s[2:3], vcc
	v_pk_mov_b32 v[52:53], v[124:125], v[124:125] op_sel:[0,1]
	s_and_saveexec_b64 s[8:9], s[38:39]
	s_cbranch_execz .LBB36_18
; %bb.17:                               ;   in Loop: Header=BB36_3 Depth=1
	v_add_co_u32_e32 v0, vcc, v86, v106
	v_addc_co_u32_e32 v1, vcc, v83, v107, vcc
	global_load_dwordx2 v[14:15], v[0:1], off
	v_add_co_u32_e32 v0, vcc, v88, v106
	v_addc_co_u32_e32 v1, vcc, v85, v107, vcc
	global_load_dwordx2 v[52:53], v[0:1], off
.LBB36_18:                              ;   in Loop: Header=BB36_3 Depth=1
	;; [unrolled: 32-line block ×4, first 2 shown]
	s_or_b64 exec, exec, s[8:9]
	v_add_co_u32_e32 v0, vcc, 0xffffff0a, v44
	v_addc_co_u32_e32 v1, vcc, -1, v45, vcc
	v_cmp_gt_i64_e32 vcc, s[12:13], v[0:1]
	s_and_b64 s[38:39], s[2:3], vcc
	s_and_saveexec_b64 s[8:9], s[38:39]
	s_cbranch_execz .LBB36_28
; %bb.27:                               ;   in Loop: Header=BB36_3 Depth=1
	v_add_co_u32_e32 v0, vcc, v66, v106
	v_addc_co_u32_e32 v1, vcc, v63, v107, vcc
	global_load_dwordx2 v[24:25], v[0:1], off
	v_add_co_u32_e32 v0, vcc, v68, v106
	v_addc_co_u32_e32 v1, vcc, v65, v107, vcc
	global_load_dwordx2 v[120:121], v[0:1], off
.LBB36_28:                              ;   in Loop: Header=BB36_3 Depth=1
	s_or_b64 exec, exec, s[8:9]
	v_add_co_u32_e32 v0, vcc, 0xffffff0b, v44
	v_addc_co_u32_e32 v1, vcc, -1, v45, vcc
	v_cmp_gt_i64_e32 vcc, s[12:13], v[0:1]
	s_and_b64 s[38:39], s[2:3], vcc
	v_pk_mov_b32 v[118:119], 0, 0
	buffer_store_dword v118, off, s[72:75], 0 offset:112 ; 4-byte Folded Spill
	s_nop 0
	buffer_store_dword v119, off, s[72:75], 0 offset:116 ; 4-byte Folded Spill
	s_and_saveexec_b64 s[8:9], s[38:39]
	s_cbranch_execz .LBB36_30
; %bb.29:                               ;   in Loop: Header=BB36_3 Depth=1
	v_add_co_u32_e32 v0, vcc, v62, v106
	v_addc_co_u32_e32 v1, vcc, v59, v107, vcc
	global_load_dwordx2 v[26:27], v[0:1], off
	v_add_co_u32_e32 v0, vcc, v64, v106
	v_addc_co_u32_e32 v1, vcc, v61, v107, vcc
	global_load_dwordx2 v[0:1], v[0:1], off
	s_waitcnt vmcnt(0)
	buffer_store_dword v0, off, s[72:75], 0 offset:112 ; 4-byte Folded Spill
	s_nop 0
	buffer_store_dword v1, off, s[72:75], 0 offset:116 ; 4-byte Folded Spill
.LBB36_30:                              ;   in Loop: Header=BB36_3 Depth=1
	s_or_b64 exec, exec, s[8:9]
	v_add_co_u32_e32 v0, vcc, 0xffffff0c, v44
	v_addc_co_u32_e32 v1, vcc, -1, v45, vcc
	v_cmp_gt_i64_e32 vcc, s[12:13], v[0:1]
	s_and_b64 s[38:39], s[2:3], vcc
	s_and_saveexec_b64 s[8:9], s[38:39]
	s_cbranch_execz .LBB36_32
; %bb.31:                               ;   in Loop: Header=BB36_3 Depth=1
	v_add_co_u32_e32 v0, vcc, v58, v106
	v_addc_co_u32_e32 v1, vcc, v55, v107, vcc
	global_load_dwordx2 v[28:29], v[0:1], off
	v_add_co_u32_e32 v0, vcc, v60, v106
	v_addc_co_u32_e32 v1, vcc, v57, v107, vcc
	global_load_dwordx2 v[118:119], v[0:1], off
.LBB36_32:                              ;   in Loop: Header=BB36_3 Depth=1
	s_or_b64 exec, exec, s[8:9]
	v_add_co_u32_e32 v0, vcc, 0xffffff0d, v44
	v_addc_co_u32_e32 v1, vcc, -1, v45, vcc
	v_cmp_gt_i64_e32 vcc, s[12:13], v[0:1]
	s_and_b64 s[38:39], s[2:3], vcc
	v_pk_mov_b32 v[116:117], 0, 0
	buffer_store_dword v116, off, s[72:75], 0 offset:104 ; 4-byte Folded Spill
	s_nop 0
	buffer_store_dword v117, off, s[72:75], 0 offset:108 ; 4-byte Folded Spill
	s_and_saveexec_b64 s[8:9], s[38:39]
	s_cbranch_execz .LBB36_34
; %bb.33:                               ;   in Loop: Header=BB36_3 Depth=1
	buffer_load_dword v2, off, s[72:75], 0 offset:88 ; 4-byte Folded Reload
	buffer_load_dword v3, off, s[72:75], 0 offset:92 ; 4-byte Folded Reload
	v_add_co_u32_e32 v0, vcc, v54, v106
	s_waitcnt vmcnt(0)
	v_addc_co_u32_e32 v1, vcc, v3, v107, vcc
	global_load_dwordx2 v[30:31], v[0:1], off
	buffer_load_dword v2, off, s[72:75], 0 offset:96 ; 4-byte Folded Reload
	buffer_load_dword v3, off, s[72:75], 0 offset:100 ; 4-byte Folded Reload
	v_add_co_u32_e32 v0, vcc, v56, v106
	s_waitcnt vmcnt(0)
	v_addc_co_u32_e32 v1, vcc, v3, v107, vcc
	global_load_dwordx2 v[0:1], v[0:1], off
	s_waitcnt vmcnt(0)
	buffer_store_dword v0, off, s[72:75], 0 offset:104 ; 4-byte Folded Spill
	s_nop 0
	buffer_store_dword v1, off, s[72:75], 0 offset:108 ; 4-byte Folded Spill
.LBB36_34:                              ;   in Loop: Header=BB36_3 Depth=1
	s_or_b64 exec, exec, s[8:9]
	v_add_co_u32_e32 v0, vcc, 0xffffff0e, v44
	v_addc_co_u32_e32 v1, vcc, -1, v45, vcc
	v_cmp_gt_i64_e32 vcc, s[12:13], v[0:1]
	s_and_b64 s[38:39], s[2:3], vcc
	s_and_saveexec_b64 s[8:9], s[38:39]
	s_cbranch_execz .LBB36_36
; %bb.35:                               ;   in Loop: Header=BB36_3 Depth=1
	buffer_load_dword v0, off, s[72:75], 0 offset:56 ; 4-byte Folded Reload
	buffer_load_dword v1, off, s[72:75], 0 offset:60 ; 4-byte Folded Reload
	;; [unrolled: 1-line block ×4, first 2 shown]
	s_waitcnt vmcnt(3)
	v_add_co_u32_e32 v0, vcc, v0, v106
	s_waitcnt vmcnt(0)
	v_addc_co_u32_e32 v1, vcc, v3, v107, vcc
	global_load_dwordx2 v[32:33], v[0:1], off
	s_nop 0
	buffer_load_dword v0, off, s[72:75], 0 offset:72 ; 4-byte Folded Reload
	buffer_load_dword v1, off, s[72:75], 0 offset:76 ; 4-byte Folded Reload
	buffer_load_dword v2, off, s[72:75], 0 offset:80 ; 4-byte Folded Reload
	buffer_load_dword v3, off, s[72:75], 0 offset:84 ; 4-byte Folded Reload
	s_waitcnt vmcnt(3)
	v_add_co_u32_e32 v0, vcc, v0, v106
	s_waitcnt vmcnt(0)
	v_addc_co_u32_e32 v1, vcc, v3, v107, vcc
	global_load_dwordx2 v[116:117], v[0:1], off
.LBB36_36:                              ;   in Loop: Header=BB36_3 Depth=1
	s_or_b64 exec, exec, s[8:9]
	v_add_co_u32_e32 v0, vcc, 0xffffff0f, v44
	v_addc_co_u32_e32 v1, vcc, -1, v45, vcc
	v_cmp_gt_i64_e32 vcc, s[12:13], v[0:1]
	v_pk_mov_b32 v[2:3], 0, 0
	s_and_b64 s[38:39], s[2:3], vcc
	v_pk_mov_b32 v[0:1], v[2:3], v[2:3] op_sel:[0,1]
	s_and_saveexec_b64 s[8:9], s[38:39]
	s_cbranch_execz .LBB36_38
; %bb.37:                               ;   in Loop: Header=BB36_3 Depth=1
	buffer_load_dword v0, off, s[72:75], 0 offset:32 ; 4-byte Folded Reload
	buffer_load_dword v1, off, s[72:75], 0 offset:36 ; 4-byte Folded Reload
	s_waitcnt vmcnt(1)
	v_add_co_u32_e32 v0, vcc, v0, v106
	s_waitcnt vmcnt(0)
	v_addc_co_u32_e32 v1, vcc, v105, v107, vcc
	global_load_dwordx2 v[34:35], v[0:1], off
	s_nop 0
	buffer_load_dword v0, off, s[72:75], 0 offset:40 ; 4-byte Folded Reload
	buffer_load_dword v1, off, s[72:75], 0 offset:44 ; 4-byte Folded Reload
	;; [unrolled: 1-line block ×4, first 2 shown]
	s_waitcnt vmcnt(3)
	v_add_co_u32_e32 v0, vcc, v0, v106
	s_waitcnt vmcnt(0)
	v_addc_co_u32_e32 v1, vcc, v43, v107, vcc
	global_load_dwordx2 v[0:1], v[0:1], off
.LBB36_38:                              ;   in Loop: Header=BB36_3 Depth=1
	s_or_b64 exec, exec, s[8:9]
	s_waitcnt vmcnt(0)
	buffer_store_dword v0, off, s[72:75], 0 offset:144 ; 4-byte Folded Spill
	s_nop 0
	buffer_store_dword v1, off, s[72:75], 0 offset:148 ; 4-byte Folded Spill
	v_add_co_u32_e32 v0, vcc, 0xffffff10, v44
	v_addc_co_u32_e32 v1, vcc, -1, v45, vcc
	v_cmp_gt_i64_e32 vcc, s[12:13], v[0:1]
	s_and_b64 s[38:39], s[2:3], vcc
	s_and_saveexec_b64 s[8:9], s[38:39]
	s_cbranch_execz .LBB36_40
; %bb.39:                               ;   in Loop: Header=BB36_3 Depth=1
	buffer_load_dword v0, off, s[72:75], 0  ; 4-byte Folded Reload
	buffer_load_dword v1, off, s[72:75], 0 offset:4 ; 4-byte Folded Reload
	buffer_load_dword v2, off, s[72:75], 0 offset:8 ; 4-byte Folded Reload
	;; [unrolled: 1-line block ×3, first 2 shown]
	s_waitcnt vmcnt(3)
	v_add_co_u32_e32 v0, vcc, v0, v106
	s_waitcnt vmcnt(0)
	v_addc_co_u32_e32 v1, vcc, v3, v107, vcc
	global_load_dwordx2 v[36:37], v[0:1], off
	s_nop 0
	buffer_load_dword v0, off, s[72:75], 0 offset:16 ; 4-byte Folded Reload
	buffer_load_dword v1, off, s[72:75], 0 offset:20 ; 4-byte Folded Reload
	;; [unrolled: 1-line block ×4, first 2 shown]
	s_waitcnt vmcnt(3)
	v_add_co_u32_e32 v0, vcc, v0, v106
	s_waitcnt vmcnt(0)
	v_addc_co_u32_e32 v1, vcc, v3, v107, vcc
	global_load_dwordx2 v[2:3], v[0:1], off
.LBB36_40:                              ;   in Loop: Header=BB36_3 Depth=1
	s_or_b64 exec, exec, s[8:9]
	ds_bpermute_b32 v42, v103, v110
	ds_bpermute_b32 v43, v103, v111
	;; [unrolled: 1-line block ×4, first 2 shown]
	s_waitcnt lgkmcnt(2)
	v_add_f64 v[42:43], v[108:109], -v[42:43]
	v_mul_f64 v[42:43], v[6:7], v[42:43]
	s_waitcnt lgkmcnt(0)
	v_fma_f64 v[108:109], v[42:43], v[0:1], v[38:39]
	ds_bpermute_b32 v42, v103, v110 offset:4
	ds_bpermute_b32 v43, v103, v111 offset:4
	v_add_f64 v[0:1], v[48:49], v[6:7]
	v_add_f64 v[0:1], v[8:9], v[0:1]
	;; [unrolled: 1-line block ×3, first 2 shown]
	ds_bpermute_b32 v6, v103, v112 offset:4
	s_waitcnt lgkmcnt(1)
	v_add_f64 v[42:43], v[114:115], -v[42:43]
	v_mul_f64 v[42:43], v[8:9], v[42:43]
	ds_bpermute_b32 v8, v103, v110 offset:8
	ds_bpermute_b32 v9, v103, v111 offset:8
	;; [unrolled: 1-line block ×3, first 2 shown]
	v_add_f64 v[0:1], v[12:13], v[0:1]
	v_add_f64 v[0:1], v[14:15], v[0:1]
	;; [unrolled: 1-line block ×3, first 2 shown]
	s_waitcnt lgkmcnt(1)
	v_add_f64 v[8:9], v[40:41], -v[8:9]
	v_mul_f64 v[8:9], v[10:11], v[8:9]
	buffer_load_dword v10, off, s[72:75], 0 offset:112 ; 4-byte Folded Reload
	buffer_load_dword v11, off, s[72:75], 0 offset:116 ; 4-byte Folded Reload
	s_waitcnt lgkmcnt(0)
	v_fmac_f64_e32 v[108:109], v[42:43], v[6:7]
	ds_bpermute_b32 v6, v103, v112 offset:8
	ds_bpermute_b32 v7, v103, v113 offset:8
	v_add_f64 v[0:1], v[18:19], v[0:1]
	v_add_f64 v[0:1], v[20:21], v[0:1]
	;; [unrolled: 1-line block ×4, first 2 shown]
	s_waitcnt lgkmcnt(0)
	v_fmac_f64_e32 v[108:109], v[8:9], v[6:7]
	ds_bpermute_b32 v8, v103, v110 offset:12
	ds_bpermute_b32 v9, v103, v111 offset:12
	;; [unrolled: 1-line block ×4, first 2 shown]
	v_add_f64 v[0:1], v[26:27], v[0:1]
	ds_bpermute_b32 v42, v103, v112 offset:60
	s_waitcnt lgkmcnt(3)
	v_add_f64 v[8:9], v[126:127], -v[8:9]
	v_mul_f64 v[8:9], v[12:13], v[8:9]
	s_waitcnt lgkmcnt(1)
	v_fmac_f64_e32 v[108:109], v[8:9], v[6:7]
	ds_bpermute_b32 v8, v103, v110 offset:16
	ds_bpermute_b32 v9, v103, v111 offset:16
	;; [unrolled: 1-line block ×5, first 2 shown]
	v_add_f64 v[0:1], v[28:29], v[0:1]
	s_waitcnt lgkmcnt(3)
	v_add_f64 v[8:9], v[52:53], -v[8:9]
	v_mul_f64 v[8:9], v[14:15], v[8:9]
	s_waitcnt lgkmcnt(1)
	v_fmac_f64_e32 v[108:109], v[8:9], v[6:7]
	ds_bpermute_b32 v8, v103, v110 offset:20
	ds_bpermute_b32 v9, v103, v111 offset:20
	;; [unrolled: 1-line block ×4, first 2 shown]
	v_add_f64 v[0:1], v[30:31], v[0:1]
	v_add_f64 v[0:1], v[32:33], v[0:1]
	s_waitcnt lgkmcnt(2)
	v_add_f64 v[8:9], v[124:125], -v[8:9]
	v_mul_f64 v[8:9], v[16:17], v[8:9]
	s_waitcnt lgkmcnt(0)
	v_fmac_f64_e32 v[108:109], v[8:9], v[6:7]
	ds_bpermute_b32 v8, v103, v110 offset:24
	ds_bpermute_b32 v9, v103, v111 offset:24
	;; [unrolled: 1-line block ×4, first 2 shown]
	v_add_f64 v[0:1], v[34:35], v[0:1]
	s_waitcnt lgkmcnt(2)
	v_add_f64 v[8:9], v[50:51], -v[8:9]
	v_mul_f64 v[8:9], v[18:19], v[8:9]
	s_waitcnt lgkmcnt(0)
	v_fmac_f64_e32 v[108:109], v[8:9], v[6:7]
	ds_bpermute_b32 v8, v103, v110 offset:28
	ds_bpermute_b32 v9, v103, v111 offset:28
	ds_bpermute_b32 v6, v103, v112 offset:28
	ds_bpermute_b32 v7, v103, v113 offset:28
	s_waitcnt lgkmcnt(2)
	v_add_f64 v[8:9], v[122:123], -v[8:9]
	v_mul_f64 v[8:9], v[20:21], v[8:9]
	s_waitcnt lgkmcnt(0)
	v_fmac_f64_e32 v[108:109], v[8:9], v[6:7]
	ds_bpermute_b32 v8, v103, v110 offset:32
	ds_bpermute_b32 v9, v103, v111 offset:32
	ds_bpermute_b32 v6, v103, v112 offset:32
	ds_bpermute_b32 v7, v103, v113 offset:32
	;; [unrolled: 9-line block ×4, first 2 shown]
	s_waitcnt vmcnt(0) lgkmcnt(2)
	v_add_f64 v[8:9], v[10:11], -v[8:9]
	buffer_load_dword v10, off, s[72:75], 0 offset:104 ; 4-byte Folded Reload
	buffer_load_dword v11, off, s[72:75], 0 offset:108 ; 4-byte Folded Reload
	v_mul_f64 v[8:9], v[26:27], v[8:9]
	s_waitcnt lgkmcnt(0)
	v_fmac_f64_e32 v[108:109], v[8:9], v[6:7]
	ds_bpermute_b32 v8, v103, v110 offset:44
	ds_bpermute_b32 v9, v103, v111 offset:44
	;; [unrolled: 1-line block ×4, first 2 shown]
	s_waitcnt lgkmcnt(2)
	v_add_f64 v[8:9], v[118:119], -v[8:9]
	v_mul_f64 v[8:9], v[28:29], v[8:9]
	s_waitcnt lgkmcnt(0)
	v_fmac_f64_e32 v[108:109], v[8:9], v[6:7]
	ds_bpermute_b32 v8, v103, v110 offset:48
	ds_bpermute_b32 v9, v103, v111 offset:48
	;; [unrolled: 1-line block ×4, first 2 shown]
	s_waitcnt vmcnt(0) lgkmcnt(2)
	v_add_f64 v[8:9], v[10:11], -v[8:9]
	buffer_load_dword v10, off, s[72:75], 0 offset:144 ; 4-byte Folded Reload
	buffer_load_dword v11, off, s[72:75], 0 offset:148 ; 4-byte Folded Reload
	v_mul_f64 v[8:9], v[30:31], v[8:9]
	s_waitcnt lgkmcnt(0)
	v_fmac_f64_e32 v[108:109], v[8:9], v[6:7]
	ds_bpermute_b32 v8, v103, v110 offset:52
	ds_bpermute_b32 v9, v103, v111 offset:52
	;; [unrolled: 1-line block ×4, first 2 shown]
	s_waitcnt lgkmcnt(2)
	v_add_f64 v[8:9], v[116:117], -v[8:9]
	v_mul_f64 v[8:9], v[32:33], v[8:9]
	s_waitcnt lgkmcnt(0)
	v_fmac_f64_e32 v[108:109], v[8:9], v[6:7]
	ds_bpermute_b32 v8, v103, v110 offset:56
	ds_bpermute_b32 v9, v103, v111 offset:56
	;; [unrolled: 1-line block ×4, first 2 shown]
	s_waitcnt vmcnt(0) lgkmcnt(2)
	v_add_f64 v[8:9], v[10:11], -v[8:9]
	v_mul_f64 v[8:9], v[34:35], v[8:9]
	s_waitcnt lgkmcnt(0)
	v_fmac_f64_e32 v[108:109], v[8:9], v[6:7]
	ds_bpermute_b32 v6, v103, v110 offset:60
	ds_bpermute_b32 v7, v103, v111 offset:60
	s_branch .LBB36_79
.LBB36_41:                              ;   in Loop: Header=BB36_3 Depth=1
                                        ; implicit-def: $vgpr6_vgpr7_vgpr8_vgpr9_vgpr10_vgpr11_vgpr12_vgpr13_vgpr14_vgpr15_vgpr16_vgpr17_vgpr18_vgpr19_vgpr20_vgpr21_vgpr22_vgpr23_vgpr24_vgpr25_vgpr26_vgpr27_vgpr28_vgpr29_vgpr30_vgpr31_vgpr32_vgpr33_vgpr34_vgpr35_vgpr36_vgpr37
                                        ; implicit-def: $vgpr42_vgpr43
                                        ; implicit-def: $vgpr2_vgpr3
                                        ; implicit-def: $vgpr6
                                        ; implicit-def: $vgpr0_vgpr1
                                        ; implicit-def: $vgpr108_vgpr109
	s_cbranch_execz .LBB36_79
; %bb.42:                               ;   in Loop: Header=BB36_3 Depth=1
	s_load_dword s8, s[26:27], 0x0
	v_pk_mov_b32 v[112:113], 0, 0
	v_pk_mov_b32 v[110:111], v[112:113], v[112:113] op_sel:[0,1]
	v_pk_mov_b32 v[40:41], v[112:113], v[112:113] op_sel:[0,1]
	s_waitcnt lgkmcnt(0)
	s_cmp_lt_u32 s6, s8
	s_cselect_b32 s8, 12, 18
	s_add_u32 s8, s26, s8
	s_addc_u32 s9, s27, 0
	global_load_ushort v0, v4, s[8:9]
	buffer_load_dword v1, off, s[72:75], 0 offset:120 ; 4-byte Folded Reload
	buffer_load_dword v2, off, s[72:75], 0 offset:136 ; 4-byte Folded Reload
	s_waitcnt vmcnt(0)
	v_mad_u32_u24 v0, v1, v0, v2
	v_and_b32_e32 v0, 63, v0
	v_cmp_gt_u32_e32 vcc, 16, v0
	s_and_saveexec_b64 s[8:9], vcc
	s_cbranch_execz .LBB36_46
; %bb.43:                               ;   in Loop: Header=BB36_3 Depth=1
	v_add_co_u32_e32 v0, vcc, v44, v0
	v_addc_co_u32_e32 v1, vcc, 0, v45, vcc
	v_add_co_u32_e32 v0, vcc, 0xffffff01, v0
	v_addc_co_u32_e32 v1, vcc, -1, v1, vcc
	v_pk_mov_b32 v[40:41], 0, 0
	v_cmp_gt_i64_e32 vcc, s[12:13], v[0:1]
	v_pk_mov_b32 v[110:111], v[40:41], v[40:41] op_sel:[0,1]
	s_and_saveexec_b64 s[38:39], vcc
	s_cbranch_execz .LBB36_45
; %bb.44:                               ;   in Loop: Header=BB36_3 Depth=1
	v_lshlrev_b64 v[0:1], 3, v[0:1]
	v_mov_b32_e32 v3, s23
	v_add_co_u32_e32 v2, vcc, s22, v0
	v_addc_co_u32_e32 v3, vcc, v3, v1, vcc
	v_mov_b32_e32 v5, s21
	v_add_co_u32_e32 v0, vcc, s20, v0
	v_addc_co_u32_e32 v1, vcc, v5, v1, vcc
	global_load_dwordx2 v[40:41], v[0:1], off
	global_load_dwordx2 v[110:111], v[2:3], off
.LBB36_45:                              ;   in Loop: Header=BB36_3 Depth=1
	s_or_b64 exec, exec, s[38:39]
.LBB36_46:                              ;   in Loop: Header=BB36_3 Depth=1
	s_or_b64 exec, exec, s[8:9]
	s_mov_b32 s37, s36
	s_mov_b32 s38, s36
	;; [unrolled: 1-line block ×31, first 2 shown]
	v_pk_mov_b32 v[6:7], s[36:37], s[36:37] op_sel:[0,1]
	v_pk_mov_b32 v[8:9], s[38:39], s[38:39] op_sel:[0,1]
	;; [unrolled: 1-line block ×17, first 2 shown]
	s_and_saveexec_b64 s[8:9], s[2:3]
	s_cbranch_execz .LBB36_48
; %bb.47:                               ;   in Loop: Header=BB36_3 Depth=1
	v_add_co_u32_e32 v0, vcc, v102, v106
	v_addc_co_u32_e32 v1, vcc, v99, v107, vcc
	global_load_dwordx2 v[2:3], v[0:1], off
	v_add_co_u32_e32 v0, vcc, v104, v106
	v_addc_co_u32_e32 v1, vcc, v101, v107, vcc
	global_load_dwordx2 v[46:47], v[0:1], off
	v_mov_b32_e32 v6, v4
	v_mov_b32_e32 v7, v4
	;; [unrolled: 1-line block ×29, first 2 shown]
	s_waitcnt vmcnt(1)
	v_pk_mov_b32 v[36:37], v[32:33], v[32:33] op_sel:[0,1]
	v_pk_mov_b32 v[34:35], v[30:31], v[30:31] op_sel:[0,1]
	;; [unrolled: 1-line block ×16, first 2 shown]
.LBB36_48:                              ;   in Loop: Header=BB36_3 Depth=1
	s_or_b64 exec, exec, s[8:9]
	s_and_saveexec_b64 s[8:9], s[2:3]
	s_cbranch_execz .LBB36_50
; %bb.49:                               ;   in Loop: Header=BB36_3 Depth=1
	v_add_co_u32_e32 v0, vcc, v98, v106
	v_addc_co_u32_e32 v1, vcc, v95, v107, vcc
	global_load_dwordx2 v[8:9], v[0:1], off
	v_add_co_u32_e32 v0, vcc, v100, v106
	v_addc_co_u32_e32 v1, vcc, v97, v107, vcc
	global_load_dwordx2 v[112:113], v[0:1], off
.LBB36_50:                              ;   in Loop: Header=BB36_3 Depth=1
	s_or_b64 exec, exec, s[8:9]
	v_pk_mov_b32 v[42:43], 0, 0
	v_pk_mov_b32 v[120:121], v[42:43], v[42:43] op_sel:[0,1]
	s_and_saveexec_b64 s[8:9], s[2:3]
	s_cbranch_execz .LBB36_52
; %bb.51:                               ;   in Loop: Header=BB36_3 Depth=1
	v_add_co_u32_e32 v0, vcc, v94, v106
	v_addc_co_u32_e32 v1, vcc, v91, v107, vcc
	global_load_dwordx2 v[10:11], v[0:1], off
	v_add_co_u32_e32 v0, vcc, v96, v106
	v_addc_co_u32_e32 v1, vcc, v93, v107, vcc
	global_load_dwordx2 v[120:121], v[0:1], off
.LBB36_52:                              ;   in Loop: Header=BB36_3 Depth=1
	s_or_b64 exec, exec, s[8:9]
	s_and_saveexec_b64 s[8:9], s[2:3]
	s_cbranch_execz .LBB36_54
; %bb.53:                               ;   in Loop: Header=BB36_3 Depth=1
	v_add_co_u32_e32 v0, vcc, v90, v106
	v_addc_co_u32_e32 v1, vcc, v87, v107, vcc
	global_load_dwordx2 v[12:13], v[0:1], off
	v_add_co_u32_e32 v0, vcc, v92, v106
	v_addc_co_u32_e32 v1, vcc, v89, v107, vcc
	global_load_dwordx2 v[42:43], v[0:1], off
.LBB36_54:                              ;   in Loop: Header=BB36_3 Depth=1
	s_or_b64 exec, exec, s[8:9]
	v_pk_mov_b32 v[126:127], 0, 0
	v_pk_mov_b32 v[0:1], v[126:127], v[126:127] op_sel:[0,1]
	s_and_saveexec_b64 s[8:9], s[2:3]
	s_cbranch_execz .LBB36_56
; %bb.55:                               ;   in Loop: Header=BB36_3 Depth=1
	v_add_co_u32_e32 v0, vcc, v86, v106
	v_addc_co_u32_e32 v1, vcc, v83, v107, vcc
	global_load_dwordx2 v[14:15], v[0:1], off
	v_add_co_u32_e32 v0, vcc, v88, v106
	v_addc_co_u32_e32 v1, vcc, v85, v107, vcc
	global_load_dwordx2 v[0:1], v[0:1], off
.LBB36_56:                              ;   in Loop: Header=BB36_3 Depth=1
	;; [unrolled: 24-line block ×5, first 2 shown]
	s_or_b64 exec, exec, s[8:9]
	s_and_saveexec_b64 s[8:9], s[2:3]
	s_cbranch_execz .LBB36_70
; %bb.69:                               ;   in Loop: Header=BB36_3 Depth=1
	v_add_co_u32_e32 v2, vcc, v58, v106
	v_addc_co_u32_e32 v3, vcc, v55, v107, vcc
	global_load_dwordx2 v[28:29], v[2:3], off
	v_add_co_u32_e32 v2, vcc, v60, v106
	v_addc_co_u32_e32 v3, vcc, v57, v107, vcc
	global_load_dwordx2 v[108:109], v[2:3], off
.LBB36_70:                              ;   in Loop: Header=BB36_3 Depth=1
	s_or_b64 exec, exec, s[8:9]
	v_pk_mov_b32 v[114:115], 0, 0
	v_pk_mov_b32 v[2:3], v[114:115], v[114:115] op_sel:[0,1]
	s_and_saveexec_b64 s[8:9], s[2:3]
	s_cbranch_execz .LBB36_72
; %bb.71:                               ;   in Loop: Header=BB36_3 Depth=1
	buffer_load_dword v30, off, s[72:75], 0 offset:88 ; 4-byte Folded Reload
	buffer_load_dword v31, off, s[72:75], 0 offset:92 ; 4-byte Folded Reload
	v_add_co_u32_e32 v2, vcc, v54, v106
	s_waitcnt vmcnt(0)
	v_addc_co_u32_e32 v3, vcc, v31, v107, vcc
	global_load_dwordx2 v[30:31], v[2:3], off
	buffer_load_dword v50, off, s[72:75], 0 offset:96 ; 4-byte Folded Reload
	buffer_load_dword v51, off, s[72:75], 0 offset:100 ; 4-byte Folded Reload
	v_add_co_u32_e32 v2, vcc, v56, v106
	s_waitcnt vmcnt(0)
	v_addc_co_u32_e32 v3, vcc, v51, v107, vcc
	global_load_dwordx2 v[2:3], v[2:3], off
.LBB36_72:                              ;   in Loop: Header=BB36_3 Depth=1
	s_or_b64 exec, exec, s[8:9]
	s_waitcnt vmcnt(0)
	buffer_store_dword v2, off, s[72:75], 0 offset:112 ; 4-byte Folded Spill
	s_nop 0
	buffer_store_dword v3, off, s[72:75], 0 offset:116 ; 4-byte Folded Spill
	s_and_saveexec_b64 s[8:9], s[2:3]
	s_cbranch_execz .LBB36_74
; %bb.73:                               ;   in Loop: Header=BB36_3 Depth=1
	buffer_load_dword v2, off, s[72:75], 0 offset:56 ; 4-byte Folded Reload
	buffer_load_dword v3, off, s[72:75], 0 offset:60 ; 4-byte Folded Reload
	;; [unrolled: 1-line block ×4, first 2 shown]
	s_waitcnt vmcnt(3)
	v_add_co_u32_e32 v2, vcc, v2, v106
	s_waitcnt vmcnt(0)
	v_addc_co_u32_e32 v3, vcc, v33, v107, vcc
	global_load_dwordx2 v[32:33], v[2:3], off
	s_nop 0
	buffer_load_dword v2, off, s[72:75], 0 offset:72 ; 4-byte Folded Reload
	buffer_load_dword v3, off, s[72:75], 0 offset:76 ; 4-byte Folded Reload
	;; [unrolled: 1-line block ×4, first 2 shown]
	s_waitcnt vmcnt(3)
	v_add_co_u32_e32 v2, vcc, v2, v106
	s_waitcnt vmcnt(0)
	v_addc_co_u32_e32 v3, vcc, v51, v107, vcc
	global_load_dwordx2 v[114:115], v[2:3], off
.LBB36_74:                              ;   in Loop: Header=BB36_3 Depth=1
	s_or_b64 exec, exec, s[8:9]
	v_pk_mov_b32 v[2:3], 0, 0
	v_pk_mov_b32 v[52:53], v[48:49], v[48:49] op_sel:[0,1]
	v_pk_mov_b32 v[48:49], v[2:3], v[2:3] op_sel:[0,1]
	s_and_saveexec_b64 s[8:9], s[2:3]
	s_cbranch_execz .LBB36_76
; %bb.75:                               ;   in Loop: Header=BB36_3 Depth=1
	buffer_load_dword v34, off, s[72:75], 0 offset:32 ; 4-byte Folded Reload
	buffer_load_dword v35, off, s[72:75], 0 offset:36 ; 4-byte Folded Reload
	s_waitcnt vmcnt(1)
	v_add_co_u32_e32 v34, vcc, v34, v106
	s_waitcnt vmcnt(0)
	v_addc_co_u32_e32 v35, vcc, v105, v107, vcc
	global_load_dwordx2 v[34:35], v[34:35], off
	s_nop 0
	buffer_load_dword v48, off, s[72:75], 0 offset:40 ; 4-byte Folded Reload
	buffer_load_dword v49, off, s[72:75], 0 offset:44 ; 4-byte Folded Reload
	buffer_load_dword v50, off, s[72:75], 0 offset:48 ; 4-byte Folded Reload
	buffer_load_dword v51, off, s[72:75], 0 offset:52 ; 4-byte Folded Reload
	s_waitcnt vmcnt(3)
	v_add_co_u32_e32 v48, vcc, v48, v106
	s_waitcnt vmcnt(0)
	v_addc_co_u32_e32 v49, vcc, v51, v107, vcc
	global_load_dwordx2 v[48:49], v[48:49], off
.LBB36_76:                              ;   in Loop: Header=BB36_3 Depth=1
	s_or_b64 exec, exec, s[8:9]
	s_waitcnt vmcnt(0)
	buffer_store_dword v48, off, s[72:75], 0 offset:104 ; 4-byte Folded Spill
	s_nop 0
	buffer_store_dword v49, off, s[72:75], 0 offset:108 ; 4-byte Folded Spill
	s_and_saveexec_b64 s[8:9], s[2:3]
	s_cbranch_execz .LBB36_78
; %bb.77:                               ;   in Loop: Header=BB36_3 Depth=1
	buffer_load_dword v2, off, s[72:75], 0  ; 4-byte Folded Reload
	buffer_load_dword v3, off, s[72:75], 0 offset:4 ; 4-byte Folded Reload
	buffer_load_dword v36, off, s[72:75], 0 offset:8 ; 4-byte Folded Reload
	;; [unrolled: 1-line block ×3, first 2 shown]
	s_waitcnt vmcnt(3)
	v_add_co_u32_e32 v2, vcc, v2, v106
	s_waitcnt vmcnt(0)
	v_addc_co_u32_e32 v3, vcc, v37, v107, vcc
	global_load_dwordx2 v[36:37], v[2:3], off
	s_nop 0
	buffer_load_dword v2, off, s[72:75], 0 offset:16 ; 4-byte Folded Reload
	buffer_load_dword v3, off, s[72:75], 0 offset:20 ; 4-byte Folded Reload
	;; [unrolled: 1-line block ×4, first 2 shown]
	s_waitcnt vmcnt(3)
	v_add_co_u32_e32 v2, vcc, v2, v106
	s_waitcnt vmcnt(0)
	v_addc_co_u32_e32 v3, vcc, v49, v107, vcc
	global_load_dwordx2 v[2:3], v[2:3], off
.LBB36_78:                              ;   in Loop: Header=BB36_3 Depth=1
	s_or_b64 exec, exec, s[8:9]
	ds_bpermute_b32 v50, v103, v40
	ds_bpermute_b32 v51, v103, v41
	;; [unrolled: 1-line block ×4, first 2 shown]
	s_waitcnt lgkmcnt(2)
	v_add_f64 v[46:47], v[46:47], -v[50:51]
	v_mul_f64 v[46:47], v[6:7], v[46:47]
	s_waitcnt lgkmcnt(0)
	v_fmac_f64_e32 v[38:39], v[46:47], v[48:49]
	ds_bpermute_b32 v48, v103, v40 offset:4
	ds_bpermute_b32 v49, v103, v41 offset:4
	;; [unrolled: 1-line block ×4, first 2 shown]
	v_add_f64 v[6:7], v[52:53], v[6:7]
	v_add_f64 v[6:7], v[8:9], v[6:7]
	s_waitcnt lgkmcnt(2)
	v_add_f64 v[48:49], v[112:113], -v[48:49]
	v_mul_f64 v[48:49], v[8:9], v[48:49]
	s_waitcnt lgkmcnt(0)
	v_fmac_f64_e32 v[38:39], v[48:49], v[46:47]
	ds_bpermute_b32 v46, v103, v40 offset:8
	ds_bpermute_b32 v47, v103, v41 offset:8
	;; [unrolled: 1-line block ×4, first 2 shown]
	v_add_f64 v[6:7], v[10:11], v[6:7]
	v_add_f64 v[6:7], v[12:13], v[6:7]
	s_waitcnt lgkmcnt(2)
	v_add_f64 v[46:47], v[120:121], -v[46:47]
	v_mul_f64 v[46:47], v[10:11], v[46:47]
	ds_bpermute_b32 v10, v103, v40 offset:12
	ds_bpermute_b32 v11, v103, v41 offset:12
	s_waitcnt lgkmcnt(2)
	v_fmac_f64_e32 v[38:39], v[46:47], v[8:9]
	ds_bpermute_b32 v8, v103, v110 offset:12
	ds_bpermute_b32 v9, v103, v111 offset:12
	s_waitcnt lgkmcnt(2)
	v_add_f64 v[10:11], v[42:43], -v[10:11]
	v_mul_f64 v[10:11], v[12:13], v[10:11]
	ds_bpermute_b32 v42, v103, v110 offset:60
	s_waitcnt lgkmcnt(1)
	v_fmac_f64_e32 v[38:39], v[10:11], v[8:9]
	ds_bpermute_b32 v10, v103, v40 offset:16
	ds_bpermute_b32 v11, v103, v41 offset:16
	;; [unrolled: 1-line block ×5, first 2 shown]
	s_waitcnt lgkmcnt(3)
	v_add_f64 v[0:1], v[0:1], -v[10:11]
	buffer_load_dword v10, off, s[72:75], 0 offset:112 ; 4-byte Folded Reload
	buffer_load_dword v11, off, s[72:75], 0 offset:116 ; 4-byte Folded Reload
	v_mul_f64 v[0:1], v[14:15], v[0:1]
	s_waitcnt lgkmcnt(1)
	v_fmac_f64_e32 v[38:39], v[0:1], v[8:9]
	ds_bpermute_b32 v8, v103, v40 offset:20
	ds_bpermute_b32 v9, v103, v41 offset:20
	v_add_f64 v[0:1], v[14:15], v[6:7]
	ds_bpermute_b32 v6, v103, v110 offset:20
	ds_bpermute_b32 v7, v103, v111 offset:20
	v_add_f64 v[0:1], v[16:17], v[0:1]
	s_waitcnt lgkmcnt(2)
	v_add_f64 v[8:9], v[126:127], -v[8:9]
	v_mul_f64 v[8:9], v[16:17], v[8:9]
	v_add_f64 v[0:1], v[18:19], v[0:1]
	s_waitcnt lgkmcnt(0)
	v_fmac_f64_e32 v[38:39], v[8:9], v[6:7]
	ds_bpermute_b32 v8, v103, v40 offset:24
	ds_bpermute_b32 v9, v103, v41 offset:24
	ds_bpermute_b32 v6, v103, v110 offset:24
	ds_bpermute_b32 v7, v103, v111 offset:24
	v_add_f64 v[0:1], v[20:21], v[0:1]
	v_add_f64 v[0:1], v[22:23], v[0:1]
	s_waitcnt lgkmcnt(2)
	v_add_f64 v[8:9], v[44:45], -v[8:9]
	v_mul_f64 v[8:9], v[18:19], v[8:9]
	s_waitcnt lgkmcnt(0)
	v_fmac_f64_e32 v[38:39], v[8:9], v[6:7]
	ds_bpermute_b32 v8, v103, v40 offset:28
	ds_bpermute_b32 v9, v103, v41 offset:28
	ds_bpermute_b32 v6, v103, v110 offset:28
	ds_bpermute_b32 v7, v103, v111 offset:28
	v_add_f64 v[0:1], v[24:25], v[0:1]
	v_add_f64 v[0:1], v[26:27], v[0:1]
	s_waitcnt lgkmcnt(2)
	v_add_f64 v[8:9], v[122:123], -v[8:9]
	v_mul_f64 v[8:9], v[20:21], v[8:9]
	;; [unrolled: 11-line block ×4, first 2 shown]
	s_waitcnt lgkmcnt(0)
	v_fmac_f64_e32 v[38:39], v[8:9], v[6:7]
	ds_bpermute_b32 v8, v103, v40 offset:40
	ds_bpermute_b32 v9, v103, v41 offset:40
	;; [unrolled: 1-line block ×4, first 2 shown]
	s_waitcnt lgkmcnt(2)
	v_add_f64 v[8:9], v[124:125], -v[8:9]
	v_mul_f64 v[8:9], v[26:27], v[8:9]
	s_waitcnt lgkmcnt(0)
	v_fmac_f64_e32 v[38:39], v[8:9], v[6:7]
	ds_bpermute_b32 v8, v103, v40 offset:44
	ds_bpermute_b32 v9, v103, v41 offset:44
	ds_bpermute_b32 v6, v103, v110 offset:44
	ds_bpermute_b32 v7, v103, v111 offset:44
	s_waitcnt lgkmcnt(2)
	v_add_f64 v[8:9], v[108:109], -v[8:9]
	v_mul_f64 v[8:9], v[28:29], v[8:9]
	s_waitcnt lgkmcnt(0)
	v_fmac_f64_e32 v[38:39], v[8:9], v[6:7]
	ds_bpermute_b32 v8, v103, v40 offset:48
	ds_bpermute_b32 v9, v103, v41 offset:48
	;; [unrolled: 1-line block ×4, first 2 shown]
	s_waitcnt vmcnt(0) lgkmcnt(2)
	v_add_f64 v[8:9], v[10:11], -v[8:9]
	buffer_load_dword v10, off, s[72:75], 0 offset:104 ; 4-byte Folded Reload
	buffer_load_dword v11, off, s[72:75], 0 offset:108 ; 4-byte Folded Reload
	v_mul_f64 v[8:9], v[30:31], v[8:9]
	s_waitcnt lgkmcnt(0)
	v_fmac_f64_e32 v[38:39], v[8:9], v[6:7]
	ds_bpermute_b32 v8, v103, v40 offset:52
	ds_bpermute_b32 v9, v103, v41 offset:52
	;; [unrolled: 1-line block ×4, first 2 shown]
	s_waitcnt lgkmcnt(2)
	v_add_f64 v[8:9], v[114:115], -v[8:9]
	v_mul_f64 v[8:9], v[32:33], v[8:9]
	s_waitcnt lgkmcnt(0)
	v_fmac_f64_e32 v[38:39], v[8:9], v[6:7]
	ds_bpermute_b32 v8, v103, v40 offset:56
	ds_bpermute_b32 v9, v103, v41 offset:56
	;; [unrolled: 1-line block ×4, first 2 shown]
	s_waitcnt vmcnt(0) lgkmcnt(2)
	v_add_f64 v[8:9], v[10:11], -v[8:9]
	v_mul_f64 v[8:9], v[34:35], v[8:9]
	s_waitcnt lgkmcnt(0)
	v_fmac_f64_e32 v[38:39], v[8:9], v[6:7]
	ds_bpermute_b32 v6, v103, v40 offset:60
	ds_bpermute_b32 v7, v103, v41 offset:60
	v_pk_mov_b32 v[108:109], v[38:39], v[38:39] op_sel:[0,1]
.LBB36_79:                              ;   in Loop: Header=BB36_3 Depth=1
	s_waitcnt vmcnt(0) lgkmcnt(0)
	v_add_f64 v[2:3], v[2:3], -v[6:7]
	v_mul_f64 v[2:3], v[36:37], v[2:3]
	v_fmac_f64_e32 v[108:109], v[2:3], v[42:43]
	buffer_load_dword v2, off, s[72:75], 0  ; 4-byte Folded Reload
	buffer_load_dword v3, off, s[72:75], 0 offset:4 ; 4-byte Folded Reload
	s_add_u32 s34, s34, s7
	v_add_f64 v[48:49], v[0:1], v[36:37]
	s_addc_u32 s35, s35, 0
	v_pk_mov_b32 v[0:1], s[12:13], s[12:13] op_sel:[0,1]
	v_cmp_lt_i64_e32 vcc, s[34:35], v[0:1]
	v_mov_b32_e32 v0, s29
	s_add_u32 s30, s30, s7
	s_addc_u32 s31, s31, 0
	s_and_b64 vcc, exec, vcc
	s_waitcnt vmcnt(1)
	v_add_co_u32_e64 v2, s[8:9], s28, v2
	s_waitcnt vmcnt(0)
	buffer_store_dword v2, off, s[72:75], 0 ; 4-byte Folded Spill
	s_nop 0
	buffer_store_dword v3, off, s[72:75], 0 offset:4 ; 4-byte Folded Spill
	buffer_load_dword v2, off, s[72:75], 0 offset:8 ; 4-byte Folded Reload
	s_nop 0
	buffer_load_dword v3, off, s[72:75], 0 offset:12 ; 4-byte Folded Reload
	s_waitcnt vmcnt(0)
	v_addc_co_u32_e64 v3, s[8:9], v3, v0, s[8:9]
	buffer_store_dword v2, off, s[72:75], 0 offset:8 ; 4-byte Folded Spill
	s_nop 0
	buffer_store_dword v3, off, s[72:75], 0 offset:12 ; 4-byte Folded Spill
	buffer_load_dword v2, off, s[72:75], 0 offset:16 ; 4-byte Folded Reload
	s_nop 0
	buffer_load_dword v3, off, s[72:75], 0 offset:20 ; 4-byte Folded Reload
	s_waitcnt vmcnt(1)
	v_add_co_u32_e64 v2, s[8:9], s28, v2
	s_waitcnt vmcnt(0)
	buffer_store_dword v2, off, s[72:75], 0 offset:16 ; 4-byte Folded Spill
	s_nop 0
	buffer_store_dword v3, off, s[72:75], 0 offset:20 ; 4-byte Folded Spill
	buffer_load_dword v2, off, s[72:75], 0 offset:24 ; 4-byte Folded Reload
	s_nop 0
	buffer_load_dword v3, off, s[72:75], 0 offset:28 ; 4-byte Folded Reload
	s_waitcnt vmcnt(0)
	v_addc_co_u32_e64 v3, s[8:9], v3, v0, s[8:9]
	buffer_store_dword v2, off, s[72:75], 0 offset:24 ; 4-byte Folded Spill
	s_nop 0
	buffer_store_dword v3, off, s[72:75], 0 offset:28 ; 4-byte Folded Spill
	buffer_load_dword v2, off, s[72:75], 0 offset:32 ; 4-byte Folded Reload
	s_nop 0
	buffer_load_dword v3, off, s[72:75], 0 offset:36 ; 4-byte Folded Reload
	s_waitcnt vmcnt(1)
	v_add_co_u32_e64 v2, s[8:9], s28, v2
	s_waitcnt vmcnt(0)
	buffer_store_dword v2, off, s[72:75], 0 offset:32 ; 4-byte Folded Spill
	s_nop 0
	buffer_store_dword v3, off, s[72:75], 0 offset:36 ; 4-byte Folded Spill
	buffer_load_dword v2, off, s[72:75], 0 offset:40 ; 4-byte Folded Reload
	s_nop 0
	buffer_load_dword v3, off, s[72:75], 0 offset:44 ; 4-byte Folded Reload
	v_addc_co_u32_e64 v105, s[8:9], v105, v0, s[8:9]
	s_waitcnt vmcnt(1)
	v_add_co_u32_e64 v2, s[8:9], s28, v2
	s_waitcnt vmcnt(0)
	buffer_store_dword v2, off, s[72:75], 0 offset:40 ; 4-byte Folded Spill
	s_nop 0
	buffer_store_dword v3, off, s[72:75], 0 offset:44 ; 4-byte Folded Spill
	buffer_load_dword v2, off, s[72:75], 0 offset:48 ; 4-byte Folded Reload
	s_nop 0
	buffer_load_dword v3, off, s[72:75], 0 offset:52 ; 4-byte Folded Reload
	s_waitcnt vmcnt(0)
	v_addc_co_u32_e64 v3, s[8:9], v3, v0, s[8:9]
	buffer_store_dword v2, off, s[72:75], 0 offset:48 ; 4-byte Folded Spill
	s_nop 0
	buffer_store_dword v3, off, s[72:75], 0 offset:52 ; 4-byte Folded Spill
	buffer_load_dword v2, off, s[72:75], 0 offset:56 ; 4-byte Folded Reload
	s_nop 0
	buffer_load_dword v3, off, s[72:75], 0 offset:60 ; 4-byte Folded Reload
	s_waitcnt vmcnt(1)
	v_add_co_u32_e64 v2, s[8:9], s28, v2
	s_waitcnt vmcnt(0)
	buffer_store_dword v2, off, s[72:75], 0 offset:56 ; 4-byte Folded Spill
	s_nop 0
	buffer_store_dword v3, off, s[72:75], 0 offset:60 ; 4-byte Folded Spill
	buffer_load_dword v2, off, s[72:75], 0 offset:64 ; 4-byte Folded Reload
	s_nop 0
	buffer_load_dword v3, off, s[72:75], 0 offset:68 ; 4-byte Folded Reload
	s_waitcnt vmcnt(0)
	v_addc_co_u32_e64 v3, s[8:9], v3, v0, s[8:9]
	buffer_store_dword v2, off, s[72:75], 0 offset:64 ; 4-byte Folded Spill
	s_nop 0
	buffer_store_dword v3, off, s[72:75], 0 offset:68 ; 4-byte Folded Spill
	buffer_load_dword v2, off, s[72:75], 0 offset:72 ; 4-byte Folded Reload
	s_nop 0
	buffer_load_dword v3, off, s[72:75], 0 offset:76 ; 4-byte Folded Reload
	;; [unrolled: 17-line block ×3, first 2 shown]
	v_add_co_u32_e64 v54, s[8:9], s28, v54
	s_waitcnt vmcnt(0)
	v_addc_co_u32_e64 v3, s[8:9], v3, v0, s[8:9]
	buffer_store_dword v2, off, s[72:75], 0 offset:88 ; 4-byte Folded Spill
	s_nop 0
	buffer_store_dword v3, off, s[72:75], 0 offset:92 ; 4-byte Folded Spill
	buffer_load_dword v2, off, s[72:75], 0 offset:96 ; 4-byte Folded Reload
	s_nop 0
	buffer_load_dword v3, off, s[72:75], 0 offset:100 ; 4-byte Folded Reload
	v_add_co_u32_e64 v56, s[8:9], s28, v56
	s_waitcnt vmcnt(0)
	v_addc_co_u32_e64 v3, s[8:9], v3, v0, s[8:9]
	v_add_co_u32_e64 v58, s[8:9], s28, v58
	v_addc_co_u32_e64 v55, s[8:9], v55, v0, s[8:9]
	v_add_co_u32_e64 v60, s[8:9], s28, v60
	;; [unrolled: 2-line block ×24, first 2 shown]
	v_addc_co_u32_e64 v101, s[8:9], v101, v0, s[8:9]
	buffer_store_dword v2, off, s[72:75], 0 offset:96 ; 4-byte Folded Spill
	s_nop 0
	buffer_store_dword v3, off, s[72:75], 0 offset:100 ; 4-byte Folded Spill
	s_cbranch_vccz .LBB36_130
; %bb.80:                               ;   in Loop: Header=BB36_3 Depth=1
	v_pk_mov_b32 v[38:39], v[108:109], v[108:109] op_sel:[0,1]
	s_branch .LBB36_3
.LBB36_81:
	s_mov_b64 s[24:25], -1
                                        ; implicit-def: $vgpr48_vgpr49
                                        ; implicit-def: $vgpr108_vgpr109
.LBB36_82:
	s_andn2_b64 vcc, exec, s[24:25]
	s_cbranch_vccnz .LBB36_132
.LBB36_83:
	v_pk_mov_b32 v[48:49], 0, 0
	s_and_b64 vcc, exec, s[0:1]
	v_pk_mov_b32 v[108:109], v[48:49], v[48:49] op_sel:[0,1]
	s_cbranch_vccnz .LBB36_132
; %bb.84:
	s_load_dword s0, s[4:5], 0x44
	s_add_u32 s2, s4, 64
	s_addc_u32 s3, s5, 0
	s_waitcnt vmcnt(0)
	v_bfe_u32 v37, v36, 10, 10
	v_lshlrev_b32_e32 v0, 7, v37
	s_waitcnt lgkmcnt(0)
	s_lshl_b32 s7, s0, 8
	s_add_u32 s8, s10, 0xff
	s_addc_u32 s9, 0, 0
	s_lshl_b64 s[0:1], s[10:11], 3
	v_mov_b32_e32 v1, s1
	v_add_co_u32_e32 v2, vcc, s0, v0
	v_addc_co_u32_e32 v3, vcc, 0, v1, vcc
	v_add_co_u32_e32 v6, vcc, 8, v2
	v_addc_co_u32_e32 v4, vcc, 0, v3, vcc
	v_add_co_u32_e32 v9, vcc, 16, v2
	v_mul_lo_u32 v7, s14, v4
	v_addc_co_u32_e32 v4, vcc, 0, v3, vcc
	v_add_co_u32_e32 v12, vcc, 24, v2
	v_mul_lo_u32 v10, s14, v4
	;; [unrolled: 3-line block ×6, first 2 shown]
	v_addc_co_u32_e32 v4, vcc, 0, v3, vcc
	v_pk_mov_b32 v[0:1], s[16:17], s[16:17] op_sel:[0,1]
	v_add_co_u32_e32 v27, vcc, 64, v2
	v_mad_u64_u32 v[42:43], s[0:1], s14, v6, v[0:1]
	v_mad_u64_u32 v[44:45], s[0:1], s14, v9, v[0:1]
	;; [unrolled: 1-line block ×8, first 2 shown]
	v_mul_lo_u32 v25, s14, v4
	v_addc_co_u32_e32 v4, vcc, 0, v3, vcc
	s_movk_i32 s0, 0x48
	v_add_co_u32_e32 v30, vcc, s0, v2
	v_mad_u64_u32 v[58:59], s[0:1], s14, v30, v[0:1]
	v_mul_lo_u32 v28, s14, v4
	v_addc_co_u32_e32 v4, vcc, 0, v3, vcc
	s_movk_i32 s0, 0x50
	v_add_co_u32_e32 v33, vcc, s0, v2
	v_mul_lo_u32 v31, s14, v4
	v_addc_co_u32_e32 v4, vcc, 0, v3, vcc
	v_mul_lo_u32 v34, s14, v4
	s_movk_i32 s24, 0x58
	v_pk_mov_b32 v[4:5], s[18:19], s[18:19] op_sel:[0,1]
	v_mul_lo_u32 v8, s15, v6
	v_mad_u64_u32 v[62:63], s[0:1], s14, v6, v[4:5]
	v_add_co_u32_e32 v6, vcc, s24, v2
	v_add3_u32 v43, v8, v43, v7
	v_add3_u32 v63, v8, v63, v7
	v_addc_co_u32_e32 v7, vcc, 0, v3, vcc
	s_movk_i32 s24, 0x60
	v_mul_lo_u32 v11, s15, v9
	v_mad_u64_u32 v[64:65], s[0:1], s14, v9, v[4:5]
	v_add_co_u32_e32 v9, vcc, s24, v2
	v_add3_u32 v45, v11, v45, v10
	v_add3_u32 v65, v11, v65, v10
	v_addc_co_u32_e32 v10, vcc, 0, v3, vcc
	s_movk_i32 s24, 0x68
	v_mad_u64_u32 v[68:69], s[0:1], s14, v6, v[0:1]
	v_mul_lo_u32 v8, s15, v6
	v_mad_u64_u32 v[86:87], s[0:1], s14, v6, v[4:5]
	v_add_co_u32_e32 v6, vcc, s24, v2
	v_mad_u64_u32 v[60:61], s[0:1], s14, v33, v[0:1]
	v_mad_u64_u32 v[66:67], s[0:1], s14, v12, v[4:5]
	v_mul_lo_u32 v7, s14, v7
	v_mad_u64_u32 v[70:71], s[0:1], s14, v15, v[4:5]
	v_mad_u64_u32 v[72:73], s[0:1], s14, v18, v[4:5]
	;; [unrolled: 1-line block ×11, first 2 shown]
	v_add3_u32 v69, v8, v69, v7
	v_add3_u32 v87, v8, v87, v7
	v_addc_co_u32_e32 v7, vcc, 0, v3, vcc
	s_movk_i32 s0, 0x70
	v_mul_lo_u32 v8, s15, v6
	v_add_co_u32_e32 v6, vcc, s0, v2
	v_mul_lo_u32 v7, s14, v7
	v_mad_u64_u32 v[94:95], s[0:1], s14, v6, v[0:1]
	v_mad_u64_u32 v[96:97], s[0:1], s14, v6, v[4:5]
	v_add3_u32 v91, v8, v91, v7
	v_add3_u32 v93, v8, v93, v7
	v_addc_co_u32_e32 v7, vcc, 0, v3, vcc
	s_movk_i32 s0, 0x78
	v_add_co_u32_e32 v2, vcc, s0, v2
	v_addc_co_u32_e32 v3, vcc, 0, v3, vcc
	v_mad_u64_u32 v[98:99], s[0:1], s14, v2, v[0:1]
	v_mul_lo_u32 v0, s14, v3
	v_mad_u64_u32 v[100:101], s[0:1], s14, v2, v[4:5]
	v_mul_lo_u32 v1, s15, v2
	v_lshlrev_b32_e32 v2, 4, v37
	v_add3_u32 v99, v1, v99, v0
	v_add3_u32 v101, v1, v101, v0
	v_mov_b32_e32 v1, s11
	v_mov_b32_e32 v0, v2
	buffer_store_dword v37, off, s[72:75], 0 offset:552 ; 4-byte Folded Spill
	buffer_store_dword v0, off, s[72:75], 0 offset:556 ; 4-byte Folded Spill
	s_nop 0
	buffer_store_dword v1, off, s[72:75], 0 offset:560 ; 4-byte Folded Spill
	v_add_co_u32_e32 v0, vcc, s10, v2
	v_mul_lo_u32 v7, s14, v7
	v_mul_lo_u32 v8, s15, v6
	v_add3_u32 v95, v8, v95, v7
	v_add3_u32 v97, v8, v97, v7
	v_mul_lo_u32 v11, s15, v9
	v_mul_lo_u32 v10, s14, v10
	v_add3_u32 v81, v11, v81, v10
	v_add3_u32 v89, v11, v89, v10
	v_mul_lo_u32 v14, s15, v12
	v_add3_u32 v47, v14, v47, v13
	v_add3_u32 v67, v14, v67, v13
	;; [unrolled: 3-line block ×8, first 2 shown]
	v_mul_lo_u32 v35, s15, v33
	v_mul_lo_u32 v33, s15, v0
	v_add3_u32 v61, v35, v61, v34
	v_add3_u32 v85, v35, v85, v34
	v_mov_b32_e32 v34, s19
	s_mov_b32 s36, 0
	v_pk_mov_b32 v[108:109], 0, 0
	v_addc_co_u32_e32 v1, vcc, 0, v1, vcc
	v_add_co_u32_e32 v2, vcc, 15, v0
	v_addc_co_u32_e32 v3, vcc, 0, v1, vcc
	v_mul_lo_u32 v4, s14, v3
	v_mul_lo_u32 v5, s15, v2
	v_mad_u64_u32 v[2:3], s[0:1], s14, v2, 0
	v_add3_u32 v3, v3, v4, v5
	v_add_co_u32_e32 v4, vcc, 14, v0
	v_addc_co_u32_e32 v5, vcc, 0, v1, vcc
	v_mul_lo_u32 v6, s14, v5
	v_mul_lo_u32 v7, s15, v4
	v_mad_u64_u32 v[4:5], s[0:1], s14, v4, 0
	v_add3_u32 v5, v5, v6, v7
	;; [unrolled: 6-line block ×14, first 2 shown]
	v_pk_mov_b32 v[30:31], s[14:15], s[14:15] op_sel:[0,1]
	v_mul_lo_u32 v32, s14, v1
	v_mad_u64_u32 v[30:31], s[0:1], s14, v0, v[30:31]
	v_mad_u64_u32 v[0:1], s[0:1], s14, v0, 0
	v_add3_u32 v1, v1, v32, v33
	v_add3_u32 v31, v33, v31, v32
	v_lshlrev_b64 v[32:33], 3, v[0:1]
	v_mov_b32_e32 v0, s17
	v_add_co_u32_e32 v104, vcc, s16, v32
	v_addc_co_u32_e32 v1, vcc, v0, v33, vcc
	v_add_co_u32_e32 v32, vcc, s18, v32
	buffer_store_dword v32, off, s[72:75], 0 ; 4-byte Folded Spill
	s_nop 0
	buffer_store_dword v33, off, s[72:75], 0 offset:4 ; 4-byte Folded Spill
	v_lshlrev_b64 v[2:3], 3, v[2:3]
	s_mul_i32 s0, s15, s7
	s_mul_hi_u32 s1, s14, s7
	s_add_i32 s1, s1, s0
	s_mul_i32 s0, s14, s7
	v_addc_co_u32_e32 v103, vcc, v34, v33, vcc
	v_add_co_u32_e32 v32, vcc, s16, v2
	buffer_store_dword v32, off, s[72:75], 0 offset:8 ; 4-byte Folded Spill
	s_nop 0
	buffer_store_dword v33, off, s[72:75], 0 offset:12 ; 4-byte Folded Spill
	v_addc_co_u32_e32 v33, vcc, v0, v3, vcc
	v_add_co_u32_e32 v2, vcc, s18, v2
	buffer_store_dword v32, off, s[72:75], 0 offset:16 ; 4-byte Folded Spill
	s_nop 0
	buffer_store_dword v33, off, s[72:75], 0 offset:20 ; 4-byte Folded Spill
	buffer_store_dword v2, off, s[72:75], 0 offset:24 ; 4-byte Folded Spill
	s_nop 0
	buffer_store_dword v3, off, s[72:75], 0 offset:28 ; 4-byte Folded Spill
	v_addc_co_u32_e32 v3, vcc, v34, v3, vcc
	buffer_store_dword v2, off, s[72:75], 0 offset:32 ; 4-byte Folded Spill
	s_nop 0
	buffer_store_dword v3, off, s[72:75], 0 offset:36 ; 4-byte Folded Spill
	v_lshlrev_b64 v[2:3], 3, v[4:5]
	v_add_co_u32_e32 v4, vcc, s16, v2
	buffer_store_dword v4, off, s[72:75], 0 offset:40 ; 4-byte Folded Spill
	s_nop 0
	buffer_store_dword v5, off, s[72:75], 0 offset:44 ; 4-byte Folded Spill
	v_addc_co_u32_e32 v5, vcc, v0, v3, vcc
	v_add_co_u32_e32 v2, vcc, s18, v2
	buffer_store_dword v4, off, s[72:75], 0 offset:48 ; 4-byte Folded Spill
	s_nop 0
	buffer_store_dword v5, off, s[72:75], 0 offset:52 ; 4-byte Folded Spill
	buffer_store_dword v2, off, s[72:75], 0 offset:56 ; 4-byte Folded Spill
	s_nop 0
	buffer_store_dword v3, off, s[72:75], 0 offset:60 ; 4-byte Folded Spill
	v_addc_co_u32_e32 v3, vcc, v34, v3, vcc
	buffer_store_dword v2, off, s[72:75], 0 offset:64 ; 4-byte Folded Spill
	s_nop 0
	buffer_store_dword v3, off, s[72:75], 0 offset:68 ; 4-byte Folded Spill
	v_lshlrev_b64 v[2:3], 3, v[6:7]
	;; [unrolled: 17-line block ×14, first 2 shown]
	v_add_co_u32_e32 v4, vcc, s16, v2
	buffer_store_dword v4, off, s[72:75], 0 offset:456 ; 4-byte Folded Spill
	s_nop 0
	buffer_store_dword v5, off, s[72:75], 0 offset:460 ; 4-byte Folded Spill
	v_addc_co_u32_e32 v5, vcc, v0, v3, vcc
	v_add_co_u32_e32 v0, vcc, s18, v2
	buffer_store_dword v4, off, s[72:75], 0 offset:464 ; 4-byte Folded Spill
	s_nop 0
	buffer_store_dword v5, off, s[72:75], 0 offset:468 ; 4-byte Folded Spill
	buffer_store_dword v0, off, s[72:75], 0 offset:472 ; 4-byte Folded Spill
	s_nop 0
	buffer_store_dword v1, off, s[72:75], 0 offset:476 ; 4-byte Folded Spill
	v_addc_co_u32_e32 v3, vcc, v34, v3, vcc
	buffer_store_dword v2, off, s[72:75], 0 offset:480 ; 4-byte Folded Spill
	s_nop 0
	buffer_store_dword v3, off, s[72:75], 0 offset:484 ; 4-byte Folded Spill
	v_and_b32_e32 v0, 0x3ff, v36
	buffer_store_dword v0, off, s[72:75], 0 offset:564 ; 4-byte Folded Spill
	v_add_u32_e32 v2, s33, v0
	v_mbcnt_lo_u32_b32 v0, -1, 0
	v_mov_b32_e32 v4, 0
	v_mbcnt_hi_u32_b32 v0, -1, v0
	v_mov_b32_e32 v3, v4
	v_lshlrev_b32_e32 v0, 2, v0
	v_lshlrev_b64 v[114:115], 3, v[2:3]
	s_lshl_b64 s[16:17], s[0:1], 3
	v_and_b32_e32 v102, 0x100, v0
	buffer_store_dword v36, off, s[72:75], 0 offset:584 ; 4-byte Folded Spill
	buffer_store_dword v108, off, s[72:75], 0 offset:488 ; 4-byte Folded Spill
	s_nop 0
	buffer_store_dword v109, off, s[72:75], 0 offset:492 ; 4-byte Folded Spill
	s_branch .LBB36_88
.LBB36_85:                              ;   in Loop: Header=BB36_88 Depth=1
	s_or_b64 exec, exec, s[18:19]
.LBB36_86:                              ;   in Loop: Header=BB36_88 Depth=1
	s_or_b64 exec, exec, s[0:1]
	v_add_co_u32_e32 v8, vcc, v104, v114
	v_addc_co_u32_e32 v9, vcc, v1, v115, vcc
	global_load_dwordx2 v[10:11], v[8:9], off
	s_nop 0
	buffer_load_dword v8, off, s[72:75], 0  ; 4-byte Folded Reload
	buffer_load_dword v9, off, s[72:75], 0 offset:4 ; 4-byte Folded Reload
	s_waitcnt vmcnt(4)
	ds_bpermute_b32 v110, v102, v6
	ds_bpermute_b32 v111, v102, v7
	s_waitcnt vmcnt(3)
	ds_bpermute_b32 v112, v102, v2
	ds_bpermute_b32 v113, v102, v3
	ds_bpermute_b32 v116, v102, v2 offset:28
	ds_bpermute_b32 v117, v102, v3 offset:28
	s_waitcnt vmcnt(1)
	v_add_co_u32_e32 v8, vcc, v8, v114
	s_waitcnt vmcnt(0)
	v_addc_co_u32_e32 v9, vcc, v103, v115, vcc
	global_load_dwordx2 v[32:33], v[8:9], off
	v_add_co_u32_e32 v8, vcc, v42, v114
	v_addc_co_u32_e32 v9, vcc, v43, v115, vcc
	v_add_co_u32_e32 v12, vcc, v62, v114
	v_addc_co_u32_e32 v13, vcc, v63, v115, vcc
	global_load_dwordx2 v[30:31], v[12:13], off
	v_add_co_u32_e32 v12, vcc, v44, v114
	global_load_dwordx2 v[8:9], v[8:9], off
	v_addc_co_u32_e32 v13, vcc, v45, v115, vcc
	v_add_co_u32_e32 v14, vcc, v64, v114
	v_addc_co_u32_e32 v15, vcc, v65, v115, vcc
	global_load_dwordx2 v[40:41], v[14:15], off
	v_add_co_u32_e32 v14, vcc, v46, v114
	global_load_dwordx2 v[12:13], v[12:13], off
	;; [unrolled: 6-line block ×7, first 2 shown]
	v_addc_co_u32_e32 v27, vcc, v57, v115, vcc
	global_load_dwordx2 v[26:27], v[26:27], off
	s_waitcnt vmcnt(15) lgkmcnt(4)
	v_add_f64 v[32:33], v[32:33], -v[110:111]
	v_mul_f64 v[32:33], v[10:11], v[32:33]
	v_add_co_u32_e32 v110, vcc, v78, v114
	s_waitcnt lgkmcnt(2)
	v_fmac_f64_e32 v[108:109], v[32:33], v[112:113]
	ds_bpermute_b32 v112, v102, v6 offset:4
	ds_bpermute_b32 v113, v102, v7 offset:4
	v_addc_co_u32_e32 v111, vcc, v79, v115, vcc
	global_load_dwordx2 v[32:33], v[110:111], off
	ds_bpermute_b32 v110, v102, v2 offset:4
	ds_bpermute_b32 v111, v102, v3 offset:4
	s_waitcnt vmcnt(15) lgkmcnt(2)
	v_add_f64 v[30:31], v[30:31], -v[112:113]
	s_waitcnt vmcnt(14)
	v_mul_f64 v[30:31], v[8:9], v[30:31]
	v_add_co_u32_e32 v112, vcc, v58, v114
	s_waitcnt lgkmcnt(0)
	v_fmac_f64_e32 v[108:109], v[30:31], v[110:111]
	ds_bpermute_b32 v110, v102, v6 offset:8
	ds_bpermute_b32 v111, v102, v7 offset:8
	v_addc_co_u32_e32 v113, vcc, v59, v115, vcc
	global_load_dwordx2 v[30:31], v[112:113], off
	ds_bpermute_b32 v112, v102, v2 offset:8
	ds_bpermute_b32 v113, v102, v3 offset:8
	s_waitcnt vmcnt(14) lgkmcnt(2)
	v_add_f64 v[40:41], v[40:41], -v[110:111]
	s_waitcnt vmcnt(13)
	;; [unrolled: 13-line block ×6, first 2 shown]
	v_mul_f64 v[28:29], v[20:21], v[28:29]
	v_add_co_u32_e32 v110, vcc, v86, v114
	s_waitcnt lgkmcnt(0)
	v_fmac_f64_e32 v[108:109], v[28:29], v[112:113]
	ds_bpermute_b32 v28, v102, v6 offset:28
	ds_bpermute_b32 v29, v102, v7 offset:28
	v_addc_co_u32_e32 v111, vcc, v87, v115, vcc
	v_add_co_u32_e32 v112, vcc, v80, v114
	s_waitcnt vmcnt(8) lgkmcnt(0)
	v_add_f64 v[24:25], v[24:25], -v[28:29]
	v_addc_co_u32_e32 v113, vcc, v81, v115, vcc
	s_waitcnt vmcnt(7)
	v_mul_f64 v[24:25], v[22:23], v[24:25]
	v_fmac_f64_e32 v[108:109], v[24:25], v[116:117]
	v_add_co_u32_e32 v24, vcc, v88, v114
	v_addc_co_u32_e32 v25, vcc, v89, v115, vcc
	global_load_dwordx2 v[28:29], v[112:113], off
	s_nop 0
	global_load_dwordx2 v[112:113], v[24:25], off
	v_add_co_u32_e32 v24, vcc, v90, v114
	v_addc_co_u32_e32 v25, vcc, v91, v115, vcc
	global_load_dwordx2 v[110:111], v[110:111], off
	v_add_co_u32_e32 v116, vcc, v92, v114
	global_load_dwordx2 v[24:25], v[24:25], off
	s_nop 0
	buffer_load_dword v106, off, s[72:75], 0 offset:488 ; 4-byte Folded Reload
	buffer_load_dword v107, off, s[72:75], 0 offset:492 ; 4-byte Folded Reload
	v_addc_co_u32_e32 v117, vcc, v93, v115, vcc
	global_load_dwordx2 v[116:117], v[116:117], off
	s_waitcnt vmcnt(1)
	v_add_f64 v[10:11], v[106:107], v[10:11]
	v_add_f64 v[8:9], v[10:11], v[8:9]
	v_add_co_u32_e32 v10, vcc, v94, v114
	v_addc_co_u32_e32 v11, vcc, v95, v115, vcc
	v_add_f64 v[12:13], v[8:9], v[12:13]
	v_add_co_u32_e32 v8, vcc, v96, v114
	v_addc_co_u32_e32 v9, vcc, v97, v115, vcc
	global_load_dwordx2 v[118:119], v[8:9], off
	s_nop 0
	global_load_dwordx2 v[8:9], v[10:11], off
	v_add_f64 v[10:11], v[12:13], v[14:15]
	v_add_f64 v[14:15], v[10:11], v[16:17]
	ds_bpermute_b32 v16, v102, v6 offset:32
	ds_bpermute_b32 v17, v102, v7 offset:32
	v_add_f64 v[14:15], v[14:15], v[18:19]
	v_add_f64 v[14:15], v[14:15], v[20:21]
	ds_bpermute_b32 v18, v102, v2 offset:32
	ds_bpermute_b32 v19, v102, v3 offset:32
	;; [unrolled: 1-line block ×4, first 2 shown]
	s_waitcnt lgkmcnt(4)
	v_add_f64 v[16:17], v[32:33], -v[16:17]
	v_mul_f64 v[16:17], v[26:27], v[16:17]
	v_add_co_u32_e32 v12, vcc, v98, v114
	s_waitcnt lgkmcnt(2)
	v_fmac_f64_e32 v[108:109], v[16:17], v[18:19]
	ds_bpermute_b32 v16, v102, v2 offset:36
	ds_bpermute_b32 v17, v102, v3 offset:36
	s_waitcnt lgkmcnt(2)
	v_add_f64 v[18:19], v[40:41], -v[20:21]
	ds_bpermute_b32 v20, v102, v6 offset:40
	ds_bpermute_b32 v21, v102, v7 offset:40
	v_addc_co_u32_e32 v13, vcc, v99, v115, vcc
	v_add_co_u32_e32 v10, vcc, v100, v114
	v_addc_co_u32_e32 v11, vcc, v101, v115, vcc
	global_load_dwordx2 v[10:11], v[10:11], off
	v_mul_f64 v[18:19], v[30:31], v[18:19]
	s_waitcnt lgkmcnt(2)
	v_fmac_f64_e32 v[108:109], v[18:19], v[16:17]
	s_waitcnt lgkmcnt(0)
	v_add_f64 v[18:19], v[36:37], -v[20:21]
	global_load_dwordx2 v[36:37], v[12:13], off
	ds_bpermute_b32 v16, v102, v2 offset:40
	ds_bpermute_b32 v17, v102, v3 offset:40
	;; [unrolled: 1-line block ×4, first 2 shown]
	v_mul_f64 v[18:19], v[38:39], v[18:19]
	v_add_f64 v[14:15], v[14:15], v[22:23]
	s_waitcnt lgkmcnt(2)
	v_fmac_f64_e32 v[108:109], v[18:19], v[16:17]
	ds_bpermute_b32 v16, v102, v2 offset:44
	ds_bpermute_b32 v17, v102, v3 offset:44
	s_waitcnt lgkmcnt(2)
	v_add_f64 v[18:19], v[110:111], -v[20:21]
	ds_bpermute_b32 v20, v102, v6 offset:48
	ds_bpermute_b32 v21, v102, v7 offset:48
	v_mul_f64 v[18:19], v[34:35], v[18:19]
	s_waitcnt lgkmcnt(2)
	v_fmac_f64_e32 v[108:109], v[18:19], v[16:17]
	ds_bpermute_b32 v16, v102, v2 offset:48
	ds_bpermute_b32 v17, v102, v3 offset:48
	s_waitcnt lgkmcnt(2)
	v_add_f64 v[18:19], v[112:113], -v[20:21]
	ds_bpermute_b32 v20, v102, v6 offset:52
	ds_bpermute_b32 v21, v102, v7 offset:52
	;; [unrolled: 1-line block ×4, first 2 shown]
	v_mul_f64 v[18:19], v[28:29], v[18:19]
	s_waitcnt lgkmcnt(4)
	v_fmac_f64_e32 v[108:109], v[18:19], v[16:17]
	s_waitcnt vmcnt(4) lgkmcnt(2)
	v_add_f64 v[16:17], v[116:117], -v[20:21]
	v_mul_f64 v[16:17], v[24:25], v[16:17]
	v_add_f64 v[14:15], v[14:15], v[26:27]
	s_waitcnt lgkmcnt(0)
	v_fmac_f64_e32 v[108:109], v[16:17], v[22:23]
	ds_bpermute_b32 v16, v102, v6 offset:56
	ds_bpermute_b32 v17, v102, v7 offset:56
	v_add_f64 v[14:15], v[14:15], v[30:31]
	ds_bpermute_b32 v20, v102, v6 offset:60
	ds_bpermute_b32 v21, v102, v7 offset:60
	v_add_f64 v[14:15], v[14:15], v[38:39]
	;; [unrolled: 3-line block ×4, first 2 shown]
	v_add_f64 v[6:7], v[14:15], v[24:25]
	s_waitcnt vmcnt(3) lgkmcnt(6)
	v_add_f64 v[16:17], v[118:119], -v[16:17]
	s_waitcnt vmcnt(2)
	v_mul_f64 v[16:17], v[8:9], v[16:17]
	v_add_f64 v[6:7], v[6:7], v[8:9]
	s_waitcnt lgkmcnt(2)
	v_fmac_f64_e32 v[108:109], v[16:17], v[18:19]
	v_pk_mov_b32 v[40:41], v[108:109], v[108:109] op_sel:[0,1]
	s_waitcnt vmcnt(1)
	v_add_f64 v[8:9], v[10:11], -v[20:21]
	s_waitcnt vmcnt(0)
	v_mul_f64 v[8:9], v[36:37], v[8:9]
	s_waitcnt lgkmcnt(0)
	v_mul_f64 v[2:3], v[8:9], v[2:3]
.LBB36_87:                              ;   in Loop: Header=BB36_88 Depth=1
	v_add_f64 v[108:109], v[40:41], v[2:3]
	s_waitcnt vmcnt(0)
	v_add_f64 v[2:3], v[6:7], v[36:37]
	buffer_store_dword v2, off, s[72:75], 0 offset:488 ; 4-byte Folded Spill
	s_nop 0
	buffer_store_dword v3, off, s[72:75], 0 offset:492 ; 4-byte Folded Spill
	buffer_load_dword v2, off, s[72:75], 0  ; 4-byte Folded Reload
	s_nop 0
	buffer_load_dword v3, off, s[72:75], 0 offset:4 ; 4-byte Folded Reload
	v_add_co_u32_e32 v42, vcc, s16, v42
	v_mov_b32_e32 v0, s17
	v_addc_co_u32_e32 v43, vcc, v43, v0, vcc
	v_add_co_u32_e32 v44, vcc, s16, v44
	v_addc_co_u32_e32 v45, vcc, v45, v0, vcc
	v_add_co_u32_e32 v46, vcc, s16, v46
	;; [unrolled: 2-line block ×30, first 2 shown]
	v_addc_co_u32_e32 v101, vcc, v101, v0, vcc
	s_waitcnt vmcnt(1)
	v_add_co_u32_e32 v2, vcc, s16, v2
	s_waitcnt vmcnt(0)
	buffer_store_dword v2, off, s[72:75], 0 ; 4-byte Folded Spill
	s_nop 0
	buffer_store_dword v3, off, s[72:75], 0 offset:4 ; 4-byte Folded Spill
	buffer_load_dword v2, off, s[72:75], 0 offset:8 ; 4-byte Folded Reload
	s_nop 0
	buffer_load_dword v3, off, s[72:75], 0 offset:12 ; 4-byte Folded Reload
	v_addc_co_u32_e32 v103, vcc, v103, v0, vcc
	s_add_u32 s10, s10, s7
	s_addc_u32 s11, s11, 0
	s_add_u32 s8, s8, s7
	s_addc_u32 s9, s9, 0
	s_waitcnt vmcnt(1)
	v_add_co_u32_e32 v2, vcc, s16, v2
	s_waitcnt vmcnt(0)
	buffer_store_dword v2, off, s[72:75], 0 offset:8 ; 4-byte Folded Spill
	s_nop 0
	buffer_store_dword v3, off, s[72:75], 0 offset:12 ; 4-byte Folded Spill
	buffer_load_dword v2, off, s[72:75], 0 offset:16 ; 4-byte Folded Reload
	s_nop 0
	buffer_load_dword v3, off, s[72:75], 0 offset:20 ; 4-byte Folded Reload
	s_waitcnt vmcnt(0)
	v_addc_co_u32_e32 v3, vcc, v3, v0, vcc
	buffer_store_dword v2, off, s[72:75], 0 offset:16 ; 4-byte Folded Spill
	s_nop 0
	buffer_store_dword v3, off, s[72:75], 0 offset:20 ; 4-byte Folded Spill
	buffer_load_dword v2, off, s[72:75], 0 offset:24 ; 4-byte Folded Reload
	s_nop 0
	buffer_load_dword v3, off, s[72:75], 0 offset:28 ; 4-byte Folded Reload
	s_waitcnt vmcnt(1)
	v_add_co_u32_e32 v2, vcc, s16, v2
	s_waitcnt vmcnt(0)
	buffer_store_dword v2, off, s[72:75], 0 offset:24 ; 4-byte Folded Spill
	s_nop 0
	buffer_store_dword v3, off, s[72:75], 0 offset:28 ; 4-byte Folded Spill
	buffer_load_dword v2, off, s[72:75], 0 offset:32 ; 4-byte Folded Reload
	s_nop 0
	buffer_load_dword v3, off, s[72:75], 0 offset:36 ; 4-byte Folded Reload
	s_waitcnt vmcnt(0)
	v_addc_co_u32_e32 v3, vcc, v3, v0, vcc
	buffer_store_dword v2, off, s[72:75], 0 offset:32 ; 4-byte Folded Spill
	s_nop 0
	buffer_store_dword v3, off, s[72:75], 0 offset:36 ; 4-byte Folded Spill
	buffer_load_dword v2, off, s[72:75], 0 offset:40 ; 4-byte Folded Reload
	s_nop 0
	buffer_load_dword v3, off, s[72:75], 0 offset:44 ; 4-byte Folded Reload
	;; [unrolled: 17-line block ×29, first 2 shown]
	s_waitcnt vmcnt(1)
	v_add_co_u32_e32 v2, vcc, s16, v2
	s_waitcnt vmcnt(0)
	buffer_store_dword v2, off, s[72:75], 0 offset:472 ; 4-byte Folded Spill
	s_nop 0
	buffer_store_dword v3, off, s[72:75], 0 offset:476 ; 4-byte Folded Spill
	buffer_load_dword v2, off, s[72:75], 0 offset:480 ; 4-byte Folded Reload
	s_nop 0
	buffer_load_dword v3, off, s[72:75], 0 offset:484 ; 4-byte Folded Reload
	s_waitcnt vmcnt(0)
	v_addc_co_u32_e32 v3, vcc, v3, v0, vcc
	buffer_store_dword v2, off, s[72:75], 0 offset:480 ; 4-byte Folded Spill
	s_nop 0
	buffer_store_dword v3, off, s[72:75], 0 offset:484 ; 4-byte Folded Spill
	v_pk_mov_b32 v[2:3], s[12:13], s[12:13] op_sel:[0,1]
	v_cmp_ge_i64_e32 vcc, s[10:11], v[2:3]
	s_cbranch_vccnz .LBB36_131
.LBB36_88:                              ; =>This Inner Loop Header: Depth=1
	buffer_load_dword v6, off, s[72:75], 0 offset:556 ; 4-byte Folded Reload
	buffer_load_dword v7, off, s[72:75], 0 offset:560 ; 4-byte Folded Reload
	v_pk_mov_b32 v[2:3], s[12:13], s[12:13] op_sel:[0,1]
	v_cmp_ge_i64_e32 vcc, s[8:9], v[2:3]
	v_mov_b32_e32 v2, s9
	s_waitcnt vmcnt(1)
	v_add_co_u32_e64 v0, s[0:1], s8, v6
	v_addc_co_u32_e64 v105, s[0:1], 0, v2, s[0:1]
	s_cbranch_vccz .LBB36_126
; %bb.89:                               ;   in Loop: Header=BB36_88 Depth=1
	s_load_dword s0, s[2:3], 0xc
	buffer_load_dword v2, off, s[72:75], 0 offset:552 ; 4-byte Folded Reload
	buffer_load_dword v3, off, s[72:75], 0 offset:564 ; 4-byte Folded Reload
	v_pk_mov_b32 v[120:121], 0, 0
	v_pk_mov_b32 v[118:119], v[120:121], v[120:121] op_sel:[0,1]
	v_pk_mov_b32 v[116:117], v[120:121], v[120:121] op_sel:[0,1]
	s_waitcnt lgkmcnt(0)
	s_and_b32 s0, s0, 0xffff
	s_waitcnt vmcnt(0)
	v_mad_u32_u24 v2, v2, s0, v3
	v_and_b32_e32 v2, 63, v2
	v_cmp_gt_u32_e32 vcc, 16, v2
	s_and_saveexec_b64 s[0:1], vcc
	s_cbranch_execz .LBB36_93
; %bb.90:                               ;   in Loop: Header=BB36_88 Depth=1
	v_add_co_u32_e32 v2, vcc, v0, v2
	v_addc_co_u32_e32 v3, vcc, 0, v105, vcc
	v_add_co_u32_e32 v2, vcc, 0xffffff01, v2
	v_addc_co_u32_e32 v3, vcc, -1, v3, vcc
	v_pk_mov_b32 v[116:117], 0, 0
	v_cmp_gt_i64_e32 vcc, s[12:13], v[2:3]
	v_pk_mov_b32 v[118:119], v[116:117], v[116:117] op_sel:[0,1]
	s_and_saveexec_b64 s[18:19], vcc
	s_cbranch_execz .LBB36_92
; %bb.91:                               ;   in Loop: Header=BB36_88 Depth=1
	v_lshlrev_b64 v[2:3], 3, v[2:3]
	v_mov_b32_e32 v5, s23
	v_add_co_u32_e32 v6, vcc, s22, v2
	v_addc_co_u32_e32 v7, vcc, v5, v3, vcc
	v_mov_b32_e32 v5, s21
	v_add_co_u32_e32 v2, vcc, s20, v2
	v_addc_co_u32_e32 v3, vcc, v5, v3, vcc
	global_load_dwordx2 v[116:117], v[2:3], off
	global_load_dwordx2 v[118:119], v[6:7], off
.LBB36_92:                              ;   in Loop: Header=BB36_88 Depth=1
	s_or_b64 exec, exec, s[18:19]
.LBB36_93:                              ;   in Loop: Header=BB36_88 Depth=1
	s_or_b64 exec, exec, s[0:1]
	v_add_co_u32_e32 v2, vcc, 0xffffff01, v0
	s_mov_b32 s37, s36
	v_addc_co_u32_e32 v3, vcc, -1, v105, vcc
	s_mov_b32 s38, s36
	s_mov_b32 s39, s36
	;; [unrolled: 1-line block ×30, first 2 shown]
	v_pk_mov_b32 v[6:7], s[36:37], s[36:37] op_sel:[0,1]
	v_cmp_gt_i64_e32 vcc, s[12:13], v[2:3]
	v_pk_mov_b32 v[8:9], s[38:39], s[38:39] op_sel:[0,1]
	v_pk_mov_b32 v[10:11], s[40:41], s[40:41] op_sel:[0,1]
	;; [unrolled: 1-line block ×15, first 2 shown]
	buffer_store_dword v120, off, s[72:75], 0 offset:528 ; 4-byte Folded Spill
	s_nop 0
	buffer_store_dword v121, off, s[72:75], 0 offset:532 ; 4-byte Folded Spill
	s_and_saveexec_b64 s[0:1], vcc
	s_cbranch_execz .LBB36_95
; %bb.94:                               ;   in Loop: Header=BB36_88 Depth=1
	v_add_co_u32_e32 v2, vcc, v104, v114
	v_addc_co_u32_e32 v3, vcc, v1, v115, vcc
	global_load_dwordx2 v[2:3], v[2:3], off
	s_nop 0
	buffer_load_dword v6, off, s[72:75], 0  ; 4-byte Folded Reload
	buffer_load_dword v7, off, s[72:75], 0 offset:4 ; 4-byte Folded Reload
	v_mov_b32_e32 v8, v4
	v_mov_b32_e32 v9, v4
	;; [unrolled: 1-line block ×27, first 2 shown]
	s_waitcnt vmcnt(1)
	v_add_co_u32_e32 v6, vcc, v6, v114
	s_waitcnt vmcnt(0)
	v_addc_co_u32_e32 v7, vcc, v103, v115, vcc
	global_load_dwordx2 v[6:7], v[6:7], off
	s_waitcnt vmcnt(0)
	buffer_store_dword v6, off, s[72:75], 0 offset:528 ; 4-byte Folded Spill
	s_nop 0
	buffer_store_dword v7, off, s[72:75], 0 offset:532 ; 4-byte Folded Spill
	v_mov_b32_e32 v6, v4
	v_mov_b32_e32 v7, v4
	v_pk_mov_b32 v[36:37], v[32:33], v[32:33] op_sel:[0,1]
	v_pk_mov_b32 v[34:35], v[30:31], v[30:31] op_sel:[0,1]
	;; [unrolled: 1-line block ×16, first 2 shown]
.LBB36_95:                              ;   in Loop: Header=BB36_88 Depth=1
	s_or_b64 exec, exec, s[0:1]
	v_add_co_u32_e32 v2, vcc, 0xffffff02, v0
	v_addc_co_u32_e32 v3, vcc, -1, v105, vcc
	v_cmp_gt_i64_e32 vcc, s[12:13], v[2:3]
	s_and_saveexec_b64 s[0:1], vcc
	s_cbranch_execz .LBB36_97
; %bb.96:                               ;   in Loop: Header=BB36_88 Depth=1
	buffer_load_dword v2, off, s[72:75], 0 offset:456 ; 4-byte Folded Reload
	buffer_load_dword v3, off, s[72:75], 0 offset:460 ; 4-byte Folded Reload
	;; [unrolled: 1-line block ×4, first 2 shown]
	s_waitcnt vmcnt(3)
	v_add_co_u32_e32 v2, vcc, v2, v114
	s_waitcnt vmcnt(0)
	v_addc_co_u32_e32 v3, vcc, v9, v115, vcc
	global_load_dwordx2 v[8:9], v[2:3], off
	s_nop 0
	buffer_load_dword v2, off, s[72:75], 0 offset:472 ; 4-byte Folded Reload
	buffer_load_dword v3, off, s[72:75], 0 offset:476 ; 4-byte Folded Reload
	;; [unrolled: 1-line block ×4, first 2 shown]
	s_waitcnt vmcnt(3)
	v_add_co_u32_e32 v2, vcc, v2, v114
	s_waitcnt vmcnt(0)
	v_addc_co_u32_e32 v3, vcc, v39, v115, vcc
	global_load_dwordx2 v[120:121], v[2:3], off
.LBB36_97:                              ;   in Loop: Header=BB36_88 Depth=1
	s_or_b64 exec, exec, s[0:1]
	v_add_co_u32_e32 v2, vcc, 0xffffff03, v0
	v_addc_co_u32_e32 v3, vcc, -1, v105, vcc
	v_cmp_gt_i64_e32 vcc, s[12:13], v[2:3]
	v_pk_mov_b32 v[126:127], 0, 0
	buffer_store_dword v126, off, s[72:75], 0 offset:544 ; 4-byte Folded Spill
	s_nop 0
	buffer_store_dword v127, off, s[72:75], 0 offset:548 ; 4-byte Folded Spill
	s_and_saveexec_b64 s[0:1], vcc
	s_cbranch_execz .LBB36_99
; %bb.98:                               ;   in Loop: Header=BB36_88 Depth=1
	buffer_load_dword v2, off, s[72:75], 0 offset:424 ; 4-byte Folded Reload
	buffer_load_dword v3, off, s[72:75], 0 offset:428 ; 4-byte Folded Reload
	;; [unrolled: 1-line block ×4, first 2 shown]
	s_waitcnt vmcnt(3)
	v_add_co_u32_e32 v2, vcc, v2, v114
	s_waitcnt vmcnt(0)
	v_addc_co_u32_e32 v3, vcc, v11, v115, vcc
	global_load_dwordx2 v[10:11], v[2:3], off
	s_nop 0
	buffer_load_dword v2, off, s[72:75], 0 offset:440 ; 4-byte Folded Reload
	buffer_load_dword v3, off, s[72:75], 0 offset:444 ; 4-byte Folded Reload
	;; [unrolled: 1-line block ×4, first 2 shown]
	s_waitcnt vmcnt(3)
	v_add_co_u32_e32 v2, vcc, v2, v114
	s_waitcnt vmcnt(0)
	v_addc_co_u32_e32 v3, vcc, v39, v115, vcc
	global_load_dwordx2 v[2:3], v[2:3], off
	s_waitcnt vmcnt(0)
	buffer_store_dword v2, off, s[72:75], 0 offset:544 ; 4-byte Folded Spill
	s_nop 0
	buffer_store_dword v3, off, s[72:75], 0 offset:548 ; 4-byte Folded Spill
.LBB36_99:                              ;   in Loop: Header=BB36_88 Depth=1
	s_or_b64 exec, exec, s[0:1]
	v_add_co_u32_e32 v2, vcc, 0xffffff04, v0
	v_addc_co_u32_e32 v3, vcc, -1, v105, vcc
	v_cmp_gt_i64_e32 vcc, s[12:13], v[2:3]
	s_and_saveexec_b64 s[0:1], vcc
	s_cbranch_execz .LBB36_101
; %bb.100:                              ;   in Loop: Header=BB36_88 Depth=1
	buffer_load_dword v2, off, s[72:75], 0 offset:392 ; 4-byte Folded Reload
	buffer_load_dword v3, off, s[72:75], 0 offset:396 ; 4-byte Folded Reload
	buffer_load_dword v12, off, s[72:75], 0 offset:400 ; 4-byte Folded Reload
	buffer_load_dword v13, off, s[72:75], 0 offset:404 ; 4-byte Folded Reload
	s_waitcnt vmcnt(3)
	v_add_co_u32_e32 v2, vcc, v2, v114
	s_waitcnt vmcnt(0)
	v_addc_co_u32_e32 v3, vcc, v13, v115, vcc
	global_load_dwordx2 v[12:13], v[2:3], off
	s_nop 0
	buffer_load_dword v2, off, s[72:75], 0 offset:408 ; 4-byte Folded Reload
	buffer_load_dword v3, off, s[72:75], 0 offset:412 ; 4-byte Folded Reload
	buffer_load_dword v38, off, s[72:75], 0 offset:416 ; 4-byte Folded Reload
	buffer_load_dword v39, off, s[72:75], 0 offset:420 ; 4-byte Folded Reload
	s_waitcnt vmcnt(3)
	v_add_co_u32_e32 v2, vcc, v2, v114
	s_waitcnt vmcnt(0)
	v_addc_co_u32_e32 v3, vcc, v39, v115, vcc
	global_load_dwordx2 v[126:127], v[2:3], off
.LBB36_101:                             ;   in Loop: Header=BB36_88 Depth=1
	s_or_b64 exec, exec, s[0:1]
	v_add_co_u32_e32 v2, vcc, 0xffffff05, v0
	v_addc_co_u32_e32 v3, vcc, -1, v105, vcc
	v_cmp_gt_i64_e32 vcc, s[12:13], v[2:3]
	v_pk_mov_b32 v[110:111], 0, 0
	buffer_store_dword v110, off, s[72:75], 0 offset:536 ; 4-byte Folded Spill
	s_nop 0
	buffer_store_dword v111, off, s[72:75], 0 offset:540 ; 4-byte Folded Spill
	s_and_saveexec_b64 s[0:1], vcc
	s_cbranch_execz .LBB36_103
; %bb.102:                              ;   in Loop: Header=BB36_88 Depth=1
	buffer_load_dword v2, off, s[72:75], 0 offset:360 ; 4-byte Folded Reload
	buffer_load_dword v3, off, s[72:75], 0 offset:364 ; 4-byte Folded Reload
	buffer_load_dword v14, off, s[72:75], 0 offset:368 ; 4-byte Folded Reload
	buffer_load_dword v15, off, s[72:75], 0 offset:372 ; 4-byte Folded Reload
	s_waitcnt vmcnt(3)
	v_add_co_u32_e32 v2, vcc, v2, v114
	s_waitcnt vmcnt(0)
	v_addc_co_u32_e32 v3, vcc, v15, v115, vcc
	global_load_dwordx2 v[14:15], v[2:3], off
	s_nop 0
	buffer_load_dword v2, off, s[72:75], 0 offset:376 ; 4-byte Folded Reload
	buffer_load_dword v3, off, s[72:75], 0 offset:380 ; 4-byte Folded Reload
	buffer_load_dword v38, off, s[72:75], 0 offset:384 ; 4-byte Folded Reload
	buffer_load_dword v39, off, s[72:75], 0 offset:388 ; 4-byte Folded Reload
	s_waitcnt vmcnt(3)
	v_add_co_u32_e32 v2, vcc, v2, v114
	s_waitcnt vmcnt(0)
	v_addc_co_u32_e32 v3, vcc, v39, v115, vcc
	global_load_dwordx2 v[2:3], v[2:3], off
	s_waitcnt vmcnt(0)
	buffer_store_dword v2, off, s[72:75], 0 offset:536 ; 4-byte Folded Spill
	s_nop 0
	buffer_store_dword v3, off, s[72:75], 0 offset:540 ; 4-byte Folded Spill
.LBB36_103:                             ;   in Loop: Header=BB36_88 Depth=1
	s_or_b64 exec, exec, s[0:1]
	v_add_co_u32_e32 v2, vcc, 0xffffff06, v0
	v_addc_co_u32_e32 v3, vcc, -1, v105, vcc
	v_cmp_gt_i64_e32 vcc, s[12:13], v[2:3]
	s_and_saveexec_b64 s[0:1], vcc
	s_cbranch_execz .LBB36_105
; %bb.104:                              ;   in Loop: Header=BB36_88 Depth=1
	buffer_load_dword v2, off, s[72:75], 0 offset:328 ; 4-byte Folded Reload
	buffer_load_dword v3, off, s[72:75], 0 offset:332 ; 4-byte Folded Reload
	buffer_load_dword v16, off, s[72:75], 0 offset:336 ; 4-byte Folded Reload
	buffer_load_dword v17, off, s[72:75], 0 offset:340 ; 4-byte Folded Reload
	s_waitcnt vmcnt(3)
	v_add_co_u32_e32 v2, vcc, v2, v114
	s_waitcnt vmcnt(0)
	v_addc_co_u32_e32 v3, vcc, v17, v115, vcc
	global_load_dwordx2 v[16:17], v[2:3], off
	s_nop 0
	buffer_load_dword v2, off, s[72:75], 0 offset:344 ; 4-byte Folded Reload
	buffer_load_dword v3, off, s[72:75], 0 offset:348 ; 4-byte Folded Reload
	buffer_load_dword v38, off, s[72:75], 0 offset:352 ; 4-byte Folded Reload
	buffer_load_dword v39, off, s[72:75], 0 offset:356 ; 4-byte Folded Reload
	s_waitcnt vmcnt(3)
	v_add_co_u32_e32 v2, vcc, v2, v114
	s_waitcnt vmcnt(0)
	v_addc_co_u32_e32 v3, vcc, v39, v115, vcc
	global_load_dwordx2 v[110:111], v[2:3], off
.LBB36_105:                             ;   in Loop: Header=BB36_88 Depth=1
	s_or_b64 exec, exec, s[0:1]
	v_add_co_u32_e32 v2, vcc, 0xffffff07, v0
	v_addc_co_u32_e32 v3, vcc, -1, v105, vcc
	v_cmp_gt_i64_e32 vcc, s[12:13], v[2:3]
	v_pk_mov_b32 v[124:125], 0, 0
	buffer_store_dword v124, off, s[72:75], 0 offset:520 ; 4-byte Folded Spill
	s_nop 0
	buffer_store_dword v125, off, s[72:75], 0 offset:524 ; 4-byte Folded Spill
	s_and_saveexec_b64 s[0:1], vcc
	s_cbranch_execz .LBB36_107
; %bb.106:                              ;   in Loop: Header=BB36_88 Depth=1
	buffer_load_dword v2, off, s[72:75], 0 offset:296 ; 4-byte Folded Reload
	buffer_load_dword v3, off, s[72:75], 0 offset:300 ; 4-byte Folded Reload
	buffer_load_dword v18, off, s[72:75], 0 offset:304 ; 4-byte Folded Reload
	buffer_load_dword v19, off, s[72:75], 0 offset:308 ; 4-byte Folded Reload
	s_waitcnt vmcnt(3)
	v_add_co_u32_e32 v2, vcc, v2, v114
	s_waitcnt vmcnt(0)
	v_addc_co_u32_e32 v3, vcc, v19, v115, vcc
	global_load_dwordx2 v[18:19], v[2:3], off
	s_nop 0
	buffer_load_dword v2, off, s[72:75], 0 offset:312 ; 4-byte Folded Reload
	buffer_load_dword v3, off, s[72:75], 0 offset:316 ; 4-byte Folded Reload
	buffer_load_dword v38, off, s[72:75], 0 offset:320 ; 4-byte Folded Reload
	buffer_load_dword v39, off, s[72:75], 0 offset:324 ; 4-byte Folded Reload
	s_waitcnt vmcnt(3)
	v_add_co_u32_e32 v2, vcc, v2, v114
	s_waitcnt vmcnt(0)
	v_addc_co_u32_e32 v3, vcc, v39, v115, vcc
	global_load_dwordx2 v[2:3], v[2:3], off
	s_waitcnt vmcnt(0)
	buffer_store_dword v2, off, s[72:75], 0 offset:520 ; 4-byte Folded Spill
	s_nop 0
	buffer_store_dword v3, off, s[72:75], 0 offset:524 ; 4-byte Folded Spill
.LBB36_107:                             ;   in Loop: Header=BB36_88 Depth=1
	;; [unrolled: 62-line block ×5, first 2 shown]
	s_or_b64 exec, exec, s[0:1]
	v_add_co_u32_e32 v2, vcc, 0xffffff0e, v0
	v_addc_co_u32_e32 v3, vcc, -1, v105, vcc
	v_cmp_gt_i64_e32 vcc, s[12:13], v[2:3]
	s_and_saveexec_b64 s[0:1], vcc
	s_cbranch_execz .LBB36_121
; %bb.120:                              ;   in Loop: Header=BB36_88 Depth=1
	buffer_load_dword v2, off, s[72:75], 0 offset:72 ; 4-byte Folded Reload
	buffer_load_dword v3, off, s[72:75], 0 offset:76 ; 4-byte Folded Reload
	;; [unrolled: 1-line block ×4, first 2 shown]
	s_waitcnt vmcnt(3)
	v_add_co_u32_e32 v2, vcc, v2, v114
	s_waitcnt vmcnt(0)
	v_addc_co_u32_e32 v3, vcc, v33, v115, vcc
	global_load_dwordx2 v[32:33], v[2:3], off
	s_nop 0
	buffer_load_dword v2, off, s[72:75], 0 offset:88 ; 4-byte Folded Reload
	buffer_load_dword v3, off, s[72:75], 0 offset:92 ; 4-byte Folded Reload
	;; [unrolled: 1-line block ×4, first 2 shown]
	s_waitcnt vmcnt(3)
	v_add_co_u32_e32 v2, vcc, v2, v114
	s_waitcnt vmcnt(0)
	v_addc_co_u32_e32 v3, vcc, v41, v115, vcc
	global_load_dwordx2 v[122:123], v[2:3], off
.LBB36_121:                             ;   in Loop: Header=BB36_88 Depth=1
	s_or_b64 exec, exec, s[0:1]
	v_add_co_u32_e32 v2, vcc, 0xffffff0f, v0
	v_addc_co_u32_e32 v3, vcc, -1, v105, vcc
	v_pk_mov_b32 v[106:107], 0, 0
	v_cmp_gt_i64_e32 vcc, s[12:13], v[2:3]
	v_pk_mov_b32 v[2:3], v[106:107], v[106:107] op_sel:[0,1]
	s_and_saveexec_b64 s[0:1], vcc
	s_cbranch_execz .LBB36_123
; %bb.122:                              ;   in Loop: Header=BB36_88 Depth=1
	buffer_load_dword v2, off, s[72:75], 0 offset:40 ; 4-byte Folded Reload
	buffer_load_dword v3, off, s[72:75], 0 offset:44 ; 4-byte Folded Reload
	s_waitcnt vmcnt(1)
	v_add_co_u32_e32 v34, vcc, v2, v114
	buffer_load_dword v2, off, s[72:75], 0 offset:48 ; 4-byte Folded Reload
	buffer_load_dword v3, off, s[72:75], 0 offset:52 ; 4-byte Folded Reload
	s_waitcnt vmcnt(0)
	v_addc_co_u32_e32 v35, vcc, v3, v115, vcc
	global_load_dwordx2 v[34:35], v[34:35], off
	s_nop 0
	buffer_load_dword v2, off, s[72:75], 0 offset:56 ; 4-byte Folded Reload
	buffer_load_dword v3, off, s[72:75], 0 offset:60 ; 4-byte Folded Reload
	s_waitcnt vmcnt(1)
	v_add_co_u32_e32 v40, vcc, v2, v114
	buffer_load_dword v2, off, s[72:75], 0 offset:64 ; 4-byte Folded Reload
	buffer_load_dword v3, off, s[72:75], 0 offset:68 ; 4-byte Folded Reload
	s_waitcnt vmcnt(0)
	v_addc_co_u32_e32 v41, vcc, v3, v115, vcc
	global_load_dwordx2 v[2:3], v[40:41], off
.LBB36_123:                             ;   in Loop: Header=BB36_88 Depth=1
	s_or_b64 exec, exec, s[0:1]
	v_add_co_u32_e32 v40, vcc, 0xffffff10, v0
	v_addc_co_u32_e32 v41, vcc, -1, v105, vcc
	v_cmp_gt_i64_e32 vcc, s[12:13], v[40:41]
	s_waitcnt vmcnt(0)
	buffer_store_dword v2, off, s[72:75], 0 offset:568 ; 4-byte Folded Spill
	s_nop 0
	buffer_store_dword v3, off, s[72:75], 0 offset:572 ; 4-byte Folded Spill
	s_and_saveexec_b64 s[0:1], vcc
	s_cbranch_execz .LBB36_125
; %bb.124:                              ;   in Loop: Header=BB36_88 Depth=1
	buffer_load_dword v2, off, s[72:75], 0 offset:8 ; 4-byte Folded Reload
	buffer_load_dword v3, off, s[72:75], 0 offset:12 ; 4-byte Folded Reload
	;; [unrolled: 1-line block ×4, first 2 shown]
	s_waitcnt vmcnt(3)
	v_add_co_u32_e32 v2, vcc, v2, v114
	s_waitcnt vmcnt(0)
	v_addc_co_u32_e32 v3, vcc, v37, v115, vcc
	global_load_dwordx2 v[36:37], v[2:3], off
	s_nop 0
	buffer_load_dword v2, off, s[72:75], 0 offset:24 ; 4-byte Folded Reload
	buffer_load_dword v3, off, s[72:75], 0 offset:28 ; 4-byte Folded Reload
	;; [unrolled: 1-line block ×4, first 2 shown]
	s_waitcnt vmcnt(3)
	v_add_co_u32_e32 v2, vcc, v2, v114
	s_waitcnt vmcnt(0)
	v_addc_co_u32_e32 v3, vcc, v41, v115, vcc
	global_load_dwordx2 v[106:107], v[2:3], off
.LBB36_125:                             ;   in Loop: Header=BB36_88 Depth=1
	s_or_b64 exec, exec, s[0:1]
	s_waitcnt vmcnt(0)
	buffer_store_dword v106, off, s[72:75], 0 offset:576 ; 4-byte Folded Spill
	s_nop 0
	buffer_store_dword v107, off, s[72:75], 0 offset:580 ; 4-byte Folded Spill
	buffer_load_dword v2, off, s[72:75], 0 offset:528 ; 4-byte Folded Reload
	buffer_load_dword v3, off, s[72:75], 0 offset:532 ; 4-byte Folded Reload
	ds_bpermute_b32 v106, v102, v116
	ds_bpermute_b32 v107, v102, v117
	;; [unrolled: 1-line block ×4, first 2 shown]
	s_waitcnt vmcnt(0) lgkmcnt(2)
	v_add_f64 v[106:107], v[2:3], -v[106:107]
	buffer_load_dword v2, off, s[72:75], 0 offset:488 ; 4-byte Folded Reload
	buffer_load_dword v3, off, s[72:75], 0 offset:492 ; 4-byte Folded Reload
	v_mul_f64 v[106:107], v[6:7], v[106:107]
	s_waitcnt lgkmcnt(0)
	v_fma_f64 v[40:41], v[106:107], v[40:41], v[108:109]
	ds_bpermute_b32 v106, v102, v118 offset:4
	ds_bpermute_b32 v107, v102, v119 offset:4
	s_waitcnt vmcnt(0)
	v_add_f64 v[6:7], v[2:3], v[6:7]
	ds_bpermute_b32 v2, v102, v116 offset:4
	ds_bpermute_b32 v3, v102, v117 offset:4
	s_waitcnt lgkmcnt(0)
	v_add_f64 v[2:3], v[120:121], -v[2:3]
	v_mul_f64 v[2:3], v[8:9], v[2:3]
	v_fmac_f64_e32 v[40:41], v[2:3], v[106:107]
	buffer_load_dword v106, off, s[72:75], 0 offset:544 ; 4-byte Folded Reload
	buffer_load_dword v107, off, s[72:75], 0 offset:548 ; 4-byte Folded Reload
	v_add_f64 v[2:3], v[8:9], v[6:7]
	ds_bpermute_b32 v8, v102, v116 offset:8
	ds_bpermute_b32 v9, v102, v117 offset:8
	v_add_f64 v[2:3], v[10:11], v[2:3]
	ds_bpermute_b32 v6, v102, v118 offset:8
	ds_bpermute_b32 v7, v102, v119 offset:8
	v_add_f64 v[2:3], v[12:13], v[2:3]
	v_add_f64 v[2:3], v[14:15], v[2:3]
	;; [unrolled: 1-line block ×11, first 2 shown]
	s_waitcnt vmcnt(0) lgkmcnt(2)
	v_add_f64 v[8:9], v[106:107], -v[8:9]
	v_mul_f64 v[8:9], v[10:11], v[8:9]
	buffer_load_dword v10, off, s[72:75], 0 offset:536 ; 4-byte Folded Reload
	buffer_load_dword v11, off, s[72:75], 0 offset:540 ; 4-byte Folded Reload
	s_waitcnt lgkmcnt(0)
	v_fmac_f64_e32 v[40:41], v[8:9], v[6:7]
	ds_bpermute_b32 v8, v102, v116 offset:12
	ds_bpermute_b32 v9, v102, v117 offset:12
	ds_bpermute_b32 v6, v102, v118 offset:12
	ds_bpermute_b32 v7, v102, v119 offset:12
	s_waitcnt lgkmcnt(2)
	v_add_f64 v[8:9], v[126:127], -v[8:9]
	v_mul_f64 v[8:9], v[12:13], v[8:9]
	s_waitcnt lgkmcnt(0)
	v_fmac_f64_e32 v[40:41], v[8:9], v[6:7]
	ds_bpermute_b32 v8, v102, v116 offset:16
	ds_bpermute_b32 v9, v102, v117 offset:16
	ds_bpermute_b32 v6, v102, v118 offset:16
	ds_bpermute_b32 v7, v102, v119 offset:16
	s_waitcnt vmcnt(0) lgkmcnt(2)
	v_add_f64 v[8:9], v[10:11], -v[8:9]
	buffer_load_dword v10, off, s[72:75], 0 offset:520 ; 4-byte Folded Reload
	buffer_load_dword v11, off, s[72:75], 0 offset:524 ; 4-byte Folded Reload
	v_mul_f64 v[8:9], v[14:15], v[8:9]
	s_waitcnt lgkmcnt(0)
	v_fmac_f64_e32 v[40:41], v[8:9], v[6:7]
	ds_bpermute_b32 v8, v102, v116 offset:20
	ds_bpermute_b32 v9, v102, v117 offset:20
	ds_bpermute_b32 v6, v102, v118 offset:20
	ds_bpermute_b32 v7, v102, v119 offset:20
	s_waitcnt lgkmcnt(2)
	v_add_f64 v[8:9], v[110:111], -v[8:9]
	v_mul_f64 v[8:9], v[16:17], v[8:9]
	s_waitcnt lgkmcnt(0)
	v_fmac_f64_e32 v[40:41], v[8:9], v[6:7]
	ds_bpermute_b32 v8, v102, v116 offset:24
	ds_bpermute_b32 v9, v102, v117 offset:24
	ds_bpermute_b32 v6, v102, v118 offset:24
	ds_bpermute_b32 v7, v102, v119 offset:24
	s_waitcnt vmcnt(0) lgkmcnt(2)
	v_add_f64 v[8:9], v[10:11], -v[8:9]
	buffer_load_dword v10, off, s[72:75], 0 offset:512 ; 4-byte Folded Reload
	buffer_load_dword v11, off, s[72:75], 0 offset:516 ; 4-byte Folded Reload
	v_mul_f64 v[8:9], v[18:19], v[8:9]
	;; [unrolled: 20-line block ×6, first 2 shown]
	s_waitcnt lgkmcnt(0)
	v_fmac_f64_e32 v[40:41], v[8:9], v[6:7]
	ds_bpermute_b32 v8, v102, v116 offset:60
	ds_bpermute_b32 v9, v102, v117 offset:60
	v_add_f64 v[6:7], v[34:35], v[2:3]
	ds_bpermute_b32 v2, v102, v118 offset:60
	ds_bpermute_b32 v3, v102, v119 offset:60
	s_waitcnt vmcnt(0) lgkmcnt(2)
	v_add_f64 v[8:9], v[10:11], -v[8:9]
	v_mul_f64 v[8:9], v[36:37], v[8:9]
	s_waitcnt lgkmcnt(0)
	v_mul_f64 v[2:3], v[8:9], v[2:3]
	s_branch .LBB36_87
.LBB36_126:                             ;   in Loop: Header=BB36_88 Depth=1
                                        ; implicit-def: $vgpr36_vgpr37
                                        ; implicit-def: $vgpr2_vgpr3
                                        ; implicit-def: $vgpr6_vgpr7
                                        ; implicit-def: $vgpr40_vgpr41
	s_cbranch_execz .LBB36_87
; %bb.127:                              ;   in Loop: Header=BB36_88 Depth=1
	s_load_dword s0, s[2:3], 0x0
	v_pk_mov_b32 v[2:3], 0, 0
	s_waitcnt lgkmcnt(0)
	s_cmp_lt_u32 s6, s0
	s_cselect_b32 s0, 12, 18
	s_add_u32 s0, s2, s0
	s_addc_u32 s1, s3, 0
	global_load_ushort v5, v4, s[0:1]
	buffer_load_dword v6, off, s[72:75], 0 offset:552 ; 4-byte Folded Reload
	buffer_load_dword v7, off, s[72:75], 0 offset:564 ; 4-byte Folded Reload
	s_waitcnt vmcnt(0)
	v_mad_u32_u24 v5, v6, v5, v7
	v_and_b32_e32 v5, 63, v5
	v_cmp_gt_u32_e32 vcc, 16, v5
	v_pk_mov_b32 v[6:7], v[2:3], v[2:3] op_sel:[0,1]
	s_and_saveexec_b64 s[0:1], vcc
	s_cbranch_execz .LBB36_86
; %bb.128:                              ;   in Loop: Header=BB36_88 Depth=1
	v_add_co_u32_e32 v0, vcc, v0, v5
	v_addc_co_u32_e32 v2, vcc, 0, v105, vcc
	v_add_co_u32_e32 v8, vcc, 0xffffff01, v0
	v_addc_co_u32_e32 v9, vcc, -1, v2, vcc
	v_pk_mov_b32 v[6:7], 0, 0
	v_cmp_gt_i64_e32 vcc, s[12:13], v[8:9]
	v_pk_mov_b32 v[2:3], v[6:7], v[6:7] op_sel:[0,1]
	s_and_saveexec_b64 s[18:19], vcc
	s_cbranch_execz .LBB36_85
; %bb.129:                              ;   in Loop: Header=BB36_88 Depth=1
	v_lshlrev_b64 v[2:3], 3, v[8:9]
	v_mov_b32_e32 v0, s23
	v_add_co_u32_e32 v8, vcc, s22, v2
	v_addc_co_u32_e32 v9, vcc, v0, v3, vcc
	v_mov_b32_e32 v0, s21
	v_add_co_u32_e32 v2, vcc, s20, v2
	v_addc_co_u32_e32 v3, vcc, v0, v3, vcc
	global_load_dwordx2 v[6:7], v[2:3], off
	s_nop 0
	global_load_dwordx2 v[2:3], v[8:9], off
	s_branch .LBB36_85
.LBB36_130:
	buffer_load_dword v36, off, s[72:75], 0 offset:584 ; 4-byte Folded Reload
	s_andn2_b64 vcc, exec, s[24:25]
	s_cbranch_vccz .LBB36_83
	s_branch .LBB36_132
.LBB36_131:
	buffer_load_dword v36, off, s[72:75], 0 offset:584 ; 4-byte Folded Reload
	buffer_load_dword v48, off, s[72:75], 0 offset:488 ; 4-byte Folded Reload
	;; [unrolled: 1-line block ×3, first 2 shown]
.LBB36_132:
	s_waitcnt vmcnt(0)
	v_bfe_u32 v6, v36, 10, 10
	v_and_b32_e32 v0, 0x3ff, v36
	s_movk_i32 s0, 0x41
	v_mad_u32_u24 v1, v6, s0, v0
	v_lshl_add_u32 v1, v1, 3, 0
	v_lshrrev_b32_e32 v7, 6, v0
	ds_write_b64 v1, v[108:109]
	ds_write_b64 v1, v[48:49] offset:8320
	v_add_u32_e32 v1, v7, v6
	s_mov_b32 s7, 0
	v_cmp_gt_u32_e32 vcc, 64, v1
	s_waitcnt lgkmcnt(0)
	s_barrier
	s_and_saveexec_b64 s[0:1], vcc
	s_cbranch_execz .LBB36_142
; %bb.133:
	v_and_b32_e32 v1, 63, v0
	v_cmp_gt_u32_e64 s[0:1], 16, v1
	v_mul_u32_u24_e32 v8, 0x41, v1
	v_mbcnt_lo_u32_b32 v1, -1, 0
	v_mbcnt_hi_u32_b32 v1, -1, v1
	v_and_b32_e32 v2, 64, v1
	v_add_u32_e32 v2, 64, v2
	v_cmp_eq_u32_e64 s[2:3], 0, v0
	v_xor_b32_e32 v0, 8, v1
	v_cmp_lt_i32_e32 vcc, v0, v2
	v_cndmask_b32_e32 v0, v1, v0, vcc
	v_lshlrev_b32_e32 v10, 2, v0
	v_xor_b32_e32 v0, 4, v1
	v_cmp_lt_i32_e32 vcc, v0, v2
	v_cndmask_b32_e32 v0, v1, v0, vcc
	v_lshlrev_b32_e32 v11, 2, v0
	v_xor_b32_e32 v0, 2, v1
	v_cmp_lt_i32_e32 vcc, v0, v2
	v_cndmask_b32_e32 v0, v1, v0, vcc
	v_lshlrev_b32_e32 v12, 2, v0
	v_xor_b32_e32 v0, 1, v1
	v_cmp_lt_i32_e32 vcc, v0, v2
	s_load_dwordx4 s[8:11], s[4:5], 0x30
	v_cndmask_b32_e32 v0, v1, v0, vcc
	s_lshl_b64 s[4:5], s[6:7], 6
	v_lshlrev_b32_e32 v13, 2, v0
	v_add_co_u32_e32 v0, vcc, v7, v6
	v_addc_co_u32_e64 v1, s[18:19], 0, 0, vcc
	v_mov_b32_e32 v3, s5
	v_add_co_u32_e32 v2, vcc, s4, v0
	v_addc_co_u32_e32 v3, vcc, v1, v3, vcc
	v_lshlrev_b64 v[4:5], 3, v[2:3]
	s_waitcnt lgkmcnt(0)
	v_mov_b32_e32 v3, s11
	v_add_co_u32_e32 v2, vcc, s10, v4
	s_cmp_lg_u64 s[8:9], 0
	v_addc_co_u32_e32 v3, vcc, v3, v5, vcc
	s_cselect_b64 s[12:13], -1, 0
	s_cmp_lg_u64 s[10:11], 0
	v_mov_b32_e32 v9, s9
	v_add_co_u32_e32 v4, vcc, s8, v4
	v_add3_u32 v6, v8, v6, v7
	s_mov_b64 s[6:7], 0
	s_cselect_b64 s[16:17], -1, 0
	v_addc_co_u32_e32 v5, vcc, v9, v5, vcc
	v_lshl_add_u32 v14, v6, 3, 0
	v_mov_b32_e32 v15, s5
                                        ; implicit-def: $vgpr6_vgpr7
                                        ; implicit-def: $vgpr8_vgpr9
	s_branch .LBB36_135
.LBB36_134:                             ;   in Loop: Header=BB36_135 Depth=1
	s_or_b64 exec, exec, s[8:9]
	v_add_co_u32_e32 v0, vcc, 16, v0
	v_addc_co_u32_e32 v1, vcc, 0, v1, vcc
	v_add_co_u32_e32 v2, vcc, 0x80, v2
	v_addc_co_u32_e32 v3, vcc, 0, v3, vcc
	v_add_co_u32_e32 v4, vcc, 0x80, v4
	v_add_u32_e32 v16, -16, v0
	v_addc_co_u32_e32 v5, vcc, 0, v5, vcc
	v_cmp_lt_u32_e32 vcc, 47, v16
	s_or_b64 s[6:7], vcc, s[6:7]
	v_add_u32_e32 v14, 0x80, v14
	s_andn2_b64 exec, exec, s[6:7]
	s_cbranch_execz .LBB36_142
.LBB36_135:                             ; =>This Inner Loop Header: Depth=1
	s_and_saveexec_b64 s[8:9], s[0:1]
	s_cbranch_execz .LBB36_137
; %bb.136:                              ;   in Loop: Header=BB36_135 Depth=1
	ds_read_b64 v[6:7], v14
	ds_read_b64 v[8:9], v14 offset:8320
.LBB36_137:                             ;   in Loop: Header=BB36_135 Depth=1
	s_or_b64 exec, exec, s[8:9]
	s_waitcnt lgkmcnt(1)
	ds_bpermute_b32 v16, v10, v6
	ds_bpermute_b32 v17, v10, v7
	s_waitcnt lgkmcnt(2)
	ds_bpermute_b32 v18, v10, v8
	ds_bpermute_b32 v19, v10, v9
	s_waitcnt lgkmcnt(2)
	v_add_f64 v[6:7], v[6:7], v[16:17]
	ds_bpermute_b32 v16, v11, v6
	ds_bpermute_b32 v17, v11, v7
	s_waitcnt lgkmcnt(2)
	v_add_f64 v[8:9], v[8:9], v[18:19]
	;; [unrolled: 4-line block ×7, first 2 shown]
	v_add_co_u32_e32 v16, vcc, s4, v0
	v_addc_co_u32_e32 v17, vcc, v15, v1, vcc
	v_cmp_gt_i64_e32 vcc, s[14:15], v[16:17]
	s_waitcnt lgkmcnt(0)
	v_add_f64 v[8:9], v[8:9], v[18:19]
	s_and_b64 s[10:11], s[2:3], vcc
	s_and_saveexec_b64 s[8:9], s[10:11]
	s_cbranch_execz .LBB36_134
; %bb.138:                              ;   in Loop: Header=BB36_135 Depth=1
	s_andn2_b64 vcc, exec, s[12:13]
	s_cbranch_vccnz .LBB36_140
; %bb.139:                              ;   in Loop: Header=BB36_135 Depth=1
	global_store_dwordx2 v[4:5], v[6:7], off
.LBB36_140:                             ;   in Loop: Header=BB36_135 Depth=1
	s_andn2_b64 vcc, exec, s[16:17]
	s_cbranch_vccnz .LBB36_134
; %bb.141:                              ;   in Loop: Header=BB36_135 Depth=1
	global_store_dwordx2 v[2:3], v[8:9], off
	s_branch .LBB36_134
.LBB36_142:
	s_endpgm
	.section	.rodata,"a",@progbits
	.p2align	6, 0x0
	.amdhsa_kernel _ZN2at6native12_GLOBAL__N_135GammaBetaBackwardCUDAKernelTemplateIddLj64ELj16ELj256ELb0ELb0ELb0EEEvllPKT_S5_PKT0_S8_PS3_S9_
		.amdhsa_group_segment_fixed_size 0
		.amdhsa_private_segment_fixed_size 592
		.amdhsa_kernarg_size 320
		.amdhsa_user_sgpr_count 6
		.amdhsa_user_sgpr_private_segment_buffer 1
		.amdhsa_user_sgpr_dispatch_ptr 0
		.amdhsa_user_sgpr_queue_ptr 0
		.amdhsa_user_sgpr_kernarg_segment_ptr 1
		.amdhsa_user_sgpr_dispatch_id 0
		.amdhsa_user_sgpr_flat_scratch_init 0
		.amdhsa_user_sgpr_kernarg_preload_length 0
		.amdhsa_user_sgpr_kernarg_preload_offset 0
		.amdhsa_user_sgpr_private_segment_size 0
		.amdhsa_uses_dynamic_stack 0
		.amdhsa_system_sgpr_private_segment_wavefront_offset 1
		.amdhsa_system_sgpr_workgroup_id_x 1
		.amdhsa_system_sgpr_workgroup_id_y 1
		.amdhsa_system_sgpr_workgroup_id_z 0
		.amdhsa_system_sgpr_workgroup_info 0
		.amdhsa_system_vgpr_workitem_id 1
		.amdhsa_next_free_vgpr 128
		.amdhsa_next_free_sgpr 76
		.amdhsa_accum_offset 128
		.amdhsa_reserve_vcc 1
		.amdhsa_reserve_flat_scratch 0
		.amdhsa_float_round_mode_32 0
		.amdhsa_float_round_mode_16_64 0
		.amdhsa_float_denorm_mode_32 3
		.amdhsa_float_denorm_mode_16_64 3
		.amdhsa_dx10_clamp 1
		.amdhsa_ieee_mode 1
		.amdhsa_fp16_overflow 0
		.amdhsa_tg_split 0
		.amdhsa_exception_fp_ieee_invalid_op 0
		.amdhsa_exception_fp_denorm_src 0
		.amdhsa_exception_fp_ieee_div_zero 0
		.amdhsa_exception_fp_ieee_overflow 0
		.amdhsa_exception_fp_ieee_underflow 0
		.amdhsa_exception_fp_ieee_inexact 0
		.amdhsa_exception_int_div_zero 0
	.end_amdhsa_kernel
	.section	.text._ZN2at6native12_GLOBAL__N_135GammaBetaBackwardCUDAKernelTemplateIddLj64ELj16ELj256ELb0ELb0ELb0EEEvllPKT_S5_PKT0_S8_PS3_S9_,"axG",@progbits,_ZN2at6native12_GLOBAL__N_135GammaBetaBackwardCUDAKernelTemplateIddLj64ELj16ELj256ELb0ELb0ELb0EEEvllPKT_S5_PKT0_S8_PS3_S9_,comdat
.Lfunc_end36:
	.size	_ZN2at6native12_GLOBAL__N_135GammaBetaBackwardCUDAKernelTemplateIddLj64ELj16ELj256ELb0ELb0ELb0EEEvllPKT_S5_PKT0_S8_PS3_S9_, .Lfunc_end36-_ZN2at6native12_GLOBAL__N_135GammaBetaBackwardCUDAKernelTemplateIddLj64ELj16ELj256ELb0ELb0ELb0EEEvllPKT_S5_PKT0_S8_PS3_S9_
                                        ; -- End function
	.section	.AMDGPU.csdata,"",@progbits
; Kernel info:
; codeLenInByte = 23240
; NumSgprs: 80
; NumVgprs: 128
; NumAgprs: 0
; TotalNumVgprs: 128
; ScratchSize: 592
; MemoryBound: 0
; FloatMode: 240
; IeeeMode: 1
; LDSByteSize: 0 bytes/workgroup (compile time only)
; SGPRBlocks: 9
; VGPRBlocks: 15
; NumSGPRsForWavesPerEU: 80
; NumVGPRsForWavesPerEU: 128
; AccumOffset: 128
; Occupancy: 4
; WaveLimiterHint : 0
; COMPUTE_PGM_RSRC2:SCRATCH_EN: 1
; COMPUTE_PGM_RSRC2:USER_SGPR: 6
; COMPUTE_PGM_RSRC2:TRAP_HANDLER: 0
; COMPUTE_PGM_RSRC2:TGID_X_EN: 1
; COMPUTE_PGM_RSRC2:TGID_Y_EN: 1
; COMPUTE_PGM_RSRC2:TGID_Z_EN: 0
; COMPUTE_PGM_RSRC2:TIDIG_COMP_CNT: 1
; COMPUTE_PGM_RSRC3_GFX90A:ACCUM_OFFSET: 31
; COMPUTE_PGM_RSRC3_GFX90A:TG_SPLIT: 0
	.section	.text._ZN2at6native12_GLOBAL__N_135GammaBetaBackwardCUDAKernelTemplateIddLj32ELj1ELj32ELb1ELb1ELb0EEEvllPKT_S5_PKT0_S8_PS3_S9_,"axG",@progbits,_ZN2at6native12_GLOBAL__N_135GammaBetaBackwardCUDAKernelTemplateIddLj32ELj1ELj32ELb1ELb1ELb0EEEvllPKT_S5_PKT0_S8_PS3_S9_,comdat
	.globl	_ZN2at6native12_GLOBAL__N_135GammaBetaBackwardCUDAKernelTemplateIddLj32ELj1ELj32ELb1ELb1ELb0EEEvllPKT_S5_PKT0_S8_PS3_S9_ ; -- Begin function _ZN2at6native12_GLOBAL__N_135GammaBetaBackwardCUDAKernelTemplateIddLj32ELj1ELj32ELb1ELb1ELb0EEEvllPKT_S5_PKT0_S8_PS3_S9_
	.p2align	8
	.type	_ZN2at6native12_GLOBAL__N_135GammaBetaBackwardCUDAKernelTemplateIddLj32ELj1ELj32ELb1ELb1ELb0EEEvllPKT_S5_PKT0_S8_PS3_S9_,@function
_ZN2at6native12_GLOBAL__N_135GammaBetaBackwardCUDAKernelTemplateIddLj32ELj1ELj32ELb1ELb1ELb0EEEvllPKT_S5_PKT0_S8_PS3_S9_: ; @_ZN2at6native12_GLOBAL__N_135GammaBetaBackwardCUDAKernelTemplateIddLj32ELj1ELj32ELb1ELb1ELb0EEEvllPKT_S5_PKT0_S8_PS3_S9_
; %bb.0:
	s_load_dwordx4 s[16:19], s[4:5], 0x0
	s_lshl_b32 s24, s7, 5
	s_mov_b32 s25, 0
	s_mov_b32 s2, s7
	v_bfe_u32 v66, v0, 10, 10
	s_waitcnt lgkmcnt(0)
	v_pk_mov_b32 v[2:3], s[16:17], s[16:17] op_sel:[0,1]
	v_cmp_lt_i64_e32 vcc, s[24:25], v[2:3]
	s_cbranch_vccnz .LBB37_2
; %bb.1:
	s_add_u32 s26, s4, 64
	s_addc_u32 s27, s5, 0
	s_mov_b64 s[0:1], 0
	s_mov_b64 s[8:9], 0
	v_bfe_u32 v2, v0, 10, 10
	s_branch .LBB37_3
.LBB37_2:
	s_mov_b64 s[0:1], -1
                                        ; implicit-def: $sgpr8_sgpr9
                                        ; implicit-def: $sgpr26_sgpr27
                                        ; implicit-def: $vgpr2
.LBB37_3:
	s_load_dwordx4 s[20:23], s[4:5], 0x30
	v_and_b32_e32 v67, 0x3ff, v0
	s_andn2_b64 vcc, exec, s[0:1]
	v_pk_mov_b32 v[8:9], s[8:9], s[8:9] op_sel:[0,1]
	v_pk_mov_b32 v[0:1], s[8:9], s[8:9] op_sel:[0,1]
	s_cbranch_vccnz .LBB37_11
; %bb.4:
	s_load_dword s0, s[4:5], 0x4c
	s_load_dword s3, s[4:5], 0x44
	s_load_dwordx8 s[8:15], s[4:5], 0x10
	v_mbcnt_lo_u32_b32 v4, -1, 0
	s_add_u32 s26, s4, 64
	v_mbcnt_hi_u32_b32 v4, -1, v4
	s_addc_u32 s27, s5, 0
	s_waitcnt lgkmcnt(0)
	s_and_b32 s0, s0, 0xffff
	v_lshlrev_b32_e32 v3, 5, v66
	v_lshlrev_b32_e32 v4, 2, v4
	v_mad_u32_u24 v0, v66, s0, v67
	v_and_b32_e32 v68, 0x100, v4
	v_mov_b32_e32 v4, s25
	v_add_co_u32_e32 v6, vcc, s24, v3
	v_and_b32_e32 v2, 63, v0
	v_addc_co_u32_e32 v7, vcc, 0, v4, vcc
	v_cmp_gt_u32_e64 s[0:1], 32, v2
	v_add_co_u32_e32 v2, vcc, v6, v2
	v_addc_co_u32_e32 v3, vcc, 0, v7, vcc
	v_mul_lo_u32 v8, s19, v6
	v_mul_lo_u32 v9, s18, v7
	v_mad_u64_u32 v[6:7], s[30:31], s18, v6, 0
	v_mov_b32_e32 v1, 0
	v_lshl_add_u32 v0, s6, 5, v67
	s_lshl_b32 s4, s3, 5
	v_add3_u32 v7, v7, v9, v8
	v_lshlrev_b64 v[6:7], 3, v[6:7]
	v_lshlrev_b64 v[0:1], 3, v[0:1]
	s_mul_i32 s3, s19, s4
	s_mul_hi_u32 s7, s18, s4
	s_mov_b32 s5, 0
	v_add_co_u32_e32 v6, vcc, v6, v0
	s_add_i32 s31, s7, s3
	s_mul_i32 s30, s18, s4
	v_pk_mov_b32 v[10:11], 0, 0
	v_or_b32_e32 v69, 4, v68
	v_or_b32_e32 v70, 8, v68
	;; [unrolled: 1-line block ×31, first 2 shown]
	v_lshlrev_b64 v[4:5], 3, v[2:3]
	s_lshl_b64 s[28:29], s[4:5], 3
	v_addc_co_u32_e32 v7, vcc, v7, v1, vcc
	s_lshl_b64 s[30:31], s[30:31], 3
	s_lshl_b64 s[34:35], s[18:19], 3
	v_pk_mov_b32 v[0:1], v[10:11], v[10:11] op_sel:[0,1]
	v_pk_mov_b32 v[8:9], v[10:11], v[10:11] op_sel:[0,1]
	s_branch .LBB37_7
.LBB37_5:                               ;   in Loop: Header=BB37_7 Depth=1
	s_or_b64 exec, exec, s[38:39]
.LBB37_6:                               ;   in Loop: Header=BB37_7 Depth=1
	s_or_b64 exec, exec, s[36:37]
	v_mov_b32_e32 v16, s11
	v_add_co_u32_e32 v20, vcc, s10, v6
	v_addc_co_u32_e32 v21, vcc, v16, v7, vcc
	v_mov_b32_e32 v16, s9
	v_add_co_u32_e32 v18, vcc, s8, v6
	v_addc_co_u32_e32 v19, vcc, v16, v7, vcc
	global_load_dwordx2 v[30:31], v[20:21], off
	v_mov_b32_e32 v100, s35
	v_add_co_u32_e32 v20, vcc, s34, v20
	v_addc_co_u32_e32 v21, vcc, v21, v100, vcc
	v_add_co_u32_e32 v22, vcc, s34, v18
	v_addc_co_u32_e32 v23, vcc, v19, v100, vcc
	global_load_dwordx2 v[16:17], v[18:19], off
	global_load_dwordx2 v[32:33], v[20:21], off
	s_waitcnt vmcnt(4)
	ds_bpermute_b32 v44, v68, v14
	global_load_dwordx2 v[18:19], v[22:23], off
	v_add_co_u32_e32 v22, vcc, s34, v22
	v_addc_co_u32_e32 v23, vcc, v23, v100, vcc
	v_add_co_u32_e32 v24, vcc, s34, v20
	v_addc_co_u32_e32 v25, vcc, v21, v100, vcc
	v_add_co_u32_e32 v26, vcc, s34, v22
	global_load_dwordx2 v[34:35], v[24:25], off
	global_load_dwordx2 v[20:21], v[22:23], off
	v_addc_co_u32_e32 v27, vcc, v23, v100, vcc
	v_add_co_u32_e32 v24, vcc, s34, v24
	v_addc_co_u32_e32 v25, vcc, v25, v100, vcc
	v_add_co_u32_e32 v28, vcc, s34, v24
	v_addc_co_u32_e32 v29, vcc, v25, v100, vcc
	global_load_dwordx2 v[36:37], v[24:25], off
	global_load_dwordx2 v[22:23], v[26:27], off
	v_add_co_u32_e32 v26, vcc, s34, v26
	global_load_dwordx2 v[38:39], v[28:29], off
	v_addc_co_u32_e32 v27, vcc, v27, v100, vcc
	global_load_dwordx2 v[24:25], v[26:27], off
	v_add_co_u32_e32 v40, vcc, s34, v26
	v_addc_co_u32_e32 v41, vcc, v27, v100, vcc
	v_add_co_u32_e32 v28, vcc, s34, v28
	v_addc_co_u32_e32 v29, vcc, v29, v100, vcc
	global_load_dwordx2 v[42:43], v[28:29], off
	global_load_dwordx2 v[26:27], v[40:41], off
	ds_bpermute_b32 v45, v68, v15
	s_waitcnt vmcnt(12)
	ds_bpermute_b32 v46, v68, v12
	ds_bpermute_b32 v47, v68, v13
	;; [unrolled: 1-line block ×8, first 2 shown]
	v_add_co_u32_e32 v58, vcc, s34, v28
	v_addc_co_u32_e32 v59, vcc, v29, v100, vcc
	v_add_co_u32_e32 v40, vcc, s34, v40
	v_addc_co_u32_e32 v41, vcc, v41, v100, vcc
	global_load_dwordx2 v[52:53], v[58:59], off
	global_load_dwordx2 v[28:29], v[40:41], off
	ds_bpermute_b32 v56, v74, v12
	ds_bpermute_b32 v57, v74, v13
	;; [unrolled: 1-line block ×4, first 2 shown]
	s_add_u32 s24, s24, s4
	s_addc_u32 s25, s25, 0
	s_waitcnt vmcnt(13) lgkmcnt(12)
	v_add_f64 v[30:31], v[30:31], -v[44:45]
	ds_bpermute_b32 v44, v71, v12
	ds_bpermute_b32 v45, v71, v13
	s_waitcnt vmcnt(12)
	v_mul_f64 v[30:31], v[16:17], v[30:31]
	s_waitcnt lgkmcnt(12)
	v_fmac_f64_e32 v[0:1], v[30:31], v[46:47]
	s_waitcnt vmcnt(11) lgkmcnt(10)
	v_add_f64 v[30:31], v[32:33], -v[48:49]
	s_waitcnt vmcnt(10)
	v_mul_f64 v[30:31], v[18:19], v[30:31]
	ds_bpermute_b32 v32, v70, v12
	ds_bpermute_b32 v33, v70, v13
	s_waitcnt lgkmcnt(10)
	v_fmac_f64_e32 v[0:1], v[30:31], v[50:51]
	ds_bpermute_b32 v46, v72, v14
	ds_bpermute_b32 v47, v72, v15
	v_add_f64 v[8:9], v[8:9], v[16:17]
	v_add_f64 v[8:9], v[8:9], v[18:19]
	ds_bpermute_b32 v16, v98, v14
	ds_bpermute_b32 v17, v98, v15
	s_waitcnt vmcnt(9) lgkmcnt(12)
	v_add_f64 v[30:31], v[34:35], -v[54:55]
	ds_bpermute_b32 v34, v71, v14
	ds_bpermute_b32 v35, v71, v15
	s_waitcnt vmcnt(8)
	v_mul_f64 v[30:31], v[20:21], v[30:31]
	s_waitcnt lgkmcnt(6)
	v_fmac_f64_e32 v[0:1], v[30:31], v[32:33]
	ds_bpermute_b32 v32, v72, v12
	ds_bpermute_b32 v33, v72, v13
	;; [unrolled: 1-line block ×4, first 2 shown]
	v_add_f64 v[8:9], v[8:9], v[20:21]
	ds_bpermute_b32 v18, v98, v12
	s_waitcnt vmcnt(7) lgkmcnt(5)
	v_add_f64 v[30:31], v[36:37], -v[34:35]
	s_waitcnt vmcnt(6)
	v_mul_f64 v[30:31], v[22:23], v[30:31]
	ds_bpermute_b32 v34, v73, v14
	ds_bpermute_b32 v35, v73, v15
	v_fmac_f64_e32 v[0:1], v[30:31], v[44:45]
	s_waitcnt vmcnt(5)
	v_add_f64 v[30:31], v[38:39], -v[46:47]
	ds_bpermute_b32 v36, v73, v12
	s_waitcnt vmcnt(4)
	v_mul_f64 v[30:31], v[24:25], v[30:31]
	ds_bpermute_b32 v37, v73, v13
	s_waitcnt lgkmcnt(7)
	v_fmac_f64_e32 v[0:1], v[30:31], v[32:33]
	v_add_co_u32_e32 v32, vcc, s34, v58
	v_addc_co_u32_e32 v33, vcc, v59, v100, vcc
	global_load_dwordx2 v[58:59], v[32:33], off
	s_waitcnt vmcnt(4) lgkmcnt(2)
	v_add_f64 v[30:31], v[42:43], -v[34:35]
	v_add_co_u32_e32 v34, vcc, s34, v40
	s_waitcnt vmcnt(3)
	v_mul_f64 v[30:31], v[26:27], v[30:31]
	v_addc_co_u32_e32 v35, vcc, v41, v100, vcc
	s_waitcnt lgkmcnt(0)
	v_fmac_f64_e32 v[0:1], v[30:31], v[36:37]
	global_load_dwordx2 v[30:31], v[34:35], off
	v_add_co_u32_e32 v34, vcc, s34, v34
	v_addc_co_u32_e32 v35, vcc, v35, v100, vcc
	v_add_co_u32_e32 v36, vcc, s34, v32
	v_addc_co_u32_e32 v37, vcc, v33, v100, vcc
	;; [unrolled: 2-line block ×3, first 2 shown]
	global_load_dwordx2 v[60:61], v[36:37], off
	global_load_dwordx2 v[32:33], v[34:35], off
	v_add_co_u32_e32 v36, vcc, s34, v36
	v_addc_co_u32_e32 v37, vcc, v37, v100, vcc
	v_add_co_u32_e32 v40, vcc, s34, v36
	v_addc_co_u32_e32 v41, vcc, v37, v100, vcc
	global_load_dwordx2 v[62:63], v[36:37], off
	global_load_dwordx2 v[34:35], v[38:39], off
	v_add_co_u32_e32 v38, vcc, s34, v38
	v_addc_co_u32_e32 v39, vcc, v39, v100, vcc
	global_load_dwordx2 v[64:65], v[40:41], off
	v_add_co_u32_e32 v40, vcc, s34, v40
	v_addc_co_u32_e32 v41, vcc, v41, v100, vcc
	v_add_co_u32_e32 v42, vcc, s34, v38
	v_addc_co_u32_e32 v43, vcc, v39, v100, vcc
	;; [unrolled: 2-line block ×3, first 2 shown]
	global_load_dwordx2 v[36:37], v[38:39], off
	global_load_dwordx2 v[104:105], v[44:45], off
	;; [unrolled: 1-line block ×3, first 2 shown]
	s_waitcnt vmcnt(11)
	v_add_f64 v[52:53], v[52:53], -v[54:55]
	global_load_dwordx2 v[38:39], v[42:43], off
	v_add_co_u32_e32 v42, vcc, s34, v42
	v_addc_co_u32_e32 v43, vcc, v43, v100, vcc
	v_add_co_u32_e32 v44, vcc, s34, v44
	v_addc_co_u32_e32 v45, vcc, v45, v100, vcc
	;; [unrolled: 2-line block ×4, first 2 shown]
	global_load_dwordx2 v[40:41], v[42:43], off
	global_load_dwordx2 v[106:107], v[44:45], off
	;; [unrolled: 1-line block ×3, first 2 shown]
	ds_bpermute_b32 v54, v75, v14
	global_load_dwordx2 v[42:43], v[46:47], off
	v_add_co_u32_e32 v46, vcc, s34, v46
	v_addc_co_u32_e32 v47, vcc, v47, v100, vcc
	v_add_co_u32_e32 v50, vcc, s34, v46
	v_addc_co_u32_e32 v51, vcc, v47, v100, vcc
	v_add_co_u32_e32 v48, vcc, s34, v48
	global_load_dwordx2 v[44:45], v[46:47], off
	v_addc_co_u32_e32 v49, vcc, v49, v100, vcc
	global_load_dwordx2 v[110:111], v[48:49], off
	global_load_dwordx2 v[46:47], v[50:51], off
	v_add_co_u32_e32 v50, vcc, s34, v50
	v_addc_co_u32_e32 v51, vcc, v51, v100, vcc
	v_add_co_u32_e32 v112, vcc, s34, v48
	v_addc_co_u32_e32 v113, vcc, v49, v100, vcc
	global_load_dwordx2 v[114:115], v[112:113], off
	global_load_dwordx2 v[48:49], v[50:51], off
	v_add_co_u32_e32 v116, vcc, s34, v50
	v_addc_co_u32_e32 v117, vcc, v51, v100, vcc
	v_add_co_u32_e32 v112, vcc, s34, v112
	v_addc_co_u32_e32 v113, vcc, v113, v100, vcc
	global_load_dwordx2 v[118:119], v[112:113], off
	global_load_dwordx2 v[50:51], v[116:117], off
	ds_bpermute_b32 v55, v75, v15
	s_waitcnt vmcnt(22)
	v_mul_f64 v[52:53], v[28:29], v[52:53]
	v_fmac_f64_e32 v[0:1], v[52:53], v[56:57]
	ds_bpermute_b32 v52, v75, v12
	ds_bpermute_b32 v53, v75, v13
	;; [unrolled: 1-line block ×4, first 2 shown]
	s_waitcnt vmcnt(21) lgkmcnt(4)
	v_add_f64 v[54:55], v[58:59], -v[54:55]
	s_waitcnt vmcnt(20)
	v_mul_f64 v[54:55], v[30:31], v[54:55]
	s_waitcnt lgkmcnt(2)
	v_fmac_f64_e32 v[0:1], v[54:55], v[52:53]
	ds_bpermute_b32 v52, v76, v12
	ds_bpermute_b32 v53, v76, v13
	s_waitcnt vmcnt(19) lgkmcnt(2)
	v_add_f64 v[54:55], v[60:61], -v[56:57]
	ds_bpermute_b32 v56, v77, v14
	ds_bpermute_b32 v57, v77, v15
	;; [unrolled: 1-line block ×6, first 2 shown]
	s_waitcnt vmcnt(18)
	v_mul_f64 v[54:55], v[32:33], v[54:55]
	s_waitcnt lgkmcnt(6)
	v_fmac_f64_e32 v[0:1], v[54:55], v[52:53]
	ds_bpermute_b32 v54, v78, v12
	ds_bpermute_b32 v55, v78, v13
	s_waitcnt vmcnt(17) lgkmcnt(6)
	v_add_f64 v[52:53], v[62:63], -v[56:57]
	ds_bpermute_b32 v56, v79, v14
	ds_bpermute_b32 v57, v79, v15
	s_waitcnt vmcnt(16)
	v_mul_f64 v[52:53], v[34:35], v[52:53]
	s_waitcnt lgkmcnt(6)
	v_fmac_f64_e32 v[0:1], v[52:53], v[58:59]
	s_waitcnt vmcnt(15) lgkmcnt(4)
	v_add_f64 v[52:53], v[64:65], -v[60:61]
	ds_bpermute_b32 v58, v79, v12
	ds_bpermute_b32 v59, v79, v13
	;; [unrolled: 1-line block ×4, first 2 shown]
	s_waitcnt vmcnt(14)
	v_mul_f64 v[52:53], v[36:37], v[52:53]
	s_waitcnt lgkmcnt(6)
	v_fmac_f64_e32 v[0:1], v[52:53], v[54:55]
	ds_bpermute_b32 v54, v80, v12
	ds_bpermute_b32 v55, v80, v13
	s_waitcnt vmcnt(12) lgkmcnt(6)
	v_add_f64 v[52:53], v[102:103], -v[56:57]
	ds_bpermute_b32 v56, v81, v14
	ds_bpermute_b32 v57, v81, v15
	s_waitcnt vmcnt(11)
	v_mul_f64 v[52:53], v[38:39], v[52:53]
	s_waitcnt lgkmcnt(6)
	v_fmac_f64_e32 v[0:1], v[52:53], v[58:59]
	s_waitcnt lgkmcnt(4)
	v_add_f64 v[52:53], v[104:105], -v[60:61]
	ds_bpermute_b32 v58, v81, v12
	ds_bpermute_b32 v59, v81, v13
	;; [unrolled: 1-line block ×4, first 2 shown]
	s_waitcnt vmcnt(10)
	v_mul_f64 v[52:53], v[40:41], v[52:53]
	s_waitcnt lgkmcnt(6)
	v_fmac_f64_e32 v[0:1], v[52:53], v[54:55]
	ds_bpermute_b32 v54, v82, v12
	ds_bpermute_b32 v55, v82, v13
	s_waitcnt vmcnt(9) lgkmcnt(6)
	v_add_f64 v[52:53], v[106:107], -v[56:57]
	ds_bpermute_b32 v56, v83, v14
	ds_bpermute_b32 v57, v83, v15
	s_waitcnt vmcnt(7)
	v_mul_f64 v[52:53], v[42:43], v[52:53]
	s_waitcnt lgkmcnt(6)
	v_fmac_f64_e32 v[0:1], v[52:53], v[58:59]
	s_waitcnt lgkmcnt(4)
	v_add_f64 v[52:53], v[108:109], -v[60:61]
	ds_bpermute_b32 v58, v83, v12
	ds_bpermute_b32 v59, v83, v13
	;; [unrolled: 1-line block ×4, first 2 shown]
	s_waitcnt vmcnt(6)
	v_mul_f64 v[52:53], v[44:45], v[52:53]
	s_waitcnt lgkmcnt(6)
	v_fmac_f64_e32 v[0:1], v[52:53], v[54:55]
	ds_bpermute_b32 v54, v84, v12
	ds_bpermute_b32 v55, v84, v13
	s_waitcnt vmcnt(5) lgkmcnt(6)
	v_add_f64 v[52:53], v[110:111], -v[56:57]
	s_waitcnt vmcnt(4)
	v_mul_f64 v[52:53], v[46:47], v[52:53]
	ds_bpermute_b32 v56, v85, v14
	ds_bpermute_b32 v57, v85, v15
	s_waitcnt lgkmcnt(6)
	v_fmac_f64_e32 v[0:1], v[52:53], v[58:59]
	s_waitcnt vmcnt(3) lgkmcnt(4)
	v_add_f64 v[52:53], v[114:115], -v[60:61]
	ds_bpermute_b32 v58, v85, v12
	ds_bpermute_b32 v59, v85, v13
	s_waitcnt vmcnt(2)
	v_mul_f64 v[52:53], v[48:49], v[52:53]
	s_waitcnt lgkmcnt(4)
	v_fmac_f64_e32 v[0:1], v[52:53], v[54:55]
	v_add_co_u32_e32 v54, vcc, s34, v116
	v_addc_co_u32_e32 v55, vcc, v117, v100, vcc
	s_waitcnt vmcnt(1) lgkmcnt(2)
	v_add_f64 v[52:53], v[118:119], -v[56:57]
	v_add_co_u32_e32 v56, vcc, s34, v112
	s_waitcnt vmcnt(0)
	v_mul_f64 v[52:53], v[50:51], v[52:53]
	v_addc_co_u32_e32 v57, vcc, v113, v100, vcc
	s_waitcnt lgkmcnt(0)
	v_fmac_f64_e32 v[0:1], v[52:53], v[58:59]
	global_load_dwordx2 v[102:103], v[56:57], off
	global_load_dwordx2 v[52:53], v[54:55], off
	v_add_co_u32_e32 v58, vcc, s34, v54
	v_addc_co_u32_e32 v59, vcc, v55, v100, vcc
	v_add_co_u32_e32 v56, vcc, s34, v56
	v_addc_co_u32_e32 v57, vcc, v57, v100, vcc
	global_load_dwordx2 v[104:105], v[56:57], off
	global_load_dwordx2 v[54:55], v[58:59], off
	v_add_co_u32_e32 v58, vcc, s34, v58
	v_addc_co_u32_e32 v59, vcc, v59, v100, vcc
	v_add_co_u32_e32 v60, vcc, s34, v56
	v_addc_co_u32_e32 v61, vcc, v57, v100, vcc
	global_load_dwordx2 v[106:107], v[60:61], off
	global_load_dwordx2 v[56:57], v[58:59], off
	v_add_co_u32_e32 v60, vcc, s34, v60
	v_addc_co_u32_e32 v61, vcc, v61, v100, vcc
	global_load_dwordx2 v[108:109], v[60:61], off
	v_add_co_u32_e32 v62, vcc, s34, v58
	v_addc_co_u32_e32 v63, vcc, v59, v100, vcc
	;; [unrolled: 3-line block ×3, first 2 shown]
	v_add_co_u32_e32 v64, vcc, s34, v60
	v_addc_co_u32_e32 v65, vcc, v61, v100, vcc
	global_load_dwordx2 v[110:111], v[64:65], off
	global_load_dwordx2 v[60:61], v[62:63], off
	v_add_co_u32_e32 v112, vcc, s34, v62
	v_addc_co_u32_e32 v113, vcc, v63, v100, vcc
	v_add_co_u32_e32 v64, vcc, s34, v64
	v_addc_co_u32_e32 v65, vcc, v65, v100, vcc
	global_load_dwordx2 v[114:115], v[64:65], off
	global_load_dwordx2 v[62:63], v[112:113], off
	v_add_co_u32_e32 v112, vcc, s34, v112
	v_addc_co_u32_e32 v113, vcc, v113, v100, vcc
	;; [unrolled: 6-line block ×3, first 2 shown]
	v_add_co_u32_e32 v116, vcc, s34, v116
	v_addc_co_u32_e32 v117, vcc, v117, v100, vcc
	global_load_dwordx2 v[120:121], v[116:117], off
	global_load_dwordx2 v[122:123], v[112:113], off
	v_add_f64 v[8:9], v[8:9], v[22:23]
	v_add_f64 v[8:9], v[8:9], v[24:25]
	;; [unrolled: 1-line block ×14, first 2 shown]
	s_waitcnt vmcnt(15)
	v_add_f64 v[102:103], v[102:103], -v[124:125]
	ds_bpermute_b32 v124, v86, v12
	ds_bpermute_b32 v125, v86, v13
	s_waitcnt vmcnt(14)
	v_mul_f64 v[102:103], v[52:53], v[102:103]
	v_add_f64 v[8:9], v[8:9], v[50:51]
	v_add_f64 v[8:9], v[8:9], v[52:53]
	ds_bpermute_b32 v19, v98, v13
	s_waitcnt lgkmcnt(1)
	v_fmac_f64_e32 v[0:1], v[102:103], v[124:125]
	ds_bpermute_b32 v102, v87, v14
	ds_bpermute_b32 v103, v87, v15
	;; [unrolled: 1-line block ×4, first 2 shown]
	s_waitcnt vmcnt(12)
	v_add_f64 v[8:9], v[8:9], v[54:55]
	s_waitcnt lgkmcnt(2)
	v_add_f64 v[102:103], v[104:105], -v[102:103]
	v_mul_f64 v[102:103], v[54:55], v[102:103]
	s_waitcnt lgkmcnt(0)
	v_fmac_f64_e32 v[0:1], v[102:103], v[124:125]
	ds_bpermute_b32 v102, v88, v14
	ds_bpermute_b32 v103, v88, v15
	;; [unrolled: 1-line block ×6, first 2 shown]
	s_waitcnt vmcnt(11) lgkmcnt(4)
	v_add_f64 v[102:103], v[106:107], -v[102:103]
	v_add_co_u32_e32 v106, vcc, s34, v116
	s_waitcnt vmcnt(10)
	v_mul_f64 v[102:103], v[56:57], v[102:103]
	v_addc_co_u32_e32 v107, vcc, v117, v100, vcc
	s_waitcnt lgkmcnt(2)
	v_fmac_f64_e32 v[0:1], v[102:103], v[104:105]
	s_waitcnt vmcnt(9) lgkmcnt(0)
	v_add_f64 v[102:103], v[108:109], -v[124:125]
	global_load_dwordx2 v[108:109], v[106:107], off
	v_add_co_u32_e32 v112, vcc, s34, v112
	v_addc_co_u32_e32 v113, vcc, v113, v100, vcc
	global_load_dwordx2 v[116:117], v[112:113], off
	ds_bpermute_b32 v104, v89, v12
	ds_bpermute_b32 v105, v89, v13
	s_waitcnt vmcnt(10)
	v_mul_f64 v[102:103], v[58:59], v[102:103]
	ds_bpermute_b32 v124, v94, v14
	ds_bpermute_b32 v125, v94, v15
	v_add_f64 v[8:9], v[8:9], v[56:57]
	s_waitcnt lgkmcnt(2)
	v_fmac_f64_e32 v[0:1], v[102:103], v[104:105]
	ds_bpermute_b32 v102, v90, v14
	ds_bpermute_b32 v103, v90, v15
	;; [unrolled: 1-line block ×4, first 2 shown]
	v_add_f64 v[8:9], v[8:9], v[58:59]
	s_waitcnt vmcnt(8)
	v_add_f64 v[8:9], v[8:9], v[60:61]
	s_waitcnt lgkmcnt(2)
	v_add_f64 v[102:103], v[110:111], -v[102:103]
	v_mul_f64 v[102:103], v[60:61], v[102:103]
	s_waitcnt lgkmcnt(0)
	v_fmac_f64_e32 v[0:1], v[102:103], v[104:105]
	ds_bpermute_b32 v102, v91, v14
	ds_bpermute_b32 v103, v91, v15
	;; [unrolled: 1-line block ×6, first 2 shown]
	s_waitcnt vmcnt(7) lgkmcnt(4)
	v_add_f64 v[102:103], v[114:115], -v[102:103]
	s_waitcnt vmcnt(6)
	v_mul_f64 v[102:103], v[62:63], v[102:103]
	s_waitcnt lgkmcnt(2)
	v_fmac_f64_e32 v[0:1], v[102:103], v[104:105]
	ds_bpermute_b32 v104, v92, v12
	s_waitcnt vmcnt(5) lgkmcnt(1)
	v_add_f64 v[102:103], v[118:119], -v[110:111]
	ds_bpermute_b32 v105, v92, v13
	ds_bpermute_b32 v110, v93, v14
	;; [unrolled: 1-line block ×5, first 2 shown]
	s_waitcnt vmcnt(4)
	v_mul_f64 v[102:103], v[64:65], v[102:103]
	s_waitcnt lgkmcnt(4)
	v_fmac_f64_e32 v[0:1], v[102:103], v[104:105]
	s_waitcnt vmcnt(3) lgkmcnt(2)
	v_add_f64 v[102:103], v[120:121], -v[110:111]
	s_waitcnt vmcnt(2)
	v_mul_f64 v[102:103], v[122:123], v[102:103]
	s_waitcnt lgkmcnt(0)
	v_fmac_f64_e32 v[0:1], v[102:103], v[114:115]
	v_add_co_u32_e32 v102, vcc, s34, v106
	v_addc_co_u32_e32 v103, vcc, v107, v100, vcc
	global_load_dwordx2 v[104:105], v[102:103], off
	v_add_co_u32_e32 v106, vcc, s34, v112
	v_addc_co_u32_e32 v107, vcc, v113, v100, vcc
	global_load_dwordx2 v[110:111], v[106:107], off
	v_add_co_u32_e32 v106, vcc, s34, v106
	v_addc_co_u32_e32 v107, vcc, v107, v100, vcc
	v_add_co_u32_e32 v102, vcc, s34, v102
	v_addc_co_u32_e32 v103, vcc, v103, v100, vcc
	global_load_dwordx2 v[112:113], v[102:103], off
	global_load_dwordx2 v[114:115], v[106:107], off
	v_add_co_u32_e32 v106, vcc, s34, v106
	v_addc_co_u32_e32 v107, vcc, v107, v100, vcc
	v_add_co_u32_e32 v102, vcc, s34, v102
	v_addc_co_u32_e32 v103, vcc, v103, v100, vcc
	global_load_dwordx2 v[118:119], v[102:103], off
	global_load_dwordx2 v[120:121], v[106:107], off
	v_add_co_u32_e32 v106, vcc, s34, v106
	v_addc_co_u32_e32 v107, vcc, v107, v100, vcc
	v_add_co_u32_e32 v102, vcc, s34, v102
	v_addc_co_u32_e32 v103, vcc, v103, v100, vcc
	v_add_f64 v[8:9], v[8:9], v[62:63]
	s_waitcnt vmcnt(7)
	v_add_f64 v[108:109], v[108:109], -v[124:125]
	ds_bpermute_b32 v124, v94, v12
	ds_bpermute_b32 v125, v94, v13
	v_add_f64 v[8:9], v[8:9], v[64:65]
	v_add_f64 v[8:9], v[8:9], v[122:123]
	s_waitcnt vmcnt(6)
	v_mul_f64 v[108:109], v[116:117], v[108:109]
	v_add_f64 v[8:9], v[8:9], v[116:117]
	s_waitcnt lgkmcnt(0)
	v_fmac_f64_e32 v[0:1], v[108:109], v[124:125]
	v_add_co_u32_e32 v108, vcc, s34, v106
	v_addc_co_u32_e32 v109, vcc, v107, v100, vcc
	v_add_co_u32_e32 v124, vcc, s34, v102
	v_addc_co_u32_e32 v125, vcc, v103, v100, vcc
	global_load_dwordx2 v[100:101], v[102:103], off
	global_load_dwordx2 v[126:127], v[106:107], off
                                        ; kill: killed $vgpr102 killed $vgpr103
                                        ; kill: killed $vgpr106 killed $vgpr107
	s_nop 0
	global_load_dwordx2 v[102:103], v[124:125], off
	global_load_dwordx2 v[106:107], v[108:109], off
	ds_bpermute_b32 v108, v95, v14
	ds_bpermute_b32 v109, v95, v15
	v_add_co_u32_e32 v4, vcc, s28, v4
	s_waitcnt vmcnt(9) lgkmcnt(0)
	v_add_f64 v[104:105], v[104:105], -v[108:109]
	ds_bpermute_b32 v108, v95, v12
	ds_bpermute_b32 v109, v95, v13
	s_waitcnt vmcnt(8)
	v_mul_f64 v[104:105], v[110:111], v[104:105]
	v_add_f64 v[8:9], v[8:9], v[110:111]
	s_waitcnt lgkmcnt(0)
	v_fmac_f64_e32 v[0:1], v[104:105], v[108:109]
	ds_bpermute_b32 v104, v96, v14
	ds_bpermute_b32 v105, v96, v15
	;; [unrolled: 1-line block ×4, first 2 shown]
	s_waitcnt vmcnt(7) lgkmcnt(2)
	v_add_f64 v[104:105], v[112:113], -v[104:105]
	s_waitcnt vmcnt(6)
	v_mul_f64 v[104:105], v[114:115], v[104:105]
	s_waitcnt lgkmcnt(0)
	v_fmac_f64_e32 v[0:1], v[104:105], v[108:109]
	ds_bpermute_b32 v104, v97, v14
	ds_bpermute_b32 v105, v97, v15
	;; [unrolled: 1-line block ×8, first 2 shown]
	s_waitcnt vmcnt(5) lgkmcnt(6)
	v_add_f64 v[104:105], v[118:119], -v[104:105]
	s_waitcnt vmcnt(4)
	v_mul_f64 v[104:105], v[120:121], v[104:105]
	s_waitcnt lgkmcnt(4)
	v_fmac_f64_e32 v[0:1], v[104:105], v[108:109]
	v_add_f64 v[8:9], v[8:9], v[114:115]
	v_add_f64 v[8:9], v[8:9], v[120:121]
	s_waitcnt vmcnt(3)
	v_add_f64 v[16:17], v[100:101], -v[16:17]
	s_waitcnt vmcnt(2)
	v_mul_f64 v[16:17], v[126:127], v[16:17]
	v_fmac_f64_e32 v[0:1], v[16:17], v[18:19]
	v_add_f64 v[8:9], v[8:9], v[126:127]
	s_waitcnt vmcnt(1) lgkmcnt(2)
	v_add_f64 v[14:15], v[102:103], -v[14:15]
	s_waitcnt vmcnt(0)
	v_mul_f64 v[14:15], v[106:107], v[14:15]
	s_waitcnt lgkmcnt(0)
	v_fmac_f64_e32 v[0:1], v[14:15], v[12:13]
	v_mov_b32_e32 v12, s29
	v_addc_co_u32_e32 v5, vcc, v5, v12, vcc
	v_mov_b32_e32 v12, s5
	v_add_co_u32_e32 v2, vcc, s4, v2
	v_addc_co_u32_e32 v3, vcc, v3, v12, vcc
	v_mov_b32_e32 v12, s31
	v_add_co_u32_e32 v6, vcc, s30, v6
	v_addc_co_u32_e32 v7, vcc, v7, v12, vcc
	v_pk_mov_b32 v[12:13], s[16:17], s[16:17] op_sel:[0,1]
	v_cmp_lt_i64_e32 vcc, s[24:25], v[12:13]
	v_add_f64 v[8:9], v[8:9], v[106:107]
	s_cbranch_vccz .LBB37_10
.LBB37_7:                               ; =>This Inner Loop Header: Depth=1
	v_pk_mov_b32 v[12:13], v[10:11], v[10:11] op_sel:[0,1]
	v_pk_mov_b32 v[14:15], v[10:11], v[10:11] op_sel:[0,1]
	s_and_saveexec_b64 s[36:37], s[0:1]
	s_cbranch_execz .LBB37_6
; %bb.8:                                ;   in Loop: Header=BB37_7 Depth=1
	v_pk_mov_b32 v[14:15], 0, 0
	v_cmp_gt_i64_e32 vcc, s[16:17], v[2:3]
	v_pk_mov_b32 v[12:13], v[14:15], v[14:15] op_sel:[0,1]
	s_and_saveexec_b64 s[38:39], vcc
	s_cbranch_execz .LBB37_5
; %bb.9:                                ;   in Loop: Header=BB37_7 Depth=1
	v_mov_b32_e32 v12, s15
	v_add_co_u32_e32 v16, vcc, s14, v4
	v_addc_co_u32_e32 v17, vcc, v12, v5, vcc
	v_mov_b32_e32 v12, s13
	v_add_co_u32_e32 v18, vcc, s12, v4
	v_addc_co_u32_e32 v19, vcc, v12, v5, vcc
	global_load_dwordx2 v[14:15], v[18:19], off
	global_load_dwordx2 v[12:13], v[16:17], off
	s_branch .LBB37_5
.LBB37_10:
	v_mov_b32_e32 v2, v66
.LBB37_11:
	s_mov_b32 s7, 0
	s_lshl_b64 s[0:1], s[6:7], 5
	v_mov_b32_e32 v4, s1
	s_load_dword s1, s[26:27], 0xc
	v_add_co_u32_e32 v10, vcc, s0, v67
	v_mov_b32_e32 v3, 0
	v_addc_co_u32_e32 v11, vcc, 0, v4, vcc
	s_waitcnt lgkmcnt(0)
	s_lshr_b32 s0, s1, 16
	v_mov_b32_e32 v4, s2
	v_mad_u64_u32 v[4:5], s[0:1], s0, v4, v[2:3]
	s_cmp_eq_u64 s[20:21], 0
	v_mul_lo_u32 v5, v5, s18
	v_mul_lo_u32 v6, v4, s19
	v_lshlrev_b64 v[2:3], 3, v[10:11]
	s_cbranch_scc1 .LBB37_13
; %bb.12:
	v_mad_u64_u32 v[10:11], s[0:1], v4, s18, 0
	v_add3_u32 v11, v11, v6, v5
	v_lshlrev_b64 v[10:11], 3, v[10:11]
	v_mov_b32_e32 v7, s21
	v_add_co_u32_e32 v10, vcc, s20, v10
	v_addc_co_u32_e32 v7, vcc, v7, v11, vcc
	v_add_co_u32_e32 v10, vcc, v10, v2
	v_addc_co_u32_e32 v11, vcc, v7, v3, vcc
	global_store_dwordx2 v[10:11], v[0:1], off
.LBB37_13:
	s_cmp_eq_u64 s[22:23], 0
	s_cbranch_scc1 .LBB37_15
; %bb.14:
	v_mad_u64_u32 v[0:1], s[0:1], v4, s18, 0
	v_add3_u32 v1, v1, v6, v5
	v_lshlrev_b64 v[0:1], 3, v[0:1]
	v_mov_b32_e32 v4, s23
	v_add_co_u32_e32 v0, vcc, s22, v0
	v_addc_co_u32_e32 v1, vcc, v4, v1, vcc
	v_add_co_u32_e32 v0, vcc, v0, v2
	v_addc_co_u32_e32 v1, vcc, v1, v3, vcc
	global_store_dwordx2 v[0:1], v[8:9], off
.LBB37_15:
	s_endpgm
	.section	.rodata,"a",@progbits
	.p2align	6, 0x0
	.amdhsa_kernel _ZN2at6native12_GLOBAL__N_135GammaBetaBackwardCUDAKernelTemplateIddLj32ELj1ELj32ELb1ELb1ELb0EEEvllPKT_S5_PKT0_S8_PS3_S9_
		.amdhsa_group_segment_fixed_size 0
		.amdhsa_private_segment_fixed_size 0
		.amdhsa_kernarg_size 320
		.amdhsa_user_sgpr_count 6
		.amdhsa_user_sgpr_private_segment_buffer 1
		.amdhsa_user_sgpr_dispatch_ptr 0
		.amdhsa_user_sgpr_queue_ptr 0
		.amdhsa_user_sgpr_kernarg_segment_ptr 1
		.amdhsa_user_sgpr_dispatch_id 0
		.amdhsa_user_sgpr_flat_scratch_init 0
		.amdhsa_user_sgpr_kernarg_preload_length 0
		.amdhsa_user_sgpr_kernarg_preload_offset 0
		.amdhsa_user_sgpr_private_segment_size 0
		.amdhsa_uses_dynamic_stack 0
		.amdhsa_system_sgpr_private_segment_wavefront_offset 0
		.amdhsa_system_sgpr_workgroup_id_x 1
		.amdhsa_system_sgpr_workgroup_id_y 1
		.amdhsa_system_sgpr_workgroup_id_z 0
		.amdhsa_system_sgpr_workgroup_info 0
		.amdhsa_system_vgpr_workitem_id 1
		.amdhsa_next_free_vgpr 128
		.amdhsa_next_free_sgpr 40
		.amdhsa_accum_offset 128
		.amdhsa_reserve_vcc 1
		.amdhsa_reserve_flat_scratch 0
		.amdhsa_float_round_mode_32 0
		.amdhsa_float_round_mode_16_64 0
		.amdhsa_float_denorm_mode_32 3
		.amdhsa_float_denorm_mode_16_64 3
		.amdhsa_dx10_clamp 1
		.amdhsa_ieee_mode 1
		.amdhsa_fp16_overflow 0
		.amdhsa_tg_split 0
		.amdhsa_exception_fp_ieee_invalid_op 0
		.amdhsa_exception_fp_denorm_src 0
		.amdhsa_exception_fp_ieee_div_zero 0
		.amdhsa_exception_fp_ieee_overflow 0
		.amdhsa_exception_fp_ieee_underflow 0
		.amdhsa_exception_fp_ieee_inexact 0
		.amdhsa_exception_int_div_zero 0
	.end_amdhsa_kernel
	.section	.text._ZN2at6native12_GLOBAL__N_135GammaBetaBackwardCUDAKernelTemplateIddLj32ELj1ELj32ELb1ELb1ELb0EEEvllPKT_S5_PKT0_S8_PS3_S9_,"axG",@progbits,_ZN2at6native12_GLOBAL__N_135GammaBetaBackwardCUDAKernelTemplateIddLj32ELj1ELj32ELb1ELb1ELb0EEEvllPKT_S5_PKT0_S8_PS3_S9_,comdat
.Lfunc_end37:
	.size	_ZN2at6native12_GLOBAL__N_135GammaBetaBackwardCUDAKernelTemplateIddLj32ELj1ELj32ELb1ELb1ELb0EEEvllPKT_S5_PKT0_S8_PS3_S9_, .Lfunc_end37-_ZN2at6native12_GLOBAL__N_135GammaBetaBackwardCUDAKernelTemplateIddLj32ELj1ELj32ELb1ELb1ELb0EEEvllPKT_S5_PKT0_S8_PS3_S9_
                                        ; -- End function
	.section	.AMDGPU.csdata,"",@progbits
; Kernel info:
; codeLenInByte = 4268
; NumSgprs: 44
; NumVgprs: 128
; NumAgprs: 0
; TotalNumVgprs: 128
; ScratchSize: 0
; MemoryBound: 0
; FloatMode: 240
; IeeeMode: 1
; LDSByteSize: 0 bytes/workgroup (compile time only)
; SGPRBlocks: 5
; VGPRBlocks: 15
; NumSGPRsForWavesPerEU: 44
; NumVGPRsForWavesPerEU: 128
; AccumOffset: 128
; Occupancy: 4
; WaveLimiterHint : 0
; COMPUTE_PGM_RSRC2:SCRATCH_EN: 0
; COMPUTE_PGM_RSRC2:USER_SGPR: 6
; COMPUTE_PGM_RSRC2:TRAP_HANDLER: 0
; COMPUTE_PGM_RSRC2:TGID_X_EN: 1
; COMPUTE_PGM_RSRC2:TGID_Y_EN: 1
; COMPUTE_PGM_RSRC2:TGID_Z_EN: 0
; COMPUTE_PGM_RSRC2:TIDIG_COMP_CNT: 1
; COMPUTE_PGM_RSRC3_GFX90A:ACCUM_OFFSET: 31
; COMPUTE_PGM_RSRC3_GFX90A:TG_SPLIT: 0
	.section	.text._ZN2at6native12_GLOBAL__N_135GammaBetaBackwardCUDAKernelTemplateIddLj32ELj1ELj32ELb1ELb0ELb0EEEvllPKT_S5_PKT0_S8_PS3_S9_,"axG",@progbits,_ZN2at6native12_GLOBAL__N_135GammaBetaBackwardCUDAKernelTemplateIddLj32ELj1ELj32ELb1ELb0ELb0EEEvllPKT_S5_PKT0_S8_PS3_S9_,comdat
	.globl	_ZN2at6native12_GLOBAL__N_135GammaBetaBackwardCUDAKernelTemplateIddLj32ELj1ELj32ELb1ELb0ELb0EEEvllPKT_S5_PKT0_S8_PS3_S9_ ; -- Begin function _ZN2at6native12_GLOBAL__N_135GammaBetaBackwardCUDAKernelTemplateIddLj32ELj1ELj32ELb1ELb0ELb0EEEvllPKT_S5_PKT0_S8_PS3_S9_
	.p2align	8
	.type	_ZN2at6native12_GLOBAL__N_135GammaBetaBackwardCUDAKernelTemplateIddLj32ELj1ELj32ELb1ELb0ELb0EEEvllPKT_S5_PKT0_S8_PS3_S9_,@function
_ZN2at6native12_GLOBAL__N_135GammaBetaBackwardCUDAKernelTemplateIddLj32ELj1ELj32ELb1ELb0ELb0EEEvllPKT_S5_PKT0_S8_PS3_S9_: ; @_ZN2at6native12_GLOBAL__N_135GammaBetaBackwardCUDAKernelTemplateIddLj32ELj1ELj32ELb1ELb0ELb0EEEvllPKT_S5_PKT0_S8_PS3_S9_
; %bb.0:
	s_load_dwordx8 s[12:19], s[4:5], 0x0
	s_load_dwordx4 s[20:23], s[4:5], 0x20
	s_mov_b32 s8, s7
	s_lshl_b32 s7, s6, 5
	v_mov_b32_e32 v132, v0
	s_or_b32 s24, s7, 31
	s_mov_b32 s25, 0
	s_waitcnt lgkmcnt(0)
	v_pk_mov_b32 v[0:1], s[14:15], s[14:15] op_sel:[0,1]
	v_cmp_ge_i64_e32 vcc, s[24:25], v[0:1]
	s_lshl_b32 s24, s8, 5
	v_pk_mov_b32 v[0:1], s[12:13], s[12:13] op_sel:[0,1]
	v_cmp_lt_i64_e64 s[0:1], s[24:25], v[0:1]
	v_cndmask_b32_e64 v0, 0, 1, s[0:1]
	v_cmp_ne_u32_e64 s[0:1], 1, v0
	s_cbranch_vccz .LBB38_145
; %bb.1:
	v_pk_mov_b32 v[136:137], 0, 0
	v_accvgpr_write_b32 a2, v136
	s_mov_b64 s[26:27], 0
	s_and_b64 vcc, exec, s[0:1]
	v_accvgpr_write_b32 a3, v137
	s_cbranch_vccnz .LBB38_146
; %bb.2:
	v_bfe_u32 v0, v132, 10, 10
	v_lshlrev_b32_e32 v2, 5, v0
	v_accvgpr_write_b32 a1, v0
	v_mov_b32_e32 v1, s25
	v_add_co_u32_e32 v0, vcc, s24, v2
	v_addc_co_u32_e32 v121, vcc, 0, v1, vcc
	v_add_co_u32_e32 v1, vcc, 31, v0
	v_addc_co_u32_e32 v3, vcc, 0, v121, vcc
	v_mul_lo_u32 v6, s15, v1
	v_mul_lo_u32 v3, s14, v3
	v_mad_u64_u32 v[4:5], s[2:3], s14, v1, 0
	v_add3_u32 v5, v5, v3, v6
	v_lshlrev_b64 v[6:7], 3, v[4:5]
	v_mov_b32_e32 v125, s17
	v_add_co_u32_e32 v4, vcc, s16, v6
	v_addc_co_u32_e32 v1, vcc, v125, v7, vcc
	v_mov_b32_e32 v127, s19
	v_add_co_u32_e32 v6, vcc, s18, v6
	v_addc_co_u32_e32 v3, vcc, v127, v7, vcc
	v_add_co_u32_e32 v5, vcc, 30, v0
	v_addc_co_u32_e32 v7, vcc, 0, v121, vcc
	v_mul_lo_u32 v10, s15, v5
	v_mul_lo_u32 v7, s14, v7
	v_mad_u64_u32 v[8:9], s[2:3], s14, v5, 0
	v_add3_u32 v9, v9, v7, v10
	v_lshlrev_b64 v[10:11], 3, v[8:9]
	v_add_co_u32_e32 v8, vcc, s16, v10
	v_addc_co_u32_e32 v5, vcc, v125, v11, vcc
	v_add_co_u32_e32 v10, vcc, s18, v10
	v_addc_co_u32_e32 v7, vcc, v127, v11, vcc
	v_add_co_u32_e32 v9, vcc, 29, v0
	v_addc_co_u32_e32 v11, vcc, 0, v121, vcc
	v_mul_lo_u32 v14, s15, v9
	v_mul_lo_u32 v11, s14, v11
	v_mad_u64_u32 v[12:13], s[2:3], s14, v9, 0
	v_add3_u32 v13, v13, v11, v14
	v_lshlrev_b64 v[14:15], 3, v[12:13]
	v_add_co_u32_e32 v12, vcc, s16, v14
	v_addc_co_u32_e32 v9, vcc, v125, v15, vcc
	;; [unrolled: 11-line block ×29, first 2 shown]
	v_add_co_u32_e32 v122, vcc, s18, v122
	v_pk_mov_b32 v[128:129], s[14:15], s[14:15] op_sel:[0,1]
	v_addc_co_u32_e32 v119, vcc, v127, v123, vcc
	v_mad_u64_u32 v[128:129], s[2:3], s14, v0, v[128:129]
	v_mul_lo_u32 v121, s14, v121
	v_mul_lo_u32 v123, s15, v0
	v_add3_u32 v129, v123, v129, v121
	v_lshlrev_b64 v[128:129], 3, v[128:129]
	v_mad_u64_u32 v[130:131], s[2:3], s14, v0, 0
	v_add_co_u32_e32 v124, vcc, s16, v128
	v_add3_u32 v131, v131, v121, v123
	v_addc_co_u32_e32 v121, vcc, v125, v129, vcc
	s_load_dword s10, s[4:5], 0x44
	v_add_co_u32_e32 v126, vcc, s18, v128
	v_addc_co_u32_e32 v123, vcc, v127, v129, vcc
	v_lshlrev_b64 v[130:131], 3, v[130:131]
	v_add_co_u32_e32 v128, vcc, s16, v130
	v_addc_co_u32_e32 v125, vcc, v125, v131, vcc
	s_add_u32 s28, s4, 64
	v_add_co_u32_e32 v130, vcc, s18, v130
	s_addc_u32 s29, s5, 0
	s_waitcnt lgkmcnt(0)
	s_lshl_b32 s33, s10, 5
	v_mbcnt_lo_u32_b32 v0, -1, 0
	v_addc_co_u32_e32 v127, vcc, v127, v131, vcc
	v_and_b32_e32 v131, 0x3ff, v132
	s_mul_i32 s10, s15, s33
	s_mul_hi_u32 s11, s14, s33
	v_mbcnt_hi_u32_b32 v0, -1, v0
	v_pk_mov_b32 v[138:139], 0, 0
	v_accvgpr_write_b32 a0, v132
	v_add_u32_e32 v132, s7, v131
	v_mov_b32_e32 v133, 0
	s_add_i32 s11, s11, s10
	s_mul_i32 s10, s14, s33
	v_lshlrev_b32_e32 v0, 2, v0
	v_accvgpr_write_b32 a2, v138
	s_mov_b32 s9, 0
	v_cmp_gt_i64_e64 s[2:3], s[14:15], v[132:133]
	s_mov_b64 s[30:31], 31
	s_lshl_b64 s[34:35], s[10:11], 3
	v_and_b32_e32 v0, 0x100, v0
	s_mov_b64 s[36:37], s[24:25]
	v_mov_b32_e32 v129, v133
	v_accvgpr_write_b32 a5, v133
	v_lshlrev_b64 v[134:135], 3, v[132:133]
	v_accvgpr_write_b32 a3, v139
.LBB38_3:                               ; =>This Inner Loop Header: Depth=1
	s_add_u32 s10, s24, s30
	s_addc_u32 s11, 0, s31
	v_pk_mov_b32 v[132:133], s[12:13], s[12:13] op_sel:[0,1]
	v_cmp_ge_i64_e32 vcc, s[10:11], v[132:133]
	v_mov_b32_e32 v132, s25
	v_add_co_u32_e64 v144, s[10:11], s24, v2
	v_addc_co_u32_e64 v145, s[10:11], v132, v129, s[10:11]
	s_cbranch_vccz .LBB38_73
; %bb.4:                                ;   in Loop: Header=BB38_3 Depth=1
	s_load_dword s10, s[28:29], 0xc
	v_accvgpr_read_b32 v132, a1
	v_pk_mov_b32 v[250:251], 0, 0
	v_pk_mov_b32 v[148:149], v[250:251], v[250:251] op_sel:[0,1]
	v_pk_mov_b32 v[146:147], v[250:251], v[250:251] op_sel:[0,1]
	s_waitcnt lgkmcnt(0)
	s_and_b32 s10, s10, 0xffff
	v_mad_u32_u24 v132, v132, s10, v131
	v_and_b32_e32 v132, 63, v132
	v_cmp_gt_u32_e32 vcc, 32, v132
	s_and_saveexec_b64 s[10:11], vcc
	s_cbranch_execz .LBB38_8
; %bb.5:                                ;   in Loop: Header=BB38_3 Depth=1
	v_add_co_u32_e32 v132, vcc, v144, v132
	v_addc_co_u32_e32 v133, vcc, 0, v145, vcc
	v_pk_mov_b32 v[146:147], 0, 0
	v_cmp_gt_i64_e32 vcc, s[12:13], v[132:133]
	v_pk_mov_b32 v[148:149], v[146:147], v[146:147] op_sel:[0,1]
	s_and_saveexec_b64 s[38:39], vcc
	s_cbranch_execz .LBB38_7
; %bb.6:                                ;   in Loop: Header=BB38_3 Depth=1
	v_lshlrev_b64 v[132:133], 3, v[132:133]
	v_mov_b32_e32 v137, s23
	v_add_co_u32_e32 v136, vcc, s22, v132
	v_addc_co_u32_e32 v137, vcc, v137, v133, vcc
	v_mov_b32_e32 v140, s21
	v_add_co_u32_e32 v132, vcc, s20, v132
	v_addc_co_u32_e32 v133, vcc, v140, v133, vcc
	global_load_dwordx2 v[146:147], v[132:133], off
	global_load_dwordx2 v[148:149], v[136:137], off
.LBB38_7:                               ;   in Loop: Header=BB38_3 Depth=1
	s_or_b64 exec, exec, s[38:39]
.LBB38_8:                               ;   in Loop: Header=BB38_3 Depth=1
	s_or_b64 exec, exec, s[10:11]
	v_cmp_gt_i64_e32 vcc, s[12:13], v[144:145]
	s_and_b64 s[38:39], s[2:3], vcc
	v_pk_mov_b32 v[136:137], v[250:251], v[250:251] op_sel:[0,1]
	s_and_saveexec_b64 s[10:11], s[38:39]
	s_cbranch_execz .LBB38_10
; %bb.9:                                ;   in Loop: Header=BB38_3 Depth=1
	v_add_co_u32_e32 v132, vcc, v128, v134
	v_addc_co_u32_e32 v133, vcc, v125, v135, vcc
	global_load_dwordx2 v[250:251], v[132:133], off
	v_add_co_u32_e32 v132, vcc, v130, v134
	v_addc_co_u32_e32 v133, vcc, v127, v135, vcc
	global_load_dwordx2 v[136:137], v[132:133], off
.LBB38_10:                              ;   in Loop: Header=BB38_3 Depth=1
	s_or_b64 exec, exec, s[10:11]
	v_add_co_u32_e32 v132, vcc, 1, v144
	v_addc_co_u32_e32 v133, vcc, 0, v145, vcc
	v_cmp_gt_i64_e32 vcc, s[12:13], v[132:133]
	v_pk_mov_b32 v[246:247], 0, 0
	s_and_b64 s[38:39], s[2:3], vcc
	v_pk_mov_b32 v[174:175], v[246:247], v[246:247] op_sel:[0,1]
	v_pk_mov_b32 v[178:179], v[246:247], v[246:247] op_sel:[0,1]
	s_and_saveexec_b64 s[10:11], s[38:39]
	s_cbranch_execz .LBB38_12
; %bb.11:                               ;   in Loop: Header=BB38_3 Depth=1
	v_add_co_u32_e32 v132, vcc, v124, v134
	v_addc_co_u32_e32 v133, vcc, v121, v135, vcc
	global_load_dwordx2 v[174:175], v[132:133], off
	v_add_co_u32_e32 v132, vcc, v126, v134
	v_addc_co_u32_e32 v133, vcc, v123, v135, vcc
	global_load_dwordx2 v[178:179], v[132:133], off
.LBB38_12:                              ;   in Loop: Header=BB38_3 Depth=1
	s_or_b64 exec, exec, s[10:11]
	v_add_co_u32_e32 v132, vcc, 2, v144
	v_addc_co_u32_e32 v133, vcc, 0, v145, vcc
	v_cmp_gt_i64_e32 vcc, s[12:13], v[132:133]
	s_and_b64 s[38:39], s[2:3], vcc
	v_pk_mov_b32 v[176:177], v[246:247], v[246:247] op_sel:[0,1]
	s_and_saveexec_b64 s[10:11], s[38:39]
	s_cbranch_execz .LBB38_14
; %bb.13:                               ;   in Loop: Header=BB38_3 Depth=1
	v_add_co_u32_e32 v132, vcc, v120, v134
	v_addc_co_u32_e32 v133, vcc, v117, v135, vcc
	global_load_dwordx2 v[246:247], v[132:133], off
	v_add_co_u32_e32 v132, vcc, v122, v134
	v_addc_co_u32_e32 v133, vcc, v119, v135, vcc
	global_load_dwordx2 v[176:177], v[132:133], off
.LBB38_14:                              ;   in Loop: Header=BB38_3 Depth=1
	s_or_b64 exec, exec, s[10:11]
	v_add_co_u32_e32 v132, vcc, 3, v144
	v_addc_co_u32_e32 v133, vcc, 0, v145, vcc
	v_cmp_gt_i64_e32 vcc, s[12:13], v[132:133]
	v_pk_mov_b32 v[238:239], 0, 0
	s_and_b64 s[38:39], s[2:3], vcc
	v_pk_mov_b32 v[160:161], v[238:239], v[238:239] op_sel:[0,1]
	v_pk_mov_b32 v[168:169], v[238:239], v[238:239] op_sel:[0,1]
	s_and_saveexec_b64 s[10:11], s[38:39]
	s_cbranch_execz .LBB38_16
; %bb.15:                               ;   in Loop: Header=BB38_3 Depth=1
	v_add_co_u32_e32 v132, vcc, v116, v134
	v_addc_co_u32_e32 v133, vcc, v113, v135, vcc
	global_load_dwordx2 v[160:161], v[132:133], off
	v_add_co_u32_e32 v132, vcc, v118, v134
	v_addc_co_u32_e32 v133, vcc, v115, v135, vcc
	global_load_dwordx2 v[168:169], v[132:133], off
.LBB38_16:                              ;   in Loop: Header=BB38_3 Depth=1
	s_or_b64 exec, exec, s[10:11]
	v_add_co_u32_e32 v132, vcc, 4, v144
	v_addc_co_u32_e32 v133, vcc, 0, v145, vcc
	v_cmp_gt_i64_e32 vcc, s[12:13], v[132:133]
	s_and_b64 s[38:39], s[2:3], vcc
	v_pk_mov_b32 v[166:167], v[238:239], v[238:239] op_sel:[0,1]
	s_and_saveexec_b64 s[10:11], s[38:39]
	s_cbranch_execz .LBB38_18
; %bb.17:                               ;   in Loop: Header=BB38_3 Depth=1
	v_add_co_u32_e32 v132, vcc, v112, v134
	v_addc_co_u32_e32 v133, vcc, v109, v135, vcc
	global_load_dwordx2 v[238:239], v[132:133], off
	v_add_co_u32_e32 v132, vcc, v114, v134
	v_addc_co_u32_e32 v133, vcc, v111, v135, vcc
	global_load_dwordx2 v[166:167], v[132:133], off
.LBB38_18:                              ;   in Loop: Header=BB38_3 Depth=1
	;; [unrolled: 34-line block ×11, first 2 shown]
	s_or_b64 exec, exec, s[10:11]
	v_add_co_u32_e32 v140, vcc, 23, v144
	v_addc_co_u32_e32 v141, vcc, 0, v145, vcc
	v_pk_mov_b32 v[158:159], 0, 0
	v_cmp_gt_i64_e32 vcc, s[12:13], v[140:141]
	v_accvgpr_write_b32 a22, v158
	s_and_b64 s[38:39], s[2:3], vcc
	v_pk_mov_b32 v[180:181], v[158:159], v[158:159] op_sel:[0,1]
	v_accvgpr_write_b32 a23, v159
	s_and_saveexec_b64 s[10:11], s[38:39]
	s_cbranch_execz .LBB38_56
; %bb.55:                               ;   in Loop: Header=BB38_3 Depth=1
	v_add_co_u32_e32 v140, vcc, v36, v134
	v_addc_co_u32_e32 v141, vcc, v33, v135, vcc
	global_load_dwordx2 v[180:181], v[140:141], off
	v_add_co_u32_e32 v140, vcc, v38, v134
	v_addc_co_u32_e32 v141, vcc, v35, v135, vcc
	global_load_dwordx2 a[22:23], v[140:141], off
.LBB38_56:                              ;   in Loop: Header=BB38_3 Depth=1
	s_or_b64 exec, exec, s[10:11]
	v_add_co_u32_e32 v140, vcc, 24, v144
	v_addc_co_u32_e32 v141, vcc, 0, v145, vcc
	v_cmp_gt_i64_e32 vcc, s[12:13], v[140:141]
	v_accvgpr_write_b32 a20, v158
	s_and_b64 s[38:39], s[2:3], vcc
	v_accvgpr_write_b32 a21, v159
	s_and_saveexec_b64 s[10:11], s[38:39]
	s_cbranch_execz .LBB38_58
; %bb.57:                               ;   in Loop: Header=BB38_3 Depth=1
	v_add_co_u32_e32 v140, vcc, v32, v134
	v_addc_co_u32_e32 v141, vcc, v29, v135, vcc
	global_load_dwordx2 v[158:159], v[140:141], off
	v_add_co_u32_e32 v140, vcc, v34, v134
	v_addc_co_u32_e32 v141, vcc, v31, v135, vcc
	global_load_dwordx2 a[20:21], v[140:141], off
.LBB38_58:                              ;   in Loop: Header=BB38_3 Depth=1
	s_or_b64 exec, exec, s[10:11]
	v_add_co_u32_e32 v140, vcc, 25, v144
	v_addc_co_u32_e32 v141, vcc, 0, v145, vcc
	v_pk_mov_b32 v[152:153], 0, 0
	v_cmp_gt_i64_e32 vcc, s[12:13], v[140:141]
	v_accvgpr_write_b32 a18, v152
	s_and_b64 s[38:39], s[2:3], vcc
	v_pk_mov_b32 v[170:171], v[152:153], v[152:153] op_sel:[0,1]
	v_accvgpr_write_b32 a19, v153
	s_and_saveexec_b64 s[10:11], s[38:39]
	s_cbranch_execz .LBB38_60
; %bb.59:                               ;   in Loop: Header=BB38_3 Depth=1
	v_add_co_u32_e32 v140, vcc, v28, v134
	v_addc_co_u32_e32 v141, vcc, v25, v135, vcc
	global_load_dwordx2 v[170:171], v[140:141], off
	v_add_co_u32_e32 v140, vcc, v30, v134
	v_addc_co_u32_e32 v141, vcc, v27, v135, vcc
	global_load_dwordx2 a[18:19], v[140:141], off
.LBB38_60:                              ;   in Loop: Header=BB38_3 Depth=1
	s_or_b64 exec, exec, s[10:11]
	v_add_co_u32_e32 v140, vcc, 26, v144
	v_addc_co_u32_e32 v141, vcc, 0, v145, vcc
	v_cmp_gt_i64_e32 vcc, s[12:13], v[140:141]
	v_accvgpr_write_b32 a14, v152
	s_and_b64 s[38:39], s[2:3], vcc
	v_accvgpr_write_b32 a15, v153
	s_and_saveexec_b64 s[10:11], s[38:39]
	s_cbranch_execz .LBB38_62
; %bb.61:                               ;   in Loop: Header=BB38_3 Depth=1
	v_add_co_u32_e32 v140, vcc, v24, v134
	v_addc_co_u32_e32 v141, vcc, v21, v135, vcc
	global_load_dwordx2 v[152:153], v[140:141], off
	v_add_co_u32_e32 v140, vcc, v26, v134
	v_addc_co_u32_e32 v141, vcc, v23, v135, vcc
	global_load_dwordx2 a[14:15], v[140:141], off
.LBB38_62:                              ;   in Loop: Header=BB38_3 Depth=1
	s_or_b64 exec, exec, s[10:11]
	v_add_co_u32_e32 v140, vcc, 27, v144
	v_addc_co_u32_e32 v141, vcc, 0, v145, vcc
	v_pk_mov_b32 v[150:151], 0, 0
	v_cmp_gt_i64_e32 vcc, s[12:13], v[140:141]
	v_accvgpr_write_b32 a12, v150
	s_and_b64 s[38:39], s[2:3], vcc
	v_pk_mov_b32 v[162:163], v[150:151], v[150:151] op_sel:[0,1]
	v_accvgpr_write_b32 a13, v151
	s_and_saveexec_b64 s[10:11], s[38:39]
	s_cbranch_execz .LBB38_64
; %bb.63:                               ;   in Loop: Header=BB38_3 Depth=1
	v_add_co_u32_e32 v140, vcc, v20, v134
	v_addc_co_u32_e32 v141, vcc, v17, v135, vcc
	global_load_dwordx2 v[162:163], v[140:141], off
	v_add_co_u32_e32 v140, vcc, v22, v134
	v_addc_co_u32_e32 v141, vcc, v19, v135, vcc
	global_load_dwordx2 a[12:13], v[140:141], off
.LBB38_64:                              ;   in Loop: Header=BB38_3 Depth=1
	s_or_b64 exec, exec, s[10:11]
	v_add_co_u32_e32 v140, vcc, 28, v144
	v_addc_co_u32_e32 v141, vcc, 0, v145, vcc
	v_cmp_gt_i64_e32 vcc, s[12:13], v[140:141]
	s_and_b64 s[38:39], s[2:3], vcc
	v_pk_mov_b32 v[186:187], v[150:151], v[150:151] op_sel:[0,1]
	s_and_saveexec_b64 s[10:11], s[38:39]
	s_cbranch_execz .LBB38_66
; %bb.65:                               ;   in Loop: Header=BB38_3 Depth=1
	v_add_co_u32_e32 v140, vcc, v16, v134
	v_addc_co_u32_e32 v141, vcc, v13, v135, vcc
	global_load_dwordx2 v[150:151], v[140:141], off
	v_add_co_u32_e32 v140, vcc, v18, v134
	v_addc_co_u32_e32 v141, vcc, v15, v135, vcc
	global_load_dwordx2 v[186:187], v[140:141], off
.LBB38_66:                              ;   in Loop: Header=BB38_3 Depth=1
	s_or_b64 exec, exec, s[10:11]
	v_add_co_u32_e32 v140, vcc, 29, v144
	v_addc_co_u32_e32 v141, vcc, 0, v145, vcc
	v_cmp_gt_i64_e32 vcc, s[12:13], v[140:141]
	v_pk_mov_b32 v[154:155], 0, 0
	s_and_b64 s[38:39], s[2:3], vcc
	v_pk_mov_b32 v[156:157], v[154:155], v[154:155] op_sel:[0,1]
	v_pk_mov_b32 v[184:185], v[154:155], v[154:155] op_sel:[0,1]
	s_and_saveexec_b64 s[10:11], s[38:39]
	s_cbranch_execz .LBB38_68
; %bb.67:                               ;   in Loop: Header=BB38_3 Depth=1
	v_add_co_u32_e32 v140, vcc, v12, v134
	v_addc_co_u32_e32 v141, vcc, v9, v135, vcc
	global_load_dwordx2 v[156:157], v[140:141], off
	v_add_co_u32_e32 v140, vcc, v14, v134
	v_addc_co_u32_e32 v141, vcc, v11, v135, vcc
	global_load_dwordx2 v[184:185], v[140:141], off
.LBB38_68:                              ;   in Loop: Header=BB38_3 Depth=1
	s_or_b64 exec, exec, s[10:11]
	v_add_co_u32_e32 v140, vcc, 30, v144
	v_addc_co_u32_e32 v141, vcc, 0, v145, vcc
	v_cmp_gt_i64_e32 vcc, s[12:13], v[140:141]
	v_accvgpr_write_b32 a16, v154
	s_and_b64 s[38:39], s[2:3], vcc
	v_accvgpr_write_b32 a17, v155
	s_and_saveexec_b64 s[10:11], s[38:39]
	s_cbranch_execz .LBB38_70
; %bb.69:                               ;   in Loop: Header=BB38_3 Depth=1
	v_add_co_u32_e32 v140, vcc, v8, v134
	v_addc_co_u32_e32 v141, vcc, v5, v135, vcc
	global_load_dwordx2 v[154:155], v[140:141], off
	v_add_co_u32_e32 v140, vcc, v10, v134
	v_addc_co_u32_e32 v141, vcc, v7, v135, vcc
	global_load_dwordx2 a[16:17], v[140:141], off
.LBB38_70:                              ;   in Loop: Header=BB38_3 Depth=1
	s_or_b64 exec, exec, s[10:11]
	v_add_co_u32_e32 v140, vcc, 31, v144
	v_addc_co_u32_e32 v141, vcc, 0, v145, vcc
	v_cmp_gt_i64_e32 vcc, s[12:13], v[140:141]
	v_pk_mov_b32 v[140:141], 0, 0
	s_waitcnt vmcnt(0)
	v_accvgpr_write_b32 a10, v186
	v_accvgpr_write_b32 a8, v184
	;; [unrolled: 1-line block ×5, first 2 shown]
	s_and_b64 s[40:41], s[2:3], vcc
	s_mov_b64 s[10:11], 0
	v_accvgpr_write_b32 a7, v141
	s_and_saveexec_b64 s[38:39], s[40:41]
	s_cbranch_execz .LBB38_72
; %bb.71:                               ;   in Loop: Header=BB38_3 Depth=1
	v_add_co_u32_e32 v140, vcc, v4, v134
	v_addc_co_u32_e32 v141, vcc, v1, v135, vcc
	v_add_co_u32_e32 v184, vcc, v6, v134
	v_addc_co_u32_e32 v185, vcc, v3, v135, vcc
	global_load_dwordx2 v[140:141], v[140:141], off
	s_nop 0
	global_load_dwordx2 a[6:7], v[184:185], off
.LBB38_72:                              ;   in Loop: Header=BB38_3 Depth=1
	s_or_b64 exec, exec, s[38:39]
	ds_bpermute_b32 v186, v0, v146
	ds_bpermute_b32 v187, v0, v147
	;; [unrolled: 1-line block ×4, first 2 shown]
	s_waitcnt lgkmcnt(2)
	v_add_f64 v[136:137], v[136:137], -v[186:187]
	v_mul_f64 v[136:137], v[250:251], v[136:137]
	s_waitcnt lgkmcnt(0)
	v_fma_f64 v[136:137], v[136:137], v[184:185], v[138:139]
	v_accvgpr_read_b32 v185, a3
	v_accvgpr_read_b32 v184, a2
	v_add_f64 v[184:185], v[184:185], v[250:251]
	ds_bpermute_b32 v250, v0, v146 offset:4
	ds_bpermute_b32 v251, v0, v147 offset:4
	;; [unrolled: 1-line block ×4, first 2 shown]
	s_waitcnt lgkmcnt(2)
	v_add_f64 v[178:179], v[178:179], -v[250:251]
	v_mul_f64 v[178:179], v[174:175], v[178:179]
	v_add_f64 v[174:175], v[184:185], v[174:175]
	ds_bpermute_b32 v184, v0, v146 offset:8
	ds_bpermute_b32 v185, v0, v147 offset:8
	s_waitcnt lgkmcnt(2)
	v_fmac_f64_e32 v[136:137], v[178:179], v[186:187]
	ds_bpermute_b32 v178, v0, v148 offset:8
	ds_bpermute_b32 v179, v0, v149 offset:8
	v_add_f64 v[174:175], v[174:175], v[246:247]
	s_waitcnt lgkmcnt(2)
	v_add_f64 v[176:177], v[176:177], -v[184:185]
	v_mul_f64 v[176:177], v[246:247], v[176:177]
	s_waitcnt lgkmcnt(0)
	v_fmac_f64_e32 v[136:137], v[176:177], v[178:179]
	ds_bpermute_b32 v178, v0, v146 offset:12
	ds_bpermute_b32 v179, v0, v147 offset:12
	ds_bpermute_b32 v176, v0, v148 offset:12
	ds_bpermute_b32 v177, v0, v149 offset:12
	s_waitcnt lgkmcnt(2)
	v_add_f64 v[168:169], v[168:169], -v[178:179]
	v_mul_f64 v[168:169], v[160:161], v[168:169]
	v_add_f64 v[160:161], v[174:175], v[160:161]
	ds_bpermute_b32 v174, v0, v146 offset:16
	ds_bpermute_b32 v175, v0, v147 offset:16
	s_waitcnt lgkmcnt(2)
	v_fmac_f64_e32 v[136:137], v[168:169], v[176:177]
	ds_bpermute_b32 v168, v0, v148 offset:16
	ds_bpermute_b32 v169, v0, v149 offset:16
	v_add_f64 v[160:161], v[160:161], v[238:239]
	s_waitcnt lgkmcnt(2)
	v_add_f64 v[166:167], v[166:167], -v[174:175]
	v_mul_f64 v[166:167], v[238:239], v[166:167]
	s_waitcnt lgkmcnt(0)
	v_fmac_f64_e32 v[136:137], v[166:167], v[168:169]
	ds_bpermute_b32 v168, v0, v146 offset:20
	ds_bpermute_b32 v169, v0, v147 offset:20
	ds_bpermute_b32 v166, v0, v148 offset:20
	ds_bpermute_b32 v167, v0, v149 offset:20
	s_waitcnt lgkmcnt(2)
	v_add_f64 v[142:143], v[142:143], -v[168:169]
	v_mul_f64 v[142:143], v[254:255], v[142:143]
	s_waitcnt lgkmcnt(0)
	v_fmac_f64_e32 v[136:137], v[142:143], v[166:167]
	ds_bpermute_b32 v166, v0, v146 offset:24
	ds_bpermute_b32 v167, v0, v147 offset:24
	v_add_f64 v[142:143], v[160:161], v[254:255]
	ds_bpermute_b32 v160, v0, v148 offset:24
	ds_bpermute_b32 v161, v0, v149 offset:24
	s_waitcnt lgkmcnt(2)
	v_add_f64 v[132:133], v[132:133], -v[166:167]
	v_mul_f64 v[132:133], v[230:231], v[132:133]
	s_waitcnt lgkmcnt(0)
	v_fmac_f64_e32 v[136:137], v[132:133], v[160:161]
	ds_bpermute_b32 v160, v0, v146 offset:28
	ds_bpermute_b32 v161, v0, v147 offset:28
	v_add_f64 v[132:133], v[142:143], v[230:231]
	ds_bpermute_b32 v142, v0, v148 offset:28
	ds_bpermute_b32 v143, v0, v149 offset:28
	v_add_f64 v[132:133], v[132:133], v[244:245]
	s_waitcnt lgkmcnt(2)
	v_add_f64 v[160:161], v[252:253], -v[160:161]
	v_mul_f64 v[160:161], v[244:245], v[160:161]
	v_add_f64 v[132:133], v[132:133], v[222:223]
	s_waitcnt lgkmcnt(0)
	v_fmac_f64_e32 v[136:137], v[160:161], v[142:143]
	ds_bpermute_b32 v160, v0, v146 offset:32
	ds_bpermute_b32 v161, v0, v147 offset:32
	ds_bpermute_b32 v142, v0, v148 offset:32
	ds_bpermute_b32 v143, v0, v149 offset:32
	v_add_f64 v[132:133], v[132:133], v[236:237]
	v_add_f64 v[132:133], v[132:133], v[214:215]
	s_waitcnt lgkmcnt(2)
	v_add_f64 v[160:161], v[248:249], -v[160:161]
	v_mul_f64 v[160:161], v[222:223], v[160:161]
	s_waitcnt lgkmcnt(0)
	v_fmac_f64_e32 v[136:137], v[160:161], v[142:143]
	ds_bpermute_b32 v160, v0, v146 offset:36
	ds_bpermute_b32 v161, v0, v147 offset:36
	ds_bpermute_b32 v142, v0, v148 offset:36
	ds_bpermute_b32 v143, v0, v149 offset:36
	v_add_f64 v[132:133], v[132:133], v[228:229]
	v_add_f64 v[132:133], v[132:133], v[206:207]
	s_waitcnt lgkmcnt(2)
	v_add_f64 v[160:161], v[242:243], -v[160:161]
	v_mul_f64 v[160:161], v[236:237], v[160:161]
	;; [unrolled: 11-line block ×11, first 2 shown]
	s_waitcnt lgkmcnt(0)
	v_fmac_f64_e32 v[136:137], v[160:161], v[142:143]
	ds_bpermute_b32 v160, v0, v146 offset:76
	ds_bpermute_b32 v161, v0, v147 offset:76
	ds_bpermute_b32 v142, v0, v148 offset:76
	ds_bpermute_b32 v143, v0, v149 offset:76
	s_waitcnt lgkmcnt(2)
	v_add_f64 v[160:161], v[202:203], -v[160:161]
	v_mul_f64 v[160:161], v[196:197], v[160:161]
	s_waitcnt lgkmcnt(0)
	v_fmac_f64_e32 v[136:137], v[160:161], v[142:143]
	ds_bpermute_b32 v160, v0, v146 offset:80
	ds_bpermute_b32 v161, v0, v147 offset:80
	ds_bpermute_b32 v142, v0, v148 offset:80
	ds_bpermute_b32 v143, v0, v149 offset:80
	s_waitcnt lgkmcnt(2)
	v_add_f64 v[160:161], v[200:201], -v[160:161]
	v_mul_f64 v[160:161], v[172:173], v[160:161]
	;; [unrolled: 9-line block ×4, first 2 shown]
	s_waitcnt lgkmcnt(0)
	v_fmac_f64_e32 v[136:137], v[160:161], v[142:143]
	ds_bpermute_b32 v160, v0, v146 offset:92
	ds_bpermute_b32 v161, v0, v147 offset:92
	;; [unrolled: 1-line block ×4, first 2 shown]
	v_accvgpr_read_b32 v165, a23
	v_accvgpr_read_b32 v164, a22
	s_waitcnt lgkmcnt(2)
	v_add_f64 v[160:161], v[164:165], -v[160:161]
	v_mul_f64 v[160:161], v[180:181], v[160:161]
	s_waitcnt lgkmcnt(0)
	v_fmac_f64_e32 v[136:137], v[160:161], v[142:143]
	ds_bpermute_b32 v160, v0, v146 offset:96
	ds_bpermute_b32 v161, v0, v147 offset:96
	ds_bpermute_b32 v142, v0, v148 offset:96
	ds_bpermute_b32 v143, v0, v149 offset:96
	v_accvgpr_read_b32 v165, a21
	v_accvgpr_read_b32 v164, a20
	s_waitcnt lgkmcnt(2)
	v_add_f64 v[160:161], v[164:165], -v[160:161]
	v_mul_f64 v[160:161], v[158:159], v[160:161]
	ds_bpermute_b32 v158, v0, v146 offset:100
	ds_bpermute_b32 v159, v0, v147 offset:100
	s_waitcnt lgkmcnt(2)
	v_fmac_f64_e32 v[136:137], v[160:161], v[142:143]
	ds_bpermute_b32 v142, v0, v148 offset:100
	ds_bpermute_b32 v143, v0, v149 offset:100
	v_accvgpr_read_b32 v161, a19
	v_accvgpr_read_b32 v160, a18
	s_waitcnt lgkmcnt(2)
	v_add_f64 v[158:159], v[160:161], -v[158:159]
	v_mul_f64 v[158:159], v[170:171], v[158:159]
	s_waitcnt lgkmcnt(0)
	v_fmac_f64_e32 v[136:137], v[158:159], v[142:143]
	ds_bpermute_b32 v158, v0, v146 offset:104
	ds_bpermute_b32 v159, v0, v147 offset:104
	ds_bpermute_b32 v142, v0, v148 offset:104
	ds_bpermute_b32 v143, v0, v149 offset:104
	v_accvgpr_read_b32 v161, a15
	v_accvgpr_read_b32 v160, a14
	s_waitcnt lgkmcnt(2)
	v_add_f64 v[158:159], v[160:161], -v[158:159]
	v_mul_f64 v[158:159], v[152:153], v[158:159]
	ds_bpermute_b32 v152, v0, v146 offset:108
	ds_bpermute_b32 v153, v0, v147 offset:108
	s_waitcnt lgkmcnt(2)
	v_fmac_f64_e32 v[136:137], v[158:159], v[142:143]
	ds_bpermute_b32 v142, v0, v148 offset:108
	ds_bpermute_b32 v143, v0, v149 offset:108
	;; [unrolled: 22-line block ×3, first 2 shown]
	v_accvgpr_read_b32 v153, a9
	v_accvgpr_read_b32 v152, a8
	s_waitcnt lgkmcnt(2)
	v_add_f64 v[150:151], v[152:153], -v[150:151]
	v_mul_f64 v[150:151], v[156:157], v[150:151]
	s_waitcnt lgkmcnt(0)
	v_fmac_f64_e32 v[136:137], v[150:151], v[142:143]
	ds_bpermute_b32 v150, v0, v146 offset:120
	ds_bpermute_b32 v151, v0, v147 offset:120
	;; [unrolled: 1-line block ×4, first 2 shown]
	v_accvgpr_read_b32 v153, a17
	v_accvgpr_read_b32 v152, a16
	s_waitcnt lgkmcnt(2)
	v_add_f64 v[150:151], v[152:153], -v[150:151]
	v_mul_f64 v[150:151], v[154:155], v[150:151]
	s_waitcnt lgkmcnt(0)
	v_fmac_f64_e32 v[136:137], v[150:151], v[142:143]
	ds_bpermute_b32 v142, v0, v148 offset:124
	ds_bpermute_b32 v143, v0, v149 offset:124
	ds_bpermute_b32 v146, v0, v146 offset:124
	ds_bpermute_b32 v147, v0, v147 offset:124
	s_and_b64 vcc, exec, s[10:11]
	s_cbranch_vccnz .LBB38_74
	s_branch .LBB38_143
.LBB38_73:                              ;   in Loop: Header=BB38_3 Depth=1
                                        ; implicit-def: $vgpr142_vgpr143
                                        ; implicit-def: $vgpr140_vgpr141
                                        ; implicit-def: $agpr6_agpr7
                                        ; implicit-def: $vgpr146
                                        ; implicit-def: $vgpr132_vgpr133
                                        ; implicit-def: $vgpr136_vgpr137
	s_cbranch_execz .LBB38_143
.LBB38_74:                              ;   in Loop: Header=BB38_3 Depth=1
	s_load_dword s10, s[28:29], 0x0
	v_accvgpr_read_b32 v133, a5
	v_pk_mov_b32 v[254:255], 0, 0
	s_waitcnt lgkmcnt(0)
	v_pk_mov_b32 v[146:147], v[254:255], v[254:255] op_sel:[0,1]
	v_pk_mov_b32 v[136:137], v[254:255], v[254:255] op_sel:[0,1]
	s_cmp_lt_u32 s6, s10
	s_cselect_b32 s10, 12, 18
	s_add_u32 s10, s28, s10
	s_addc_u32 s11, s29, 0
	global_load_ushort v132, v133, s[10:11]
	v_accvgpr_read_b32 v133, a1
	s_waitcnt vmcnt(0)
	v_mad_u32_u24 v132, v133, v132, v131
	v_and_b32_e32 v132, 63, v132
	v_cmp_gt_u32_e32 vcc, 32, v132
	s_and_saveexec_b64 s[10:11], vcc
	s_cbranch_execz .LBB38_78
; %bb.75:                               ;   in Loop: Header=BB38_3 Depth=1
	v_add_co_u32_e32 v132, vcc, v144, v132
	v_addc_co_u32_e32 v133, vcc, 0, v145, vcc
	v_pk_mov_b32 v[136:137], 0, 0
	v_cmp_gt_i64_e32 vcc, s[12:13], v[132:133]
	v_pk_mov_b32 v[146:147], v[136:137], v[136:137] op_sel:[0,1]
	s_and_saveexec_b64 s[38:39], vcc
	s_cbranch_execz .LBB38_77
; %bb.76:                               ;   in Loop: Header=BB38_3 Depth=1
	v_lshlrev_b64 v[132:133], 3, v[132:133]
	v_mov_b32_e32 v136, s23
	v_add_co_u32_e32 v140, vcc, s22, v132
	v_addc_co_u32_e32 v141, vcc, v136, v133, vcc
	v_mov_b32_e32 v136, s21
	v_add_co_u32_e32 v132, vcc, s20, v132
	v_addc_co_u32_e32 v133, vcc, v136, v133, vcc
	global_load_dwordx2 v[136:137], v[132:133], off
	global_load_dwordx2 v[146:147], v[140:141], off
.LBB38_77:                              ;   in Loop: Header=BB38_3 Depth=1
	s_or_b64 exec, exec, s[38:39]
.LBB38_78:                              ;   in Loop: Header=BB38_3 Depth=1
	s_or_b64 exec, exec, s[10:11]
	v_pk_mov_b32 v[166:167], v[254:255], v[254:255] op_sel:[0,1]
	s_and_saveexec_b64 s[10:11], s[2:3]
	s_cbranch_execz .LBB38_80
; %bb.79:                               ;   in Loop: Header=BB38_3 Depth=1
	v_add_co_u32_e32 v132, vcc, v128, v134
	v_addc_co_u32_e32 v133, vcc, v125, v135, vcc
	global_load_dwordx2 v[254:255], v[132:133], off
	v_add_co_u32_e32 v132, vcc, v130, v134
	v_addc_co_u32_e32 v133, vcc, v127, v135, vcc
	global_load_dwordx2 v[166:167], v[132:133], off
.LBB38_80:                              ;   in Loop: Header=BB38_3 Depth=1
	s_or_b64 exec, exec, s[10:11]
	v_pk_mov_b32 v[248:249], 0, 0
	v_pk_mov_b32 v[158:159], v[248:249], v[248:249] op_sel:[0,1]
	v_pk_mov_b32 v[162:163], v[248:249], v[248:249] op_sel:[0,1]
	s_and_saveexec_b64 s[10:11], s[2:3]
	s_cbranch_execz .LBB38_82
; %bb.81:                               ;   in Loop: Header=BB38_3 Depth=1
	v_add_co_u32_e32 v132, vcc, v124, v134
	v_addc_co_u32_e32 v133, vcc, v121, v135, vcc
	global_load_dwordx2 v[158:159], v[132:133], off
	v_add_co_u32_e32 v132, vcc, v126, v134
	v_addc_co_u32_e32 v133, vcc, v123, v135, vcc
	global_load_dwordx2 v[162:163], v[132:133], off
.LBB38_82:                              ;   in Loop: Header=BB38_3 Depth=1
	s_or_b64 exec, exec, s[10:11]
	v_pk_mov_b32 v[154:155], v[248:249], v[248:249] op_sel:[0,1]
	s_and_saveexec_b64 s[10:11], s[2:3]
	s_cbranch_execz .LBB38_84
; %bb.83:                               ;   in Loop: Header=BB38_3 Depth=1
	v_add_co_u32_e32 v132, vcc, v120, v134
	v_addc_co_u32_e32 v133, vcc, v117, v135, vcc
	global_load_dwordx2 v[248:249], v[132:133], off
	v_add_co_u32_e32 v132, vcc, v122, v134
	v_addc_co_u32_e32 v133, vcc, v119, v135, vcc
	global_load_dwordx2 v[154:155], v[132:133], off
.LBB38_84:                              ;   in Loop: Header=BB38_3 Depth=1
	s_or_b64 exec, exec, s[10:11]
	v_pk_mov_b32 v[240:241], 0, 0
	v_pk_mov_b32 v[252:253], v[240:241], v[240:241] op_sel:[0,1]
	v_pk_mov_b32 v[150:151], v[240:241], v[240:241] op_sel:[0,1]
	s_and_saveexec_b64 s[10:11], s[2:3]
	s_cbranch_execz .LBB38_86
; %bb.85:                               ;   in Loop: Header=BB38_3 Depth=1
	v_add_co_u32_e32 v132, vcc, v116, v134
	v_addc_co_u32_e32 v133, vcc, v113, v135, vcc
	global_load_dwordx2 v[252:253], v[132:133], off
	v_add_co_u32_e32 v132, vcc, v118, v134
	v_addc_co_u32_e32 v133, vcc, v115, v135, vcc
	global_load_dwordx2 v[150:151], v[132:133], off
.LBB38_86:                              ;   in Loop: Header=BB38_3 Depth=1
	;; [unrolled: 26-line block ×5, first 2 shown]
	s_or_b64 exec, exec, s[10:11]
	v_pk_mov_b32 v[226:227], v[216:217], v[216:217] op_sel:[0,1]
	s_and_saveexec_b64 s[10:11], s[2:3]
	s_cbranch_execz .LBB38_100
; %bb.99:                               ;   in Loop: Header=BB38_3 Depth=1
	v_add_co_u32_e32 v132, vcc, v88, v134
	v_addc_co_u32_e32 v133, vcc, v85, v135, vcc
	global_load_dwordx2 v[216:217], v[132:133], off
	v_add_co_u32_e32 v132, vcc, v90, v134
	v_addc_co_u32_e32 v133, vcc, v87, v135, vcc
	global_load_dwordx2 v[226:227], v[132:133], off
.LBB38_100:                             ;   in Loop: Header=BB38_3 Depth=1
	s_or_b64 exec, exec, s[10:11]
	v_pk_mov_b32 v[208:209], 0, 0
	v_pk_mov_b32 v[220:221], v[208:209], v[208:209] op_sel:[0,1]
	v_pk_mov_b32 v[222:223], v[208:209], v[208:209] op_sel:[0,1]
	s_and_saveexec_b64 s[10:11], s[2:3]
	s_cbranch_execz .LBB38_102
; %bb.101:                              ;   in Loop: Header=BB38_3 Depth=1
	v_add_co_u32_e32 v132, vcc, v84, v134
	v_addc_co_u32_e32 v133, vcc, v81, v135, vcc
	global_load_dwordx2 v[220:221], v[132:133], off
	v_add_co_u32_e32 v132, vcc, v86, v134
	v_addc_co_u32_e32 v133, vcc, v83, v135, vcc
	global_load_dwordx2 v[222:223], v[132:133], off
.LBB38_102:                             ;   in Loop: Header=BB38_3 Depth=1
	s_or_b64 exec, exec, s[10:11]
	v_pk_mov_b32 v[218:219], v[208:209], v[208:209] op_sel:[0,1]
	s_and_saveexec_b64 s[10:11], s[2:3]
	s_cbranch_execz .LBB38_104
; %bb.103:                              ;   in Loop: Header=BB38_3 Depth=1
	v_add_co_u32_e32 v132, vcc, v80, v134
	v_addc_co_u32_e32 v133, vcc, v77, v135, vcc
	global_load_dwordx2 v[208:209], v[132:133], off
	v_add_co_u32_e32 v132, vcc, v82, v134
	v_addc_co_u32_e32 v133, vcc, v79, v135, vcc
	global_load_dwordx2 v[218:219], v[132:133], off
.LBB38_104:                             ;   in Loop: Header=BB38_3 Depth=1
	s_or_b64 exec, exec, s[10:11]
	v_pk_mov_b32 v[200:201], 0, 0
	v_pk_mov_b32 v[212:213], v[200:201], v[200:201] op_sel:[0,1]
	v_pk_mov_b32 v[214:215], v[200:201], v[200:201] op_sel:[0,1]
	s_and_saveexec_b64 s[10:11], s[2:3]
	s_cbranch_execz .LBB38_106
; %bb.105:                              ;   in Loop: Header=BB38_3 Depth=1
	v_add_co_u32_e32 v132, vcc, v76, v134
	v_addc_co_u32_e32 v133, vcc, v73, v135, vcc
	global_load_dwordx2 v[212:213], v[132:133], off
	v_add_co_u32_e32 v132, vcc, v78, v134
	v_addc_co_u32_e32 v133, vcc, v75, v135, vcc
	global_load_dwordx2 v[214:215], v[132:133], off
.LBB38_106:                             ;   in Loop: Header=BB38_3 Depth=1
	s_or_b64 exec, exec, s[10:11]
	v_pk_mov_b32 v[210:211], v[200:201], v[200:201] op_sel:[0,1]
	s_and_saveexec_b64 s[10:11], s[2:3]
	s_cbranch_execz .LBB38_108
; %bb.107:                              ;   in Loop: Header=BB38_3 Depth=1
	v_add_co_u32_e32 v132, vcc, v72, v134
	v_addc_co_u32_e32 v133, vcc, v69, v135, vcc
	global_load_dwordx2 v[200:201], v[132:133], off
	v_add_co_u32_e32 v132, vcc, v74, v134
	v_addc_co_u32_e32 v133, vcc, v71, v135, vcc
	global_load_dwordx2 v[210:211], v[132:133], off
.LBB38_108:                             ;   in Loop: Header=BB38_3 Depth=1
	;; [unrolled: 26-line block ×3, first 2 shown]
	s_or_b64 exec, exec, s[10:11]
	v_pk_mov_b32 v[188:189], 0, 0
	v_pk_mov_b32 v[132:133], v[188:189], v[188:189] op_sel:[0,1]
	v_pk_mov_b32 v[142:143], v[188:189], v[188:189] op_sel:[0,1]
	s_and_saveexec_b64 s[10:11], s[2:3]
	s_cbranch_execz .LBB38_114
; %bb.113:                              ;   in Loop: Header=BB38_3 Depth=1
	v_add_co_u32_e32 v132, vcc, v60, v134
	v_addc_co_u32_e32 v133, vcc, v57, v135, vcc
	v_add_co_u32_e32 v140, vcc, v62, v134
	v_addc_co_u32_e32 v141, vcc, v59, v135, vcc
	global_load_dwordx2 v[132:133], v[132:133], off
	s_nop 0
	global_load_dwordx2 v[142:143], v[140:141], off
.LBB38_114:                             ;   in Loop: Header=BB38_3 Depth=1
	s_or_b64 exec, exec, s[10:11]
	v_pk_mov_b32 v[198:199], v[188:189], v[188:189] op_sel:[0,1]
	s_and_saveexec_b64 s[10:11], s[2:3]
	s_cbranch_execz .LBB38_116
; %bb.115:                              ;   in Loop: Header=BB38_3 Depth=1
	v_add_co_u32_e32 v140, vcc, v56, v134
	v_addc_co_u32_e32 v141, vcc, v53, v135, vcc
	global_load_dwordx2 v[188:189], v[140:141], off
	v_add_co_u32_e32 v140, vcc, v58, v134
	v_addc_co_u32_e32 v141, vcc, v55, v135, vcc
	global_load_dwordx2 v[198:199], v[140:141], off
.LBB38_116:                             ;   in Loop: Header=BB38_3 Depth=1
	s_or_b64 exec, exec, s[10:11]
	v_pk_mov_b32 v[180:181], 0, 0
	v_pk_mov_b32 v[192:193], v[180:181], v[180:181] op_sel:[0,1]
	v_pk_mov_b32 v[194:195], v[180:181], v[180:181] op_sel:[0,1]
	s_and_saveexec_b64 s[10:11], s[2:3]
	s_cbranch_execz .LBB38_118
; %bb.117:                              ;   in Loop: Header=BB38_3 Depth=1
	v_add_co_u32_e32 v140, vcc, v52, v134
	v_addc_co_u32_e32 v141, vcc, v49, v135, vcc
	global_load_dwordx2 v[192:193], v[140:141], off
	v_add_co_u32_e32 v140, vcc, v54, v134
	v_addc_co_u32_e32 v141, vcc, v51, v135, vcc
	global_load_dwordx2 v[194:195], v[140:141], off
.LBB38_118:                             ;   in Loop: Header=BB38_3 Depth=1
	s_or_b64 exec, exec, s[10:11]
	v_pk_mov_b32 v[190:191], v[180:181], v[180:181] op_sel:[0,1]
	s_and_saveexec_b64 s[10:11], s[2:3]
	s_cbranch_execz .LBB38_120
; %bb.119:                              ;   in Loop: Header=BB38_3 Depth=1
	v_add_co_u32_e32 v140, vcc, v48, v134
	v_addc_co_u32_e32 v141, vcc, v45, v135, vcc
	global_load_dwordx2 v[180:181], v[140:141], off
	v_add_co_u32_e32 v140, vcc, v50, v134
	v_addc_co_u32_e32 v141, vcc, v47, v135, vcc
	global_load_dwordx2 v[190:191], v[140:141], off
.LBB38_120:                             ;   in Loop: Header=BB38_3 Depth=1
	s_or_b64 exec, exec, s[10:11]
	v_pk_mov_b32 v[172:173], 0, 0
	v_pk_mov_b32 v[184:185], v[172:173], v[172:173] op_sel:[0,1]
	v_pk_mov_b32 v[186:187], v[172:173], v[172:173] op_sel:[0,1]
	s_and_saveexec_b64 s[10:11], s[2:3]
	s_cbranch_execz .LBB38_122
; %bb.121:                              ;   in Loop: Header=BB38_3 Depth=1
	v_add_co_u32_e32 v140, vcc, v44, v134
	v_addc_co_u32_e32 v141, vcc, v41, v135, vcc
	global_load_dwordx2 v[184:185], v[140:141], off
	v_add_co_u32_e32 v140, vcc, v46, v134
	v_addc_co_u32_e32 v141, vcc, v43, v135, vcc
	global_load_dwordx2 v[186:187], v[140:141], off
.LBB38_122:                             ;   in Loop: Header=BB38_3 Depth=1
	;; [unrolled: 26-line block ×3, first 2 shown]
	s_or_b64 exec, exec, s[10:11]
	v_accvgpr_write_b32 a20, v164
	v_accvgpr_write_b32 a21, v165
	s_and_saveexec_b64 s[10:11], s[2:3]
	s_cbranch_execz .LBB38_128
; %bb.127:                              ;   in Loop: Header=BB38_3 Depth=1
	v_add_co_u32_e32 v140, vcc, v32, v134
	v_addc_co_u32_e32 v141, vcc, v29, v135, vcc
	global_load_dwordx2 v[164:165], v[140:141], off
	v_add_co_u32_e32 v140, vcc, v34, v134
	v_addc_co_u32_e32 v141, vcc, v31, v135, vcc
	global_load_dwordx2 a[20:21], v[140:141], off
.LBB38_128:                             ;   in Loop: Header=BB38_3 Depth=1
	s_or_b64 exec, exec, s[10:11]
	v_pk_mov_b32 v[156:157], 0, 0
	v_accvgpr_write_b32 a18, v156
	v_pk_mov_b32 v[168:169], v[156:157], v[156:157] op_sel:[0,1]
	v_accvgpr_write_b32 a19, v157
	s_and_saveexec_b64 s[10:11], s[2:3]
	s_cbranch_execz .LBB38_130
; %bb.129:                              ;   in Loop: Header=BB38_3 Depth=1
	v_add_co_u32_e32 v140, vcc, v28, v134
	v_addc_co_u32_e32 v141, vcc, v25, v135, vcc
	global_load_dwordx2 v[168:169], v[140:141], off
	v_add_co_u32_e32 v140, vcc, v30, v134
	v_addc_co_u32_e32 v141, vcc, v27, v135, vcc
	global_load_dwordx2 a[18:19], v[140:141], off
.LBB38_130:                             ;   in Loop: Header=BB38_3 Depth=1
	s_or_b64 exec, exec, s[10:11]
	v_accvgpr_write_b32 a16, v156
	v_accvgpr_write_b32 a17, v157
	s_and_saveexec_b64 s[10:11], s[2:3]
	s_cbranch_execz .LBB38_132
; %bb.131:                              ;   in Loop: Header=BB38_3 Depth=1
	v_add_co_u32_e32 v140, vcc, v24, v134
	v_addc_co_u32_e32 v141, vcc, v21, v135, vcc
	global_load_dwordx2 v[156:157], v[140:141], off
	v_add_co_u32_e32 v140, vcc, v26, v134
	v_addc_co_u32_e32 v141, vcc, v23, v135, vcc
	global_load_dwordx2 a[16:17], v[140:141], off
.LBB38_132:                             ;   in Loop: Header=BB38_3 Depth=1
	s_or_b64 exec, exec, s[10:11]
	v_pk_mov_b32 v[148:149], 0, 0
	v_accvgpr_write_b32 a14, v148
	v_pk_mov_b32 v[160:161], v[148:149], v[148:149] op_sel:[0,1]
	v_accvgpr_write_b32 a15, v149
	s_and_saveexec_b64 s[10:11], s[2:3]
	s_cbranch_execz .LBB38_134
; %bb.133:                              ;   in Loop: Header=BB38_3 Depth=1
	v_add_co_u32_e32 v140, vcc, v20, v134
	v_addc_co_u32_e32 v141, vcc, v17, v135, vcc
	global_load_dwordx2 v[160:161], v[140:141], off
	v_add_co_u32_e32 v140, vcc, v22, v134
	v_addc_co_u32_e32 v141, vcc, v19, v135, vcc
	global_load_dwordx2 a[14:15], v[140:141], off
.LBB38_134:                             ;   in Loop: Header=BB38_3 Depth=1
	s_or_b64 exec, exec, s[10:11]
	v_pk_mov_b32 v[174:175], v[148:149], v[148:149] op_sel:[0,1]
	s_and_saveexec_b64 s[10:11], s[2:3]
	s_cbranch_execz .LBB38_136
; %bb.135:                              ;   in Loop: Header=BB38_3 Depth=1
	v_add_co_u32_e32 v140, vcc, v16, v134
	v_addc_co_u32_e32 v141, vcc, v13, v135, vcc
	global_load_dwordx2 v[148:149], v[140:141], off
	v_add_co_u32_e32 v140, vcc, v18, v134
	v_addc_co_u32_e32 v141, vcc, v15, v135, vcc
	global_load_dwordx2 v[174:175], v[140:141], off
.LBB38_136:                             ;   in Loop: Header=BB38_3 Depth=1
	s_or_b64 exec, exec, s[10:11]
	v_pk_mov_b32 v[144:145], 0, 0
	v_pk_mov_b32 v[152:153], v[144:145], v[144:145] op_sel:[0,1]
	v_pk_mov_b32 v[170:171], v[144:145], v[144:145] op_sel:[0,1]
	s_and_saveexec_b64 s[10:11], s[2:3]
	s_cbranch_execz .LBB38_138
; %bb.137:                              ;   in Loop: Header=BB38_3 Depth=1
	v_add_co_u32_e32 v140, vcc, v12, v134
	v_addc_co_u32_e32 v141, vcc, v9, v135, vcc
	global_load_dwordx2 v[152:153], v[140:141], off
	v_add_co_u32_e32 v140, vcc, v14, v134
	v_addc_co_u32_e32 v141, vcc, v11, v135, vcc
	global_load_dwordx2 v[170:171], v[140:141], off
.LBB38_138:                             ;   in Loop: Header=BB38_3 Depth=1
	s_or_b64 exec, exec, s[10:11]
	v_pk_mov_b32 v[140:141], v[144:145], v[144:145] op_sel:[0,1]
	s_and_saveexec_b64 s[10:11], s[2:3]
	s_cbranch_execz .LBB38_140
; %bb.139:                              ;   in Loop: Header=BB38_3 Depth=1
	v_add_co_u32_e32 v140, vcc, v8, v134
	v_addc_co_u32_e32 v141, vcc, v5, v135, vcc
	global_load_dwordx2 v[144:145], v[140:141], off
	v_add_co_u32_e32 v140, vcc, v10, v134
	v_addc_co_u32_e32 v141, vcc, v7, v135, vcc
	global_load_dwordx2 v[140:141], v[140:141], off
.LBB38_140:                             ;   in Loop: Header=BB38_3 Depth=1
	s_or_b64 exec, exec, s[10:11]
	s_waitcnt vmcnt(0)
	v_accvgpr_write_b32 a8, v140
	v_accvgpr_write_b32 a9, v141
	v_pk_mov_b32 v[140:141], 0, 0
	v_accvgpr_write_b32 a12, v174
	v_accvgpr_write_b32 a10, v170
	;; [unrolled: 1-line block ×6, first 2 shown]
	s_and_saveexec_b64 s[10:11], s[2:3]
	s_cbranch_execz .LBB38_142
; %bb.141:                              ;   in Loop: Header=BB38_3 Depth=1
	v_add_co_u32_e32 v140, vcc, v4, v134
	v_addc_co_u32_e32 v141, vcc, v1, v135, vcc
	v_add_co_u32_e32 v170, vcc, v6, v134
	v_addc_co_u32_e32 v171, vcc, v3, v135, vcc
	global_load_dwordx2 v[140:141], v[140:141], off
	s_nop 0
	global_load_dwordx2 a[6:7], v[170:171], off
.LBB38_142:                             ;   in Loop: Header=BB38_3 Depth=1
	s_or_b64 exec, exec, s[10:11]
	ds_bpermute_b32 v174, v0, v136
	ds_bpermute_b32 v175, v0, v137
	;; [unrolled: 1-line block ×4, first 2 shown]
	s_waitcnt lgkmcnt(2)
	v_add_f64 v[166:167], v[166:167], -v[174:175]
	ds_bpermute_b32 v174, v0, v136 offset:4
	ds_bpermute_b32 v175, v0, v137 offset:4
	v_mul_f64 v[166:167], v[254:255], v[166:167]
	s_waitcnt lgkmcnt(2)
	v_fmac_f64_e32 v[138:139], v[166:167], v[170:171]
	v_accvgpr_read_b32 v167, a3
	ds_bpermute_b32 v170, v0, v146 offset:4
	ds_bpermute_b32 v171, v0, v147 offset:4
	v_accvgpr_read_b32 v166, a2
	v_add_f64 v[166:167], v[166:167], v[254:255]
	s_waitcnt lgkmcnt(2)
	v_add_f64 v[162:163], v[162:163], -v[174:175]
	v_mul_f64 v[162:163], v[158:159], v[162:163]
	v_add_f64 v[158:159], v[166:167], v[158:159]
	ds_bpermute_b32 v166, v0, v136 offset:8
	ds_bpermute_b32 v167, v0, v137 offset:8
	s_waitcnt lgkmcnt(2)
	v_fmac_f64_e32 v[138:139], v[162:163], v[170:171]
	ds_bpermute_b32 v162, v0, v146 offset:8
	ds_bpermute_b32 v163, v0, v147 offset:8
	s_waitcnt lgkmcnt(2)
	v_add_f64 v[154:155], v[154:155], -v[166:167]
	v_mul_f64 v[154:155], v[248:249], v[154:155]
	s_waitcnt lgkmcnt(0)
	v_fmac_f64_e32 v[138:139], v[154:155], v[162:163]
	ds_bpermute_b32 v162, v0, v136 offset:12
	ds_bpermute_b32 v163, v0, v137 offset:12
	v_add_f64 v[154:155], v[158:159], v[248:249]
	ds_bpermute_b32 v158, v0, v146 offset:12
	ds_bpermute_b32 v159, v0, v147 offset:12
	s_waitcnt lgkmcnt(2)
	v_add_f64 v[150:151], v[150:151], -v[162:163]
	v_mul_f64 v[150:151], v[252:253], v[150:151]
	s_waitcnt lgkmcnt(0)
	v_fmac_f64_e32 v[138:139], v[150:151], v[158:159]
	ds_bpermute_b32 v158, v0, v136 offset:16
	ds_bpermute_b32 v159, v0, v137 offset:16
	v_add_f64 v[150:151], v[154:155], v[252:253]
	ds_bpermute_b32 v154, v0, v146 offset:16
	ds_bpermute_b32 v155, v0, v147 offset:16
	v_add_f64 v[150:151], v[150:151], v[240:241]
	s_waitcnt lgkmcnt(2)
	v_add_f64 v[158:159], v[250:251], -v[158:159]
	v_mul_f64 v[158:159], v[240:241], v[158:159]
	v_add_f64 v[150:151], v[150:151], v[244:245]
	s_waitcnt lgkmcnt(0)
	v_fmac_f64_e32 v[138:139], v[158:159], v[154:155]
	ds_bpermute_b32 v158, v0, v136 offset:20
	ds_bpermute_b32 v159, v0, v137 offset:20
	ds_bpermute_b32 v154, v0, v146 offset:20
	ds_bpermute_b32 v155, v0, v147 offset:20
	v_add_f64 v[150:151], v[150:151], v[232:233]
	v_add_f64 v[150:151], v[150:151], v[236:237]
	s_waitcnt lgkmcnt(2)
	v_add_f64 v[158:159], v[246:247], -v[158:159]
	v_mul_f64 v[158:159], v[244:245], v[158:159]
	s_waitcnt lgkmcnt(0)
	v_fmac_f64_e32 v[138:139], v[158:159], v[154:155]
	ds_bpermute_b32 v158, v0, v136 offset:24
	ds_bpermute_b32 v159, v0, v137 offset:24
	ds_bpermute_b32 v154, v0, v146 offset:24
	ds_bpermute_b32 v155, v0, v147 offset:24
	v_add_f64 v[150:151], v[150:151], v[224:225]
	v_add_f64 v[150:151], v[150:151], v[228:229]
	s_waitcnt lgkmcnt(2)
	v_add_f64 v[158:159], v[242:243], -v[158:159]
	v_mul_f64 v[158:159], v[232:233], v[158:159]
	;; [unrolled: 11-line block ×5, first 2 shown]
	s_waitcnt lgkmcnt(0)
	v_fmac_f64_e32 v[138:139], v[158:159], v[154:155]
	ds_bpermute_b32 v158, v0, v136 offset:40
	ds_bpermute_b32 v159, v0, v137 offset:40
	;; [unrolled: 1-line block ×4, first 2 shown]
	v_add_f64 v[150:151], v[150:151], v[196:197]
	s_waitcnt lgkmcnt(2)
	v_add_f64 v[158:159], v[226:227], -v[158:159]
	v_mul_f64 v[158:159], v[216:217], v[158:159]
	s_waitcnt lgkmcnt(0)
	v_fmac_f64_e32 v[138:139], v[158:159], v[154:155]
	ds_bpermute_b32 v158, v0, v136 offset:44
	ds_bpermute_b32 v159, v0, v137 offset:44
	ds_bpermute_b32 v154, v0, v146 offset:44
	ds_bpermute_b32 v155, v0, v147 offset:44
	s_waitcnt lgkmcnt(2)
	v_add_f64 v[158:159], v[222:223], -v[158:159]
	v_mul_f64 v[158:159], v[220:221], v[158:159]
	s_waitcnt lgkmcnt(0)
	v_fmac_f64_e32 v[138:139], v[158:159], v[154:155]
	ds_bpermute_b32 v158, v0, v136 offset:48
	ds_bpermute_b32 v159, v0, v137 offset:48
	ds_bpermute_b32 v154, v0, v146 offset:48
	ds_bpermute_b32 v155, v0, v147 offset:48
	;; [unrolled: 9-line block ×7, first 2 shown]
	s_waitcnt lgkmcnt(2)
	v_add_f64 v[142:143], v[142:143], -v[158:159]
	v_mul_f64 v[142:143], v[132:133], v[142:143]
	v_add_f64 v[132:133], v[150:151], v[132:133]
	ds_bpermute_b32 v150, v0, v136 offset:72
	ds_bpermute_b32 v151, v0, v137 offset:72
	s_waitcnt lgkmcnt(2)
	v_fmac_f64_e32 v[138:139], v[142:143], v[154:155]
	ds_bpermute_b32 v142, v0, v146 offset:72
	ds_bpermute_b32 v143, v0, v147 offset:72
	v_accvgpr_read_b32 v155, a21
	s_waitcnt lgkmcnt(2)
	v_add_f64 v[150:151], v[198:199], -v[150:151]
	v_mul_f64 v[150:151], v[188:189], v[150:151]
	v_accvgpr_read_b32 v154, a20
	s_waitcnt lgkmcnt(0)
	v_fmac_f64_e32 v[138:139], v[150:151], v[142:143]
	ds_bpermute_b32 v150, v0, v136 offset:76
	ds_bpermute_b32 v151, v0, v137 offset:76
	ds_bpermute_b32 v142, v0, v146 offset:76
	ds_bpermute_b32 v143, v0, v147 offset:76
	v_add_f64 v[132:133], v[132:133], v[188:189]
	v_add_f64 v[132:133], v[132:133], v[192:193]
	s_waitcnt lgkmcnt(2)
	v_add_f64 v[150:151], v[194:195], -v[150:151]
	v_mul_f64 v[150:151], v[192:193], v[150:151]
	s_waitcnt lgkmcnt(0)
	v_fmac_f64_e32 v[138:139], v[150:151], v[142:143]
	ds_bpermute_b32 v150, v0, v136 offset:80
	ds_bpermute_b32 v151, v0, v137 offset:80
	ds_bpermute_b32 v142, v0, v146 offset:80
	ds_bpermute_b32 v143, v0, v147 offset:80
	v_add_f64 v[132:133], v[132:133], v[180:181]
	v_add_f64 v[132:133], v[132:133], v[184:185]
	s_waitcnt lgkmcnt(2)
	v_add_f64 v[150:151], v[190:191], -v[150:151]
	v_mul_f64 v[150:151], v[180:181], v[150:151]
	;; [unrolled: 11-line block ×6, first 2 shown]
	s_waitcnt lgkmcnt(0)
	v_fmac_f64_e32 v[138:139], v[150:151], v[142:143]
	ds_bpermute_b32 v150, v0, v136 offset:100
	ds_bpermute_b32 v151, v0, v137 offset:100
	ds_bpermute_b32 v142, v0, v146 offset:100
	ds_bpermute_b32 v143, v0, v147 offset:100
	v_accvgpr_read_b32 v155, a19
	v_accvgpr_read_b32 v154, a18
	s_waitcnt lgkmcnt(2)
	v_add_f64 v[150:151], v[154:155], -v[150:151]
	v_mul_f64 v[150:151], v[168:169], v[150:151]
	s_waitcnt lgkmcnt(0)
	v_fmac_f64_e32 v[138:139], v[150:151], v[142:143]
	ds_bpermute_b32 v150, v0, v136 offset:104
	ds_bpermute_b32 v151, v0, v137 offset:104
	ds_bpermute_b32 v142, v0, v146 offset:104
	ds_bpermute_b32 v143, v0, v147 offset:104
	v_accvgpr_read_b32 v155, a17
	v_accvgpr_read_b32 v154, a16
	s_waitcnt lgkmcnt(2)
	v_add_f64 v[150:151], v[154:155], -v[150:151]
	v_mul_f64 v[150:151], v[156:157], v[150:151]
	;; [unrolled: 11-line block ×4, first 2 shown]
	ds_bpermute_b32 v148, v0, v136 offset:116
	ds_bpermute_b32 v149, v0, v137 offset:116
	s_waitcnt lgkmcnt(2)
	v_fmac_f64_e32 v[138:139], v[150:151], v[142:143]
	ds_bpermute_b32 v142, v0, v146 offset:116
	ds_bpermute_b32 v143, v0, v147 offset:116
	v_accvgpr_read_b32 v151, a11
	v_accvgpr_read_b32 v150, a10
	s_waitcnt lgkmcnt(2)
	v_add_f64 v[148:149], v[150:151], -v[148:149]
	v_mul_f64 v[148:149], v[152:153], v[148:149]
	s_waitcnt lgkmcnt(0)
	v_fmac_f64_e32 v[138:139], v[148:149], v[142:143]
	ds_bpermute_b32 v148, v0, v136 offset:120
	ds_bpermute_b32 v149, v0, v137 offset:120
	;; [unrolled: 1-line block ×4, first 2 shown]
	v_accvgpr_read_b32 v151, a9
	v_accvgpr_read_b32 v150, a8
	s_waitcnt lgkmcnt(2)
	v_add_f64 v[148:149], v[150:151], -v[148:149]
	v_mul_f64 v[148:149], v[144:145], v[148:149]
	s_waitcnt lgkmcnt(0)
	v_fmac_f64_e32 v[138:139], v[148:149], v[142:143]
	v_add_f64 v[132:133], v[132:133], v[144:145]
	ds_bpermute_b32 v142, v0, v146 offset:124
	ds_bpermute_b32 v143, v0, v147 offset:124
	;; [unrolled: 1-line block ×4, first 2 shown]
	v_pk_mov_b32 v[136:137], v[138:139], v[138:139] op_sel:[0,1]
.LBB38_143:                             ;   in Loop: Header=BB38_3 Depth=1
	s_waitcnt vmcnt(1)
	v_add_f64 v[132:133], v[132:133], v[140:141]
	v_accvgpr_write_b32 a2, v132
	s_add_u32 s36, s36, s33
	v_accvgpr_write_b32 a3, v133
	s_addc_u32 s37, s37, 0
	v_pk_mov_b32 v[132:133], s[12:13], s[12:13] op_sel:[0,1]
	v_cmp_lt_i64_e32 vcc, s[36:37], v[132:133]
	v_mov_b32_e32 v132, s9
	v_add_co_u32_e64 v2, s[10:11], s33, v2
	v_addc_co_u32_e64 v129, s[10:11], v129, v132, s[10:11]
	v_mov_b32_e32 v132, s35
	v_add_co_u32_e64 v4, s[10:11], s34, v4
	v_addc_co_u32_e64 v1, s[10:11], v1, v132, s[10:11]
	v_add_co_u32_e64 v6, s[10:11], s34, v6
	v_addc_co_u32_e64 v3, s[10:11], v3, v132, s[10:11]
	;; [unrolled: 2-line block ×61, first 2 shown]
	v_add_co_u32_e64 v126, s[10:11], s34, v126
	s_waitcnt vmcnt(0)
	v_accvgpr_read_b32 v139, a7
	v_addc_co_u32_e64 v123, s[10:11], v123, v132, s[10:11]
	v_accvgpr_read_b32 v138, a6
	v_add_co_u32_e64 v128, s[10:11], s34, v128
	s_waitcnt lgkmcnt(0)
	v_add_f64 v[138:139], v[138:139], -v[146:147]
	v_addc_co_u32_e64 v125, s[10:11], v125, v132, s[10:11]
	v_mul_f64 v[138:139], v[140:141], v[138:139]
	v_add_co_u32_e64 v130, s[10:11], s34, v130
	s_add_u32 s30, s30, s33
	v_fmac_f64_e32 v[136:137], v[138:139], v[142:143]
	v_addc_co_u32_e64 v127, s[10:11], v127, v132, s[10:11]
	s_addc_u32 s31, s31, 0
	s_cbranch_vccz .LBB38_227
; %bb.144:                              ;   in Loop: Header=BB38_3 Depth=1
	v_pk_mov_b32 v[138:139], v[136:137], v[136:137] op_sel:[0,1]
	s_branch .LBB38_3
.LBB38_145:
	s_mov_b64 s[26:27], -1
                                        ; implicit-def: $agpr2_agpr3
                                        ; implicit-def: $vgpr136_vgpr137
.LBB38_146:
	s_andn2_b64 vcc, exec, s[26:27]
	s_cbranch_vccnz .LBB38_229
.LBB38_147:
	v_pk_mov_b32 v[136:137], 0, 0
	v_accvgpr_write_b32 a2, v136
	s_and_b64 vcc, exec, s[0:1]
	v_accvgpr_write_b32 a3, v137
	s_cbranch_vccnz .LBB38_229
; %bb.148:
	v_bfe_u32 v128, v132, 10, 10
	s_add_u32 s2, s4, 64
	s_addc_u32 s3, s5, 0
	v_lshlrev_b32_e32 v0, 8, v128
	s_lshl_b64 s[0:1], s[24:25], 3
	v_mov_b32_e32 v1, s1
	v_add_co_u32_e32 v0, vcc, s0, v0
	v_addc_co_u32_e32 v1, vcc, 0, v1, vcc
	v_add_co_u32_e32 v24, vcc, 8, v0
	v_addc_co_u32_e32 v6, vcc, 0, v1, vcc
	;; [unrolled: 2-line block ×8, first 2 shown]
	v_pk_mov_b32 v[2:3], s[16:17], s[16:17] op_sel:[0,1]
	v_add_co_u32_e32 v46, vcc, 64, v0
	v_mad_u64_u32 v[4:5], s[0:1], s14, v24, v[2:3]
	v_mul_lo_u32 v26, s14, v6
	v_mad_u64_u32 v[6:7], s[0:1], s14, v28, v[2:3]
	v_mul_lo_u32 v29, s14, v8
	;; [unrolled: 2-line block ×7, first 2 shown]
	v_mad_u64_u32 v[18:19], s[0:1], s14, v46, v[2:3]
	v_addc_co_u32_e32 v20, vcc, 0, v1, vcc
	s_movk_i32 s0, 0x48
	v_add_co_u32_e32 v49, vcc, s0, v0
	v_mul_lo_u32 v47, s14, v20
	v_mad_u64_u32 v[20:21], s[0:1], s14, v49, v[2:3]
	v_addc_co_u32_e32 v22, vcc, 0, v1, vcc
	s_movk_i32 s0, 0x50
	v_add_co_u32_e32 v52, vcc, s0, v0
	v_mul_lo_u32 v50, s14, v22
	v_addc_co_u32_e32 v25, vcc, 0, v1, vcc
	v_mad_u64_u32 v[22:23], s[0:1], s14, v52, v[2:3]
	v_pk_mov_b32 v[126:127], s[18:19], s[18:19] op_sel:[0,1]
	v_mul_lo_u32 v27, s15, v24
	v_mul_lo_u32 v53, s14, v25
	s_movk_i32 s0, 0x58
	v_mad_u64_u32 v[24:25], s[10:11], s14, v24, v[126:127]
	v_add3_u32 v5, v27, v5, v26
	v_mul_lo_u32 v30, s15, v28
	v_add3_u32 v25, v27, v25, v26
	v_add_co_u32_e32 v55, vcc, s0, v0
	v_mad_u64_u32 v[26:27], s[0:1], s14, v28, v[126:127]
	v_add3_u32 v7, v30, v7, v29
	v_mul_lo_u32 v33, s15, v31
	v_add3_u32 v27, v30, v27, v29
	v_mad_u64_u32 v[28:29], s[0:1], s14, v31, v[126:127]
	v_add3_u32 v9, v33, v9, v32
	v_mul_lo_u32 v36, s15, v34
	v_add3_u32 v29, v33, v29, v32
	v_mad_u64_u32 v[32:33], s[0:1], s14, v34, v[126:127]
	v_add3_u32 v11, v36, v11, v35
	v_mul_lo_u32 v39, s15, v37
	v_mul_lo_u32 v42, s15, v40
	v_addc_co_u32_e32 v56, vcc, 0, v1, vcc
	v_add3_u32 v33, v36, v33, v35
	s_movk_i32 s9, 0x60
	v_mad_u64_u32 v[34:35], s[0:1], s14, v37, v[126:127]
	v_mad_u64_u32 v[36:37], s[0:1], s14, v40, v[126:127]
	v_add3_u32 v15, v42, v15, v41
	v_mul_lo_u32 v48, s15, v46
	v_add3_u32 v37, v42, v37, v41
	v_add_co_u32_e32 v58, vcc, s9, v0
	v_mad_u64_u32 v[40:41], s[0:1], s14, v46, v[126:127]
	v_add3_u32 v19, v48, v19, v47
	v_mul_lo_u32 v54, s15, v52
	v_addc_co_u32_e32 v59, vcc, 0, v1, vcc
	v_add3_u32 v41, v48, v41, v47
	s_movk_i32 s9, 0x68
	v_mad_u64_u32 v[46:47], s[0:1], s14, v52, v[126:127]
	v_add3_u32 v13, v39, v13, v38
	v_mul_lo_u32 v45, s15, v43
	v_add3_u32 v23, v54, v23, v53
	v_add3_u32 v35, v39, v35, v38
	v_mad_u64_u32 v[38:39], s[0:1], s14, v43, v[126:127]
	v_add3_u32 v47, v54, v47, v53
	v_add_co_u32_e32 v54, vcc, s9, v0
	v_add3_u32 v17, v45, v17, v44
	v_mul_lo_u32 v51, s15, v49
	v_mad_u64_u32 v[30:31], s[0:1], s14, v55, v[2:3]
	v_mul_lo_u32 v56, s14, v56
	v_mul_lo_u32 v57, s15, v55
	v_add3_u32 v39, v45, v39, v44
	v_mad_u64_u32 v[44:45], s[0:1], s14, v49, v[126:127]
	v_mad_u64_u32 v[48:49], s[0:1], s14, v55, v[126:127]
	v_addc_co_u32_e32 v55, vcc, 0, v1, vcc
	v_add3_u32 v21, v51, v21, v50
	v_add3_u32 v31, v57, v31, v56
	v_mad_u64_u32 v[42:43], s[0:1], s14, v58, v[2:3]
	v_add3_u32 v45, v51, v45, v50
	v_add3_u32 v49, v57, v49, v56
	v_mad_u64_u32 v[50:51], s[0:1], s14, v58, v[126:127]
	v_mad_u64_u32 v[52:53], s[0:1], s14, v54, v[2:3]
	v_mul_lo_u32 v56, s14, v55
	v_mul_lo_u32 v57, s15, v54
	v_mad_u64_u32 v[54:55], s[0:1], s14, v54, v[126:127]
	s_movk_i32 s0, 0x70
	v_mul_lo_u32 v60, s15, v58
	v_add_co_u32_e32 v58, vcc, s0, v0
	v_mul_lo_u32 v59, s14, v59
	v_add3_u32 v53, v57, v53, v56
	v_add3_u32 v55, v57, v55, v56
	v_addc_co_u32_e32 v56, vcc, 0, v1, vcc
	v_add3_u32 v43, v60, v43, v59
	v_add3_u32 v51, v60, v51, v59
	v_mul_lo_u32 v60, s14, v56
	v_mul_lo_u32 v61, s15, v58
	v_mad_u64_u32 v[56:57], s[0:1], s14, v58, v[2:3]
	v_mad_u64_u32 v[58:59], s[0:1], s14, v58, v[126:127]
	s_movk_i32 s0, 0x78
	v_add_co_u32_e32 v62, vcc, s0, v0
	v_add3_u32 v57, v61, v57, v60
	v_add3_u32 v59, v61, v59, v60
	v_addc_co_u32_e32 v60, vcc, 0, v1, vcc
	v_mul_lo_u32 v64, s14, v60
	v_mul_lo_u32 v65, s15, v62
	v_mad_u64_u32 v[60:61], s[0:1], s14, v62, v[2:3]
	v_mad_u64_u32 v[62:63], s[0:1], s14, v62, v[126:127]
	s_movk_i32 s0, 0x80
	v_add_co_u32_e32 v66, vcc, s0, v0
	v_add3_u32 v61, v65, v61, v64
	v_add3_u32 v63, v65, v63, v64
	v_addc_co_u32_e32 v64, vcc, 0, v1, vcc
	;; [unrolled: 9-line block ×16, first 2 shown]
	v_mul_lo_u32 v124, s14, v120
	v_mul_lo_u32 v125, s15, v122
	v_mad_u64_u32 v[120:121], s[0:1], s14, v122, v[2:3]
	v_mad_u64_u32 v[122:123], s[0:1], s14, v122, v[126:127]
	s_movk_i32 s0, 0xf8
	v_add_co_u32_e32 v0, vcc, s0, v0
	v_addc_co_u32_e32 v1, vcc, 0, v1, vcc
	v_add3_u32 v121, v125, v121, v124
	v_add3_u32 v123, v125, v123, v124
	v_mad_u64_u32 v[124:125], s[0:1], s14, v0, v[2:3]
	v_mul_lo_u32 v1, s14, v1
	v_mad_u64_u32 v[126:127], s[0:1], s14, v0, v[126:127]
	v_mul_lo_u32 v0, s15, v0
	v_accvgpr_write_b32 a1, v128
	v_lshlrev_b32_e32 v128, 5, v128
	v_add3_u32 v125, v0, v125, v1
	v_add3_u32 v127, v0, v127, v1
	v_mov_b32_e32 v1, s25
	v_add_co_u32_e32 v0, vcc, s24, v128
	v_addc_co_u32_e32 v1, vcc, 0, v1, vcc
	v_add_co_u32_e32 v2, vcc, 31, v0
	v_addc_co_u32_e32 v3, vcc, 0, v1, vcc
	v_mul_lo_u32 v129, s14, v3
	v_mul_lo_u32 v130, s15, v2
	v_mad_u64_u32 v[2:3], s[0:1], s14, v2, 0
	v_add3_u32 v3, v3, v129, v130
	v_add_co_u32_e32 v129, vcc, 30, v0
	v_addc_co_u32_e32 v130, vcc, 0, v1, vcc
	v_mul_lo_u32 v130, s14, v130
	v_mul_lo_u32 v131, s15, v129
	v_mad_u64_u32 v[134:135], s[0:1], s14, v129, 0
	v_add_co_u32_e32 v129, vcc, 29, v0
	v_add3_u32 v135, v135, v130, v131
	v_addc_co_u32_e32 v130, vcc, 0, v1, vcc
	v_mul_lo_u32 v130, s14, v130
	v_mul_lo_u32 v131, s15, v129
	v_mad_u64_u32 v[136:137], s[0:1], s14, v129, 0
	v_add_co_u32_e32 v129, vcc, 28, v0
	v_add3_u32 v137, v137, v130, v131
	;; [unrolled: 6-line block ×28, first 2 shown]
	v_addc_co_u32_e32 v130, vcc, 0, v1, vcc
	v_mul_lo_u32 v130, s14, v130
	v_mul_lo_u32 v131, s15, v129
	v_mad_u64_u32 v[190:191], s[0:1], s14, v129, 0
	v_add3_u32 v191, v191, v130, v131
	v_pk_mov_b32 v[130:131], s[14:15], s[14:15] op_sel:[0,1]
	v_mul_lo_u32 v129, s14, v1
	v_mad_u64_u32 v[192:193], s[0:1], s14, v0, v[130:131]
	v_mul_lo_u32 v130, s15, v0
	v_mad_u64_u32 v[0:1], s[0:1], s14, v0, 0
	v_add3_u32 v1, v1, v129, v130
	v_mov_b32_e32 v195, v132
	v_lshlrev_b64 v[132:133], 3, v[0:1]
	v_add3_u32 v193, v130, v193, v129
	v_mov_b32_e32 v0, s17
	v_add_co_u32_e32 v130, vcc, s16, v132
	v_addc_co_u32_e32 v1, vcc, v0, v133, vcc
	v_mov_b32_e32 v194, s19
	v_add_co_u32_e32 v132, vcc, s18, v132
	v_addc_co_u32_e32 v129, vcc, v194, v133, vcc
	v_lshlrev_b64 v[2:3], 3, v[2:3]
	v_add_co_u32_e32 v196, vcc, s16, v2
	v_addc_co_u32_e32 v131, vcc, v0, v3, vcc
	v_add_co_u32_e32 v2, vcc, s18, v2
	v_accvgpr_write_b32 a6, v2
	v_addc_co_u32_e32 v133, vcc, v194, v3, vcc
	v_lshlrev_b64 v[2:3], 3, v[134:135]
	v_add_co_u32_e32 v134, vcc, s16, v2
	v_addc_co_u32_e32 v135, vcc, v0, v3, vcc
	v_add_co_u32_e32 v2, vcc, s18, v2
	v_addc_co_u32_e32 v3, vcc, v194, v3, vcc
	v_accvgpr_write_b32 a10, v2
	v_accvgpr_write_b32 a7, v3
	v_lshlrev_b64 v[2:3], 3, v[136:137]
	v_accvgpr_write_b32 a8, v134
	v_add_co_u32_e32 v134, vcc, s16, v2
	v_accvgpr_write_b32 a5, v135
	v_addc_co_u32_e32 v135, vcc, v0, v3, vcc
	v_add_co_u32_e32 v2, vcc, s18, v2
	v_addc_co_u32_e32 v3, vcc, v194, v3, vcc
	v_accvgpr_write_b32 a14, v2
	v_accvgpr_write_b32 a11, v3
	v_lshlrev_b64 v[2:3], 3, v[138:139]
	v_accvgpr_write_b32 a12, v134
	v_add_co_u32_e32 v134, vcc, s16, v2
	v_accvgpr_write_b32 a9, v135
	;; [unrolled: 9-line block ×28, first 2 shown]
	v_addc_co_u32_e32 v135, vcc, v0, v3, vcc
	v_add_co_u32_e32 v252, vcc, s18, v2
	v_addc_co_u32_e32 v3, vcc, v194, v3, vcc
	v_accvgpr_write_b32 a119, v3
	v_lshlrev_b64 v[2:3], 3, v[192:193]
	s_load_dword s0, s[4:5], 0x44
	v_accvgpr_write_b32 a120, v134
	v_add_co_u32_e32 v134, vcc, s16, v2
	v_accvgpr_write_b32 a117, v135
	v_addc_co_u32_e32 v135, vcc, v0, v3, vcc
	v_add_co_u32_e32 v0, vcc, s18, v2
	v_accvgpr_write_b32 a124, v0
	v_and_b32_e32 v0, 0x3ff, v195
	v_accvgpr_write_b32 a125, v0
	v_add_u32_e32 v2, s7, v0
	s_waitcnt lgkmcnt(0)
	s_lshl_b32 s7, s0, 5
	v_mbcnt_lo_u32_b32 v0, -1, 0
	v_addc_co_u32_e32 v3, vcc, v194, v3, vcc
	s_mul_i32 s0, s15, s7
	s_mul_hi_u32 s1, s14, s7
	v_mbcnt_hi_u32_b32 v0, -1, v0
	v_pk_mov_b32 v[138:139], 0, 0
	v_accvgpr_write_b32 a123, v3
	v_mov_b32_e32 v3, 0
	s_add_i32 s1, s1, s0
	s_mul_i32 s0, s14, s7
	v_lshlrev_b32_e32 v0, 2, v0
	v_accvgpr_write_b32 a2, v138
	v_accvgpr_write_b32 a4, v196
	;; [unrolled: 1-line block ×4, first 2 shown]
	s_mov_b32 s9, 0
	v_accvgpr_write_b32 a0, v195
	s_lshl_b64 s[10:11], s[0:1], 3
	s_mov_b64 s[16:17], 31
	v_and_b32_e32 v0, 0x100, v0
	s_mov_b64 s[18:19], s[24:25]
	v_mov_b32_e32 v253, v3
	v_accvgpr_write_b32 a127, v3
	v_lshlrev_b64 v[134:135], 3, v[2:3]
	v_accvgpr_write_b32 a3, v139
.LBB38_149:                             ; =>This Inner Loop Header: Depth=1
	s_add_u32 s0, s24, s16
	s_addc_u32 s1, 0, s17
	v_pk_mov_b32 v[2:3], s[12:13], s[12:13] op_sel:[0,1]
	v_cmp_ge_i64_e32 vcc, s[0:1], v[2:3]
	v_mov_b32_e32 v2, s25
	v_add_co_u32_e64 v140, s[0:1], s24, v128
	v_addc_co_u32_e64 v141, s[0:1], v2, v253, s[0:1]
	s_cbranch_vccz .LBB38_219
; %bb.150:                              ;   in Loop: Header=BB38_149 Depth=1
	s_load_dword s0, s[2:3], 0xc
	v_accvgpr_read_b32 v2, a1
	v_accvgpr_read_b32 v3, a125
	v_pk_mov_b32 v[240:241], 0, 0
	v_pk_mov_b32 v[144:145], v[240:241], v[240:241] op_sel:[0,1]
	s_waitcnt lgkmcnt(0)
	s_and_b32 s0, s0, 0xffff
	v_mad_u32_u24 v2, v2, s0, v3
	v_and_b32_e32 v2, 63, v2
	v_cmp_gt_u32_e32 vcc, 32, v2
	v_pk_mov_b32 v[142:143], v[240:241], v[240:241] op_sel:[0,1]
	s_and_saveexec_b64 s[0:1], vcc
	s_cbranch_execz .LBB38_154
; %bb.151:                              ;   in Loop: Header=BB38_149 Depth=1
	v_add_co_u32_e32 v2, vcc, v140, v2
	v_addc_co_u32_e32 v3, vcc, 0, v141, vcc
	v_pk_mov_b32 v[142:143], 0, 0
	v_cmp_gt_i64_e32 vcc, s[12:13], v[2:3]
	v_pk_mov_b32 v[144:145], v[142:143], v[142:143] op_sel:[0,1]
	s_and_saveexec_b64 s[26:27], vcc
	s_cbranch_execz .LBB38_153
; %bb.152:                              ;   in Loop: Header=BB38_149 Depth=1
	v_lshlrev_b64 v[2:3], 3, v[2:3]
	v_mov_b32_e32 v137, s23
	v_add_co_u32_e32 v136, vcc, s22, v2
	v_addc_co_u32_e32 v137, vcc, v137, v3, vcc
	v_mov_b32_e32 v142, s21
	v_add_co_u32_e32 v2, vcc, s20, v2
	v_addc_co_u32_e32 v3, vcc, v142, v3, vcc
	global_load_dwordx2 v[142:143], v[2:3], off
	global_load_dwordx2 v[144:145], v[136:137], off
.LBB38_153:                             ;   in Loop: Header=BB38_149 Depth=1
	s_or_b64 exec, exec, s[26:27]
.LBB38_154:                             ;   in Loop: Header=BB38_149 Depth=1
	s_or_b64 exec, exec, s[0:1]
	v_cmp_gt_i64_e32 vcc, s[12:13], v[140:141]
	v_pk_mov_b32 v[136:137], v[240:241], v[240:241] op_sel:[0,1]
	s_and_saveexec_b64 s[0:1], vcc
	s_cbranch_execz .LBB38_156
; %bb.155:                              ;   in Loop: Header=BB38_149 Depth=1
	v_add_co_u32_e32 v2, vcc, v130, v134
	v_addc_co_u32_e32 v3, vcc, v1, v135, vcc
	global_load_dwordx2 v[240:241], v[2:3], off
	v_add_co_u32_e32 v2, vcc, v132, v134
	v_addc_co_u32_e32 v3, vcc, v129, v135, vcc
	global_load_dwordx2 v[136:137], v[2:3], off
.LBB38_156:                             ;   in Loop: Header=BB38_149 Depth=1
	s_or_b64 exec, exec, s[0:1]
	v_add_co_u32_e32 v2, vcc, 1, v140
	v_addc_co_u32_e32 v3, vcc, 0, v141, vcc
	v_pk_mov_b32 v[236:237], 0, 0
	v_cmp_gt_i64_e32 vcc, s[12:13], v[2:3]
	v_pk_mov_b32 v[250:251], v[236:237], v[236:237] op_sel:[0,1]
	v_pk_mov_b32 v[178:179], v[236:237], v[236:237] op_sel:[0,1]
	s_and_saveexec_b64 s[0:1], vcc
	s_cbranch_execz .LBB38_158
; %bb.157:                              ;   in Loop: Header=BB38_149 Depth=1
	v_accvgpr_read_b32 v2, a122
	v_add_co_u32_e32 v2, vcc, v2, v134
	v_accvgpr_read_b32 v3, a121
	v_addc_co_u32_e32 v3, vcc, v3, v135, vcc
	global_load_dwordx2 v[250:251], v[2:3], off
	v_accvgpr_read_b32 v2, a124
	v_add_co_u32_e32 v2, vcc, v2, v134
	v_accvgpr_read_b32 v3, a123
	v_addc_co_u32_e32 v3, vcc, v3, v135, vcc
	global_load_dwordx2 v[178:179], v[2:3], off
.LBB38_158:                             ;   in Loop: Header=BB38_149 Depth=1
	s_or_b64 exec, exec, s[0:1]
	v_add_co_u32_e32 v2, vcc, 2, v140
	v_addc_co_u32_e32 v3, vcc, 0, v141, vcc
	v_cmp_gt_i64_e32 vcc, s[12:13], v[2:3]
	v_pk_mov_b32 v[2:3], v[236:237], v[236:237] op_sel:[0,1]
	s_and_saveexec_b64 s[0:1], vcc
	s_cbranch_execz .LBB38_160
; %bb.159:                              ;   in Loop: Header=BB38_149 Depth=1
	v_accvgpr_read_b32 v2, a120
	v_add_co_u32_e32 v2, vcc, v2, v134
	v_accvgpr_read_b32 v3, a117
	v_addc_co_u32_e32 v3, vcc, v3, v135, vcc
	global_load_dwordx2 v[236:237], v[2:3], off
	v_add_co_u32_e32 v2, vcc, v252, v134
	v_accvgpr_read_b32 v3, a119
	v_addc_co_u32_e32 v3, vcc, v3, v135, vcc
	global_load_dwordx2 v[2:3], v[2:3], off
.LBB38_160:                             ;   in Loop: Header=BB38_149 Depth=1
	s_or_b64 exec, exec, s[0:1]
	v_add_co_u32_e32 v146, vcc, 3, v140
	v_addc_co_u32_e32 v147, vcc, 0, v141, vcc
	v_pk_mov_b32 v[228:229], 0, 0
	v_cmp_gt_i64_e32 vcc, s[12:13], v[146:147]
	v_pk_mov_b32 v[248:249], v[228:229], v[228:229] op_sel:[0,1]
	v_pk_mov_b32 v[254:255], v[228:229], v[228:229] op_sel:[0,1]
	s_and_saveexec_b64 s[0:1], vcc
	s_cbranch_execz .LBB38_162
; %bb.161:                              ;   in Loop: Header=BB38_149 Depth=1
	v_accvgpr_read_b32 v146, a116
	v_add_co_u32_e32 v146, vcc, v146, v134
	v_accvgpr_read_b32 v147, a113
	v_addc_co_u32_e32 v147, vcc, v147, v135, vcc
	global_load_dwordx2 v[248:249], v[146:147], off
	v_accvgpr_read_b32 v146, a118
	v_add_co_u32_e32 v146, vcc, v146, v134
	v_accvgpr_read_b32 v147, a115
	v_addc_co_u32_e32 v147, vcc, v147, v135, vcc
	global_load_dwordx2 v[254:255], v[146:147], off
.LBB38_162:                             ;   in Loop: Header=BB38_149 Depth=1
	s_or_b64 exec, exec, s[0:1]
	v_add_co_u32_e32 v146, vcc, 4, v140
	v_addc_co_u32_e32 v147, vcc, 0, v141, vcc
	v_cmp_gt_i64_e32 vcc, s[12:13], v[146:147]
	v_pk_mov_b32 v[174:175], v[228:229], v[228:229] op_sel:[0,1]
	s_and_saveexec_b64 s[0:1], vcc
	s_cbranch_execz .LBB38_164
; %bb.163:                              ;   in Loop: Header=BB38_149 Depth=1
	v_accvgpr_read_b32 v146, a112
	v_add_co_u32_e32 v146, vcc, v146, v134
	v_accvgpr_read_b32 v147, a109
	v_addc_co_u32_e32 v147, vcc, v147, v135, vcc
	global_load_dwordx2 v[228:229], v[146:147], off
	v_accvgpr_read_b32 v146, a114
	v_add_co_u32_e32 v146, vcc, v146, v134
	v_accvgpr_read_b32 v147, a111
	v_addc_co_u32_e32 v147, vcc, v147, v135, vcc
	global_load_dwordx2 v[174:175], v[146:147], off
.LBB38_164:                             ;   in Loop: Header=BB38_149 Depth=1
	s_or_b64 exec, exec, s[0:1]
	v_add_co_u32_e32 v146, vcc, 5, v140
	v_addc_co_u32_e32 v147, vcc, 0, v141, vcc
	v_pk_mov_b32 v[172:173], 0, 0
	v_cmp_gt_i64_e32 vcc, s[12:13], v[146:147]
	v_pk_mov_b32 v[242:243], v[172:173], v[172:173] op_sel:[0,1]
	v_pk_mov_b32 v[246:247], v[172:173], v[172:173] op_sel:[0,1]
	s_and_saveexec_b64 s[0:1], vcc
	s_cbranch_execz .LBB38_166
; %bb.165:                              ;   in Loop: Header=BB38_149 Depth=1
	v_accvgpr_read_b32 v146, a108
	v_add_co_u32_e32 v146, vcc, v146, v134
	v_accvgpr_read_b32 v147, a105
	v_addc_co_u32_e32 v147, vcc, v147, v135, vcc
	global_load_dwordx2 v[242:243], v[146:147], off
	v_accvgpr_read_b32 v146, a110
	v_add_co_u32_e32 v146, vcc, v146, v134
	v_accvgpr_read_b32 v147, a107
	v_addc_co_u32_e32 v147, vcc, v147, v135, vcc
	global_load_dwordx2 v[246:247], v[146:147], off
.LBB38_166:                             ;   in Loop: Header=BB38_149 Depth=1
	s_or_b64 exec, exec, s[0:1]
	v_add_co_u32_e32 v146, vcc, 6, v140
	v_addc_co_u32_e32 v147, vcc, 0, v141, vcc
	v_cmp_gt_i64_e32 vcc, s[12:13], v[146:147]
	v_pk_mov_b32 v[244:245], v[172:173], v[172:173] op_sel:[0,1]
	s_and_saveexec_b64 s[0:1], vcc
	s_cbranch_execz .LBB38_168
; %bb.167:                              ;   in Loop: Header=BB38_149 Depth=1
	v_accvgpr_read_b32 v146, a104
	v_add_co_u32_e32 v146, vcc, v146, v134
	v_accvgpr_read_b32 v147, a101
	v_addc_co_u32_e32 v147, vcc, v147, v135, vcc
	global_load_dwordx2 v[172:173], v[146:147], off
	v_accvgpr_read_b32 v146, a106
	v_add_co_u32_e32 v146, vcc, v146, v134
	v_accvgpr_read_b32 v147, a103
	v_addc_co_u32_e32 v147, vcc, v147, v135, vcc
	global_load_dwordx2 v[244:245], v[146:147], off
.LBB38_168:                             ;   in Loop: Header=BB38_149 Depth=1
	;; [unrolled: 40-line block ×9, first 2 shown]
	s_or_b64 exec, exec, s[0:1]
	v_add_co_u32_e32 v146, vcc, 21, v140
	v_pk_mov_b32 v[162:163], 0, 0
	v_addc_co_u32_e32 v147, vcc, 0, v141, vcc
	v_accvgpr_write_b32 a146, v162
	v_cmp_gt_i64_e32 vcc, s[12:13], v[146:147]
	v_pk_mov_b32 v[180:181], v[162:163], v[162:163] op_sel:[0,1]
	v_accvgpr_write_b32 a147, v163
	s_and_saveexec_b64 s[0:1], vcc
	s_cbranch_execz .LBB38_198
; %bb.197:                              ;   in Loop: Header=BB38_149 Depth=1
	v_accvgpr_read_b32 v146, a44
	v_add_co_u32_e32 v146, vcc, v146, v134
	v_accvgpr_read_b32 v147, a41
	v_addc_co_u32_e32 v147, vcc, v147, v135, vcc
	global_load_dwordx2 v[180:181], v[146:147], off
	v_accvgpr_read_b32 v146, a46
	v_add_co_u32_e32 v146, vcc, v146, v134
	v_accvgpr_read_b32 v147, a43
	v_addc_co_u32_e32 v147, vcc, v147, v135, vcc
	global_load_dwordx2 a[146:147], v[146:147], off
.LBB38_198:                             ;   in Loop: Header=BB38_149 Depth=1
	s_or_b64 exec, exec, s[0:1]
	v_add_co_u32_e32 v146, vcc, 22, v140
	v_addc_co_u32_e32 v147, vcc, 0, v141, vcc
	v_accvgpr_write_b32 a144, v162
	v_cmp_gt_i64_e32 vcc, s[12:13], v[146:147]
	v_accvgpr_write_b32 a145, v163
	s_and_saveexec_b64 s[0:1], vcc
	s_cbranch_execz .LBB38_200
; %bb.199:                              ;   in Loop: Header=BB38_149 Depth=1
	v_accvgpr_read_b32 v146, a40
	v_add_co_u32_e32 v146, vcc, v146, v134
	v_accvgpr_read_b32 v147, a37
	v_addc_co_u32_e32 v147, vcc, v147, v135, vcc
	global_load_dwordx2 v[162:163], v[146:147], off
	v_accvgpr_read_b32 v146, a42
	v_add_co_u32_e32 v146, vcc, v146, v134
	v_accvgpr_read_b32 v147, a39
	v_addc_co_u32_e32 v147, vcc, v147, v135, vcc
	global_load_dwordx2 a[144:145], v[146:147], off
.LBB38_200:                             ;   in Loop: Header=BB38_149 Depth=1
	s_or_b64 exec, exec, s[0:1]
	v_add_co_u32_e32 v146, vcc, 23, v140
	v_pk_mov_b32 v[158:159], 0, 0
	v_addc_co_u32_e32 v147, vcc, 0, v141, vcc
	v_accvgpr_write_b32 a142, v158
	v_cmp_gt_i64_e32 vcc, s[12:13], v[146:147]
	v_pk_mov_b32 v[164:165], v[158:159], v[158:159] op_sel:[0,1]
	v_accvgpr_write_b32 a143, v159
	s_and_saveexec_b64 s[0:1], vcc
	s_cbranch_execz .LBB38_202
; %bb.201:                              ;   in Loop: Header=BB38_149 Depth=1
	v_accvgpr_read_b32 v146, a36
	v_add_co_u32_e32 v146, vcc, v146, v134
	v_accvgpr_read_b32 v147, a33
	v_addc_co_u32_e32 v147, vcc, v147, v135, vcc
	global_load_dwordx2 v[164:165], v[146:147], off
	v_accvgpr_read_b32 v146, a38
	v_add_co_u32_e32 v146, vcc, v146, v134
	v_accvgpr_read_b32 v147, a35
	v_addc_co_u32_e32 v147, vcc, v147, v135, vcc
	global_load_dwordx2 a[142:143], v[146:147], off
.LBB38_202:                             ;   in Loop: Header=BB38_149 Depth=1
	s_or_b64 exec, exec, s[0:1]
	v_add_co_u32_e32 v146, vcc, 24, v140
	v_addc_co_u32_e32 v147, vcc, 0, v141, vcc
	v_accvgpr_write_b32 a140, v158
	v_cmp_gt_i64_e32 vcc, s[12:13], v[146:147]
	v_accvgpr_write_b32 a141, v159
	s_and_saveexec_b64 s[0:1], vcc
	s_cbranch_execz .LBB38_204
; %bb.203:                              ;   in Loop: Header=BB38_149 Depth=1
	v_accvgpr_read_b32 v146, a32
	v_add_co_u32_e32 v146, vcc, v146, v134
	v_accvgpr_read_b32 v147, a29
	v_addc_co_u32_e32 v147, vcc, v147, v135, vcc
	global_load_dwordx2 v[158:159], v[146:147], off
	v_accvgpr_read_b32 v146, a34
	v_add_co_u32_e32 v146, vcc, v146, v134
	v_accvgpr_read_b32 v147, a31
	v_addc_co_u32_e32 v147, vcc, v147, v135, vcc
	global_load_dwordx2 a[140:141], v[146:147], off
.LBB38_204:                             ;   in Loop: Header=BB38_149 Depth=1
	;; [unrolled: 42-line block ×3, first 2 shown]
	s_or_b64 exec, exec, s[0:1]
	v_add_co_u32_e32 v146, vcc, 27, v140
	v_addc_co_u32_e32 v147, vcc, 0, v141, vcc
	v_pk_mov_b32 v[150:151], 0, 0
	v_cmp_gt_i64_e32 vcc, s[12:13], v[146:147]
	v_pk_mov_b32 v[160:161], v[150:151], v[150:151] op_sel:[0,1]
	v_pk_mov_b32 v[186:187], v[150:151], v[150:151] op_sel:[0,1]
	s_and_saveexec_b64 s[0:1], vcc
	s_cbranch_execz .LBB38_210
; %bb.209:                              ;   in Loop: Header=BB38_149 Depth=1
	v_accvgpr_read_b32 v146, a20
	v_add_co_u32_e32 v146, vcc, v146, v134
	v_accvgpr_read_b32 v147, a17
	v_addc_co_u32_e32 v147, vcc, v147, v135, vcc
	global_load_dwordx2 v[160:161], v[146:147], off
	v_accvgpr_read_b32 v146, a22
	v_add_co_u32_e32 v146, vcc, v146, v134
	v_accvgpr_read_b32 v147, a19
	v_addc_co_u32_e32 v147, vcc, v147, v135, vcc
	global_load_dwordx2 v[186:187], v[146:147], off
.LBB38_210:                             ;   in Loop: Header=BB38_149 Depth=1
	s_or_b64 exec, exec, s[0:1]
	v_add_co_u32_e32 v146, vcc, 28, v140
	v_addc_co_u32_e32 v147, vcc, 0, v141, vcc
	v_cmp_gt_i64_e32 vcc, s[12:13], v[146:147]
	v_pk_mov_b32 v[182:183], v[150:151], v[150:151] op_sel:[0,1]
	s_and_saveexec_b64 s[0:1], vcc
	s_cbranch_execz .LBB38_212
; %bb.211:                              ;   in Loop: Header=BB38_149 Depth=1
	v_accvgpr_read_b32 v146, a16
	v_add_co_u32_e32 v146, vcc, v146, v134
	v_accvgpr_read_b32 v147, a13
	v_addc_co_u32_e32 v147, vcc, v147, v135, vcc
	global_load_dwordx2 v[150:151], v[146:147], off
	v_accvgpr_read_b32 v146, a18
	v_add_co_u32_e32 v146, vcc, v146, v134
	v_accvgpr_read_b32 v147, a15
	v_addc_co_u32_e32 v147, vcc, v147, v135, vcc
	global_load_dwordx2 v[182:183], v[146:147], off
.LBB38_212:                             ;   in Loop: Header=BB38_149 Depth=1
	s_or_b64 exec, exec, s[0:1]
	v_add_co_u32_e32 v146, vcc, 29, v140
	v_addc_co_u32_e32 v147, vcc, 0, v141, vcc
	v_pk_mov_b32 v[152:153], 0, 0
	v_cmp_gt_i64_e32 vcc, s[12:13], v[146:147]
	v_pk_mov_b32 v[156:157], v[152:153], v[152:153] op_sel:[0,1]
	v_pk_mov_b32 v[148:149], v[152:153], v[152:153] op_sel:[0,1]
	s_and_saveexec_b64 s[0:1], vcc
	s_cbranch_execz .LBB38_214
; %bb.213:                              ;   in Loop: Header=BB38_149 Depth=1
	v_accvgpr_read_b32 v146, a12
	v_add_co_u32_e32 v146, vcc, v146, v134
	v_accvgpr_read_b32 v147, a9
	v_addc_co_u32_e32 v147, vcc, v147, v135, vcc
	global_load_dwordx2 v[156:157], v[146:147], off
	v_accvgpr_read_b32 v146, a14
	v_add_co_u32_e32 v146, vcc, v146, v134
	v_accvgpr_read_b32 v147, a11
	v_addc_co_u32_e32 v147, vcc, v147, v135, vcc
	global_load_dwordx2 v[148:149], v[146:147], off
.LBB38_214:                             ;   in Loop: Header=BB38_149 Depth=1
	s_or_b64 exec, exec, s[0:1]
	v_add_co_u32_e32 v146, vcc, 30, v140
	v_addc_co_u32_e32 v147, vcc, 0, v141, vcc
	v_accvgpr_write_b32 a134, v152
	v_cmp_gt_i64_e32 vcc, s[12:13], v[146:147]
	v_accvgpr_write_b32 a135, v153
	s_and_saveexec_b64 s[0:1], vcc
	s_cbranch_execz .LBB38_216
; %bb.215:                              ;   in Loop: Header=BB38_149 Depth=1
	v_accvgpr_read_b32 v146, a8
	v_add_co_u32_e32 v146, vcc, v146, v134
	v_accvgpr_read_b32 v147, a5
	v_addc_co_u32_e32 v147, vcc, v147, v135, vcc
	global_load_dwordx2 v[152:153], v[146:147], off
	v_accvgpr_read_b32 v146, a10
	v_add_co_u32_e32 v146, vcc, v146, v134
	v_accvgpr_read_b32 v147, a7
	v_addc_co_u32_e32 v147, vcc, v147, v135, vcc
	global_load_dwordx2 a[134:135], v[146:147], off
.LBB38_216:                             ;   in Loop: Header=BB38_149 Depth=1
	s_or_b64 exec, exec, s[0:1]
	v_add_co_u32_e32 v146, vcc, 31, v140
	v_addc_co_u32_e32 v147, vcc, 0, v141, vcc
	s_waitcnt vmcnt(0)
	v_accvgpr_write_b32 a132, v186
	v_accvgpr_write_b32 a130, v182
	v_accvgpr_write_b32 a128, v148
	v_cmp_gt_i64_e32 vcc, s[12:13], v[146:147]
	v_pk_mov_b32 v[146:147], 0, 0
	v_accvgpr_write_b32 a133, v187
	v_accvgpr_write_b32 a131, v183
	;; [unrolled: 1-line block ×3, first 2 shown]
	s_mov_b64 s[0:1], 0
	v_pk_mov_b32 v[148:149], v[146:147], v[146:147] op_sel:[0,1]
	s_and_saveexec_b64 s[26:27], vcc
	s_cbranch_execz .LBB38_218
; %bb.217:                              ;   in Loop: Header=BB38_149 Depth=1
	v_accvgpr_read_b32 v146, a4
	v_add_co_u32_e32 v146, vcc, v146, v134
	v_addc_co_u32_e32 v147, vcc, v131, v135, vcc
	v_accvgpr_read_b32 v148, a6
	v_add_co_u32_e32 v148, vcc, v148, v134
	v_addc_co_u32_e32 v149, vcc, v133, v135, vcc
	global_load_dwordx2 v[146:147], v[146:147], off
	s_nop 0
	global_load_dwordx2 v[148:149], v[148:149], off
.LBB38_218:                             ;   in Loop: Header=BB38_149 Depth=1
	s_or_b64 exec, exec, s[26:27]
	ds_bpermute_b32 v186, v0, v142
	ds_bpermute_b32 v187, v0, v143
	;; [unrolled: 1-line block ×4, first 2 shown]
	s_waitcnt lgkmcnt(2)
	v_add_f64 v[136:137], v[136:137], -v[186:187]
	v_mul_f64 v[136:137], v[240:241], v[136:137]
	s_waitcnt lgkmcnt(0)
	v_fma_f64 v[136:137], v[136:137], v[182:183], v[138:139]
	v_accvgpr_read_b32 v183, a3
	v_accvgpr_read_b32 v182, a2
	v_add_f64 v[182:183], v[182:183], v[240:241]
	ds_bpermute_b32 v240, v0, v142 offset:4
	ds_bpermute_b32 v241, v0, v143 offset:4
	;; [unrolled: 1-line block ×4, first 2 shown]
	s_waitcnt lgkmcnt(2)
	v_add_f64 v[178:179], v[178:179], -v[240:241]
	v_mul_f64 v[178:179], v[250:251], v[178:179]
	s_waitcnt lgkmcnt(0)
	v_fmac_f64_e32 v[136:137], v[178:179], v[186:187]
	ds_bpermute_b32 v186, v0, v142 offset:8
	ds_bpermute_b32 v187, v0, v143 offset:8
	v_add_f64 v[178:179], v[182:183], v[250:251]
	ds_bpermute_b32 v182, v0, v144 offset:8
	ds_bpermute_b32 v183, v0, v145 offset:8
	s_waitcnt lgkmcnt(2)
	v_add_f64 v[2:3], v[2:3], -v[186:187]
	v_mul_f64 v[2:3], v[236:237], v[2:3]
	s_waitcnt lgkmcnt(0)
	v_fmac_f64_e32 v[136:137], v[2:3], v[182:183]
	ds_bpermute_b32 v182, v0, v142 offset:12
	ds_bpermute_b32 v183, v0, v143 offset:12
	v_add_f64 v[2:3], v[178:179], v[236:237]
	ds_bpermute_b32 v178, v0, v144 offset:12
	ds_bpermute_b32 v179, v0, v145 offset:12
	v_add_f64 v[2:3], v[2:3], v[248:249]
	s_waitcnt lgkmcnt(2)
	v_add_f64 v[182:183], v[254:255], -v[182:183]
	v_mul_f64 v[182:183], v[248:249], v[182:183]
	v_add_f64 v[2:3], v[2:3], v[228:229]
	s_waitcnt lgkmcnt(0)
	v_fmac_f64_e32 v[136:137], v[182:183], v[178:179]
	ds_bpermute_b32 v182, v0, v142 offset:16
	ds_bpermute_b32 v183, v0, v143 offset:16
	ds_bpermute_b32 v178, v0, v144 offset:16
	ds_bpermute_b32 v179, v0, v145 offset:16
	v_add_f64 v[2:3], v[2:3], v[242:243]
	v_add_f64 v[2:3], v[2:3], v[172:173]
	s_waitcnt lgkmcnt(2)
	v_add_f64 v[174:175], v[174:175], -v[182:183]
	v_mul_f64 v[174:175], v[228:229], v[174:175]
	s_waitcnt lgkmcnt(0)
	v_fmac_f64_e32 v[136:137], v[174:175], v[178:179]
	ds_bpermute_b32 v178, v0, v142 offset:20
	ds_bpermute_b32 v179, v0, v143 offset:20
	ds_bpermute_b32 v174, v0, v144 offset:20
	ds_bpermute_b32 v175, v0, v145 offset:20
	v_add_f64 v[2:3], v[2:3], v[232:233]
	v_add_f64 v[2:3], v[2:3], v[214:215]
	s_waitcnt lgkmcnt(2)
	v_add_f64 v[178:179], v[246:247], -v[178:179]
	v_mul_f64 v[178:179], v[242:243], v[178:179]
	;; [unrolled: 11-line block ×13, first 2 shown]
	s_waitcnt lgkmcnt(0)
	v_fmac_f64_e32 v[136:137], v[174:175], v[172:173]
	ds_bpermute_b32 v174, v0, v142 offset:68
	ds_bpermute_b32 v175, v0, v143 offset:68
	ds_bpermute_b32 v172, v0, v144 offset:68
	ds_bpermute_b32 v173, v0, v145 offset:68
	s_waitcnt lgkmcnt(2)
	v_add_f64 v[174:175], v[200:201], -v[174:175]
	v_mul_f64 v[174:175], v[194:195], v[174:175]
	s_waitcnt lgkmcnt(0)
	v_fmac_f64_e32 v[136:137], v[174:175], v[172:173]
	ds_bpermute_b32 v174, v0, v142 offset:72
	ds_bpermute_b32 v175, v0, v143 offset:72
	ds_bpermute_b32 v172, v0, v144 offset:72
	ds_bpermute_b32 v173, v0, v145 offset:72
	s_waitcnt lgkmcnt(2)
	v_add_f64 v[174:175], v[196:197], -v[174:175]
	v_mul_f64 v[174:175], v[176:177], v[174:175]
	;; [unrolled: 9-line block ×4, first 2 shown]
	ds_bpermute_b32 v170, v0, v142 offset:84
	ds_bpermute_b32 v171, v0, v143 offset:84
	s_waitcnt lgkmcnt(2)
	v_fmac_f64_e32 v[136:137], v[168:169], v[172:173]
	ds_bpermute_b32 v168, v0, v144 offset:84
	ds_bpermute_b32 v169, v0, v145 offset:84
	v_accvgpr_read_b32 v173, a147
	v_accvgpr_read_b32 v172, a146
	s_waitcnt lgkmcnt(2)
	v_add_f64 v[170:171], v[172:173], -v[170:171]
	v_mul_f64 v[170:171], v[180:181], v[170:171]
	s_waitcnt lgkmcnt(0)
	v_fmac_f64_e32 v[136:137], v[170:171], v[168:169]
	ds_bpermute_b32 v170, v0, v142 offset:88
	ds_bpermute_b32 v171, v0, v143 offset:88
	;; [unrolled: 1-line block ×4, first 2 shown]
	v_accvgpr_read_b32 v173, a145
	v_accvgpr_read_b32 v172, a144
	s_waitcnt lgkmcnt(2)
	v_add_f64 v[170:171], v[172:173], -v[170:171]
	v_mul_f64 v[170:171], v[162:163], v[170:171]
	s_waitcnt lgkmcnt(0)
	v_fmac_f64_e32 v[136:137], v[170:171], v[168:169]
	ds_bpermute_b32 v168, v0, v142 offset:92
	ds_bpermute_b32 v169, v0, v143 offset:92
	;; [unrolled: 1-line block ×4, first 2 shown]
	v_accvgpr_read_b32 v171, a143
	v_accvgpr_read_b32 v170, a142
	s_waitcnt lgkmcnt(2)
	v_add_f64 v[168:169], v[170:171], -v[168:169]
	v_mul_f64 v[168:169], v[164:165], v[168:169]
	ds_bpermute_b32 v164, v0, v142 offset:96
	ds_bpermute_b32 v165, v0, v143 offset:96
	s_waitcnt lgkmcnt(2)
	v_fmac_f64_e32 v[136:137], v[168:169], v[162:163]
	ds_bpermute_b32 v162, v0, v144 offset:96
	ds_bpermute_b32 v163, v0, v145 offset:96
	v_accvgpr_read_b32 v169, a141
	v_accvgpr_read_b32 v168, a140
	s_waitcnt lgkmcnt(2)
	v_add_f64 v[164:165], v[168:169], -v[164:165]
	v_mul_f64 v[164:165], v[158:159], v[164:165]
	s_waitcnt lgkmcnt(0)
	v_fmac_f64_e32 v[136:137], v[164:165], v[162:163]
	ds_bpermute_b32 v162, v0, v142 offset:100
	ds_bpermute_b32 v163, v0, v143 offset:100
	ds_bpermute_b32 v158, v0, v144 offset:100
	ds_bpermute_b32 v159, v0, v145 offset:100
	v_accvgpr_read_b32 v165, a139
	v_accvgpr_read_b32 v164, a138
	s_waitcnt lgkmcnt(2)
	v_add_f64 v[162:163], v[164:165], -v[162:163]
	v_mul_f64 v[162:163], v[166:167], v[162:163]
	s_waitcnt lgkmcnt(0)
	v_fmac_f64_e32 v[136:137], v[162:163], v[158:159]
	ds_bpermute_b32 v162, v0, v142 offset:104
	ds_bpermute_b32 v163, v0, v143 offset:104
	;; [unrolled: 11-line block ×6, first 2 shown]
	ds_bpermute_b32 v150, v0, v144 offset:120
	ds_bpermute_b32 v151, v0, v145 offset:120
	v_accvgpr_read_b32 v157, a135
	ds_bpermute_b32 v144, v0, v144 offset:124
	ds_bpermute_b32 v145, v0, v145 offset:124
	;; [unrolled: 1-line block ×4, first 2 shown]
	v_accvgpr_read_b32 v156, a134
	s_waitcnt lgkmcnt(6)
	v_add_f64 v[154:155], v[156:157], -v[154:155]
	v_mul_f64 v[154:155], v[152:153], v[154:155]
	s_waitcnt lgkmcnt(4)
	v_fmac_f64_e32 v[136:137], v[154:155], v[150:151]
	s_and_b64 vcc, exec, s[0:1]
	s_cbranch_vccnz .LBB38_220
	s_branch .LBB38_225
.LBB38_219:                             ;   in Loop: Header=BB38_149 Depth=1
                                        ; implicit-def: $vgpr144_vgpr145
                                        ; implicit-def: $vgpr146_vgpr147
                                        ; implicit-def: $vgpr148_vgpr149
                                        ; implicit-def: $vgpr142
                                        ; implicit-def: $vgpr2_vgpr3
                                        ; implicit-def: $vgpr136_vgpr137
	s_cbranch_execz .LBB38_225
.LBB38_220:                             ;   in Loop: Header=BB38_149 Depth=1
	s_load_dword s0, s[2:3], 0x0
	v_accvgpr_read_b32 v3, a127
	v_accvgpr_read_b32 v136, a125
	s_waitcnt lgkmcnt(0)
	v_pk_mov_b32 v[142:143], 0, 0
	s_cmp_lt_u32 s6, s0
	s_cselect_b32 s0, 12, 18
	s_add_u32 s0, s2, s0
	s_addc_u32 s1, s3, 0
	global_load_ushort v2, v3, s[0:1]
	v_accvgpr_read_b32 v3, a1
	s_waitcnt vmcnt(0)
	v_mad_u32_u24 v2, v3, v2, v136
	v_and_b32_e32 v2, 63, v2
	v_cmp_gt_u32_e32 vcc, 32, v2
	v_pk_mov_b32 v[136:137], v[142:143], v[142:143] op_sel:[0,1]
	s_and_saveexec_b64 s[0:1], vcc
	s_cbranch_execz .LBB38_224
; %bb.221:                              ;   in Loop: Header=BB38_149 Depth=1
	v_add_co_u32_e32 v2, vcc, v140, v2
	v_addc_co_u32_e32 v3, vcc, 0, v141, vcc
	v_pk_mov_b32 v[136:137], 0, 0
	v_cmp_gt_i64_e32 vcc, s[12:13], v[2:3]
	v_pk_mov_b32 v[142:143], v[136:137], v[136:137] op_sel:[0,1]
	s_and_saveexec_b64 s[26:27], vcc
	s_cbranch_execz .LBB38_223
; %bb.222:                              ;   in Loop: Header=BB38_149 Depth=1
	v_lshlrev_b64 v[2:3], 3, v[2:3]
	v_mov_b32_e32 v136, s23
	v_add_co_u32_e32 v140, vcc, s22, v2
	v_addc_co_u32_e32 v141, vcc, v136, v3, vcc
	v_mov_b32_e32 v136, s21
	v_add_co_u32_e32 v2, vcc, s20, v2
	v_addc_co_u32_e32 v3, vcc, v136, v3, vcc
	global_load_dwordx2 v[136:137], v[2:3], off
	global_load_dwordx2 v[142:143], v[140:141], off
.LBB38_223:                             ;   in Loop: Header=BB38_149 Depth=1
	s_or_b64 exec, exec, s[26:27]
.LBB38_224:                             ;   in Loop: Header=BB38_149 Depth=1
	s_or_b64 exec, exec, s[0:1]
	v_add_co_u32_e32 v2, vcc, v130, v134
	v_addc_co_u32_e32 v3, vcc, v1, v135, vcc
	global_load_dwordx2 v[146:147], v[2:3], off
	v_add_co_u32_e32 v2, vcc, v132, v134
	v_addc_co_u32_e32 v3, vcc, v129, v135, vcc
	global_load_dwordx2 v[222:223], v[2:3], off
	;; [unrolled: 3-line block ×36, first 2 shown]
	v_add_co_u32_e32 v2, vcc, v72, v134
	v_addc_co_u32_e32 v3, vcc, v73, v135, vcc
	s_waitcnt vmcnt(37)
	ds_bpermute_b32 v238, v0, v136
	ds_bpermute_b32 v239, v0, v137
	global_load_dwordx2 v[160:161], v[2:3], off
	v_add_co_u32_e32 v2, vcc, v74, v134
	v_addc_co_u32_e32 v3, vcc, v75, v135, vcc
	s_waitcnt vmcnt(37)
	ds_bpermute_b32 v240, v0, v142
	ds_bpermute_b32 v241, v0, v143
	global_load_dwordx2 v[170:171], v[2:3], off
	v_add_co_u32_e32 v2, vcc, v76, v134
	v_addc_co_u32_e32 v3, vcc, v77, v135, vcc
	global_load_dwordx2 v[156:157], v[2:3], off
	v_add_co_u32_e32 v2, vcc, v78, v134
	s_waitcnt vmcnt(37) lgkmcnt(2)
	v_add_f64 v[222:223], v[222:223], -v[238:239]
	ds_bpermute_b32 v238, v0, v136 offset:4
	ds_bpermute_b32 v239, v0, v137 offset:4
	v_addc_co_u32_e32 v3, vcc, v79, v135, vcc
	v_mul_f64 v[222:223], v[146:147], v[222:223]
	global_load_dwordx2 v[166:167], v[2:3], off
	v_add_co_u32_e32 v2, vcc, v80, v134
	s_waitcnt lgkmcnt(2)
	v_fmac_f64_e32 v[138:139], v[222:223], v[240:241]
	ds_bpermute_b32 v240, v0, v142 offset:4
	ds_bpermute_b32 v241, v0, v143 offset:4
	v_addc_co_u32_e32 v3, vcc, v81, v135, vcc
	global_load_dwordx2 v[152:153], v[2:3], off
	v_add_co_u32_e32 v2, vcc, v82, v134
	v_addc_co_u32_e32 v3, vcc, v83, v135, vcc
	s_waitcnt vmcnt(37) lgkmcnt(2)
	v_add_f64 v[218:219], v[218:219], -v[238:239]
	ds_bpermute_b32 v238, v0, v136 offset:8
	ds_bpermute_b32 v239, v0, v137 offset:8
	global_load_dwordx2 v[162:163], v[2:3], off
	v_add_co_u32_e32 v2, vcc, v84, v134
	v_mul_f64 v[218:219], v[148:149], v[218:219]
	v_addc_co_u32_e32 v3, vcc, v85, v135, vcc
	s_waitcnt lgkmcnt(2)
	v_fmac_f64_e32 v[138:139], v[218:219], v[240:241]
	ds_bpermute_b32 v240, v0, v142 offset:8
	ds_bpermute_b32 v241, v0, v143 offset:8
	global_load_dwordx2 v[144:145], v[2:3], off
	v_add_co_u32_e32 v2, vcc, v86, v134
	v_addc_co_u32_e32 v3, vcc, v87, v135, vcc
	global_load_dwordx2 v[158:159], v[2:3], off
	v_add_co_u32_e32 v2, vcc, v88, v134
	s_waitcnt vmcnt(38) lgkmcnt(2)
	v_add_f64 v[228:229], v[228:229], -v[238:239]
	ds_bpermute_b32 v238, v0, v136 offset:12
	ds_bpermute_b32 v239, v0, v137 offset:12
	v_addc_co_u32_e32 v3, vcc, v89, v135, vcc
	v_mul_f64 v[228:229], v[186:187], v[228:229]
	global_load_dwordx2 v[140:141], v[2:3], off
	v_add_co_u32_e32 v2, vcc, v90, v134
	s_waitcnt lgkmcnt(2)
	v_fmac_f64_e32 v[138:139], v[228:229], v[240:241]
	ds_bpermute_b32 v240, v0, v142 offset:12
	ds_bpermute_b32 v241, v0, v143 offset:12
	v_addc_co_u32_e32 v3, vcc, v91, v135, vcc
	global_load_dwordx2 v[154:155], v[2:3], off
	v_add_co_u32_e32 v2, vcc, v92, v134
	v_addc_co_u32_e32 v3, vcc, v93, v135, vcc
	s_waitcnt vmcnt(38) lgkmcnt(2)
	v_add_f64 v[226:227], v[226:227], -v[238:239]
	ds_bpermute_b32 v238, v0, v136 offset:16
	ds_bpermute_b32 v239, v0, v137 offset:16
	v_add_co_u32_e32 v150, vcc, v94, v134
	v_mul_f64 v[226:227], v[192:193], v[226:227]
	v_addc_co_u32_e32 v151, vcc, v95, v135, vcc
	s_waitcnt lgkmcnt(2)
	v_fmac_f64_e32 v[138:139], v[226:227], v[240:241]
	ds_bpermute_b32 v240, v0, v142 offset:16
	ds_bpermute_b32 v241, v0, v143 offset:16
	v_add_co_u32_e32 v190, vcc, v96, v134
	v_addc_co_u32_e32 v191, vcc, v97, v135, vcc
	v_add_co_u32_e32 v222, vcc, v98, v134
	s_waitcnt vmcnt(36) lgkmcnt(2)
	v_add_f64 v[234:235], v[234:235], -v[238:239]
	ds_bpermute_b32 v238, v0, v136 offset:20
	ds_bpermute_b32 v239, v0, v137 offset:20
	v_addc_co_u32_e32 v223, vcc, v99, v135, vcc
	v_mul_f64 v[234:235], v[198:199], v[234:235]
	v_add_co_u32_e32 v218, vcc, v100, v134
	s_waitcnt lgkmcnt(2)
	v_fmac_f64_e32 v[138:139], v[234:235], v[240:241]
	ds_bpermute_b32 v240, v0, v142 offset:20
	ds_bpermute_b32 v241, v0, v143 offset:20
	v_addc_co_u32_e32 v219, vcc, v101, v135, vcc
	v_add_co_u32_e32 v228, vcc, v102, v134
	v_addc_co_u32_e32 v229, vcc, v103, v135, vcc
	s_waitcnt vmcnt(34) lgkmcnt(2)
	v_add_f64 v[236:237], v[236:237], -v[238:239]
	ds_bpermute_b32 v238, v0, v136 offset:24
	ds_bpermute_b32 v239, v0, v137 offset:24
	v_add_co_u32_e32 v226, vcc, v104, v134
	v_mul_f64 v[236:237], v[204:205], v[236:237]
	v_addc_co_u32_e32 v227, vcc, v105, v135, vcc
	s_waitcnt lgkmcnt(2)
	v_fmac_f64_e32 v[138:139], v[236:237], v[240:241]
	ds_bpermute_b32 v240, v0, v142 offset:24
	ds_bpermute_b32 v241, v0, v143 offset:24
	v_add_co_u32_e32 v234, vcc, v106, v134
	v_addc_co_u32_e32 v235, vcc, v107, v135, vcc
	v_add_co_u32_e32 v236, vcc, v108, v134
	s_waitcnt vmcnt(32) lgkmcnt(2)
	v_add_f64 v[232:233], v[232:233], -v[238:239]
	v_addc_co_u32_e32 v237, vcc, v109, v135, vcc
	v_mul_f64 v[232:233], v[210:211], v[232:233]
	s_waitcnt lgkmcnt(0)
	v_fmac_f64_e32 v[138:139], v[232:233], v[240:241]
	ds_bpermute_b32 v232, v0, v136 offset:28
	ds_bpermute_b32 v233, v0, v137 offset:28
	v_add_co_u32_e32 v238, vcc, v110, v134
	v_addc_co_u32_e32 v239, vcc, v111, v135, vcc
	global_load_dwordx2 v[242:243], v[238:239], off
	ds_bpermute_b32 v238, v0, v142 offset:28
	ds_bpermute_b32 v239, v0, v143 offset:28
	global_load_dwordx2 v[150:151], v[150:151], off
	s_waitcnt vmcnt(32) lgkmcnt(2)
	v_add_f64 v[230:231], v[230:231], -v[232:233]
	v_add_co_u32_e32 v232, vcc, v112, v134
	global_load_dwordx2 v[2:3], v[2:3], off
	v_addc_co_u32_e32 v233, vcc, v113, v135, vcc
	v_mul_f64 v[230:231], v[216:217], v[230:231]
	s_waitcnt lgkmcnt(0)
	v_fmac_f64_e32 v[138:139], v[230:231], v[238:239]
	v_add_co_u32_e32 v230, vcc, v114, v134
	v_addc_co_u32_e32 v231, vcc, v115, v135, vcc
	global_load_dwordx2 v[222:223], v[222:223], off
	s_nop 0
	global_load_dwordx2 v[244:245], v[230:231], off
	v_add_co_u32_e32 v230, vcc, v116, v134
	global_load_dwordx2 v[190:191], v[190:191], off
	v_addc_co_u32_e32 v231, vcc, v117, v135, vcc
	global_load_dwordx2 v[238:239], v[230:231], off
	v_accvgpr_read_b32 v231, a3
	v_accvgpr_read_b32 v230, a2
	v_add_f64 v[146:147], v[230:231], v[146:147]
	v_add_co_u32_e32 v230, vcc, v118, v134
	global_load_dwordx2 v[228:229], v[228:229], off
	v_addc_co_u32_e32 v231, vcc, v119, v135, vcc
	global_load_dwordx2 v[218:219], v[218:219], off
	v_add_f64 v[146:147], v[146:147], v[148:149]
	v_add_co_u32_e32 v148, vcc, v120, v134
	v_addc_co_u32_e32 v149, vcc, v121, v135, vcc
	global_load_dwordx2 v[240:241], v[230:231], off
	v_add_f64 v[146:147], v[146:147], v[186:187]
	global_load_dwordx2 v[230:231], v[148:149], off
	v_add_co_u32_e32 v148, vcc, v122, v134
	v_addc_co_u32_e32 v149, vcc, v123, v135, vcc
	global_load_dwordx2 v[234:235], v[234:235], off
	s_nop 0
	global_load_dwordx2 v[186:187], v[148:149], off
	v_add_f64 v[148:149], v[146:147], v[192:193]
	global_load_dwordx2 v[226:227], v[226:227], off
	v_add_f64 v[192:193], v[148:149], v[198:199]
	ds_bpermute_b32 v198, v0, v136 offset:32
	ds_bpermute_b32 v199, v0, v137 offset:32
	v_add_f64 v[192:193], v[192:193], v[204:205]
	ds_bpermute_b32 v204, v0, v142 offset:32
	ds_bpermute_b32 v205, v0, v143 offset:32
	global_load_dwordx2 v[236:237], v[236:237], off
	v_add_f64 v[192:193], v[192:193], v[210:211]
	s_waitcnt vmcnt(43) lgkmcnt(2)
	v_add_f64 v[198:199], v[224:225], -v[198:199]
	ds_bpermute_b32 v210, v0, v136 offset:36
	ds_bpermute_b32 v211, v0, v137 offset:36
	v_mul_f64 v[198:199], v[212:213], v[198:199]
	s_waitcnt lgkmcnt(2)
	v_fmac_f64_e32 v[138:139], v[198:199], v[204:205]
	ds_bpermute_b32 v198, v0, v142 offset:36
	ds_bpermute_b32 v199, v0, v143 offset:36
	global_load_dwordx2 v[232:233], v[232:233], off
	s_waitcnt vmcnt(42) lgkmcnt(2)
	v_add_f64 v[204:205], v[220:221], -v[210:211]
	ds_bpermute_b32 v210, v0, v136 offset:40
	ds_bpermute_b32 v211, v0, v137 offset:40
	v_mul_f64 v[204:205], v[206:207], v[204:205]
	s_waitcnt lgkmcnt(2)
	v_fmac_f64_e32 v[138:139], v[204:205], v[198:199]
	ds_bpermute_b32 v198, v0, v142 offset:40
	ds_bpermute_b32 v199, v0, v143 offset:40
	v_add_f64 v[192:193], v[192:193], v[216:217]
	v_add_f64 v[192:193], v[192:193], v[212:213]
	;; [unrolled: 1-line block ×3, first 2 shown]
	s_waitcnt vmcnt(40) lgkmcnt(2)
	v_add_f64 v[204:205], v[214:215], -v[210:211]
	ds_bpermute_b32 v206, v0, v136 offset:44
	ds_bpermute_b32 v207, v0, v137 offset:44
	v_mul_f64 v[204:205], v[200:201], v[204:205]
	s_waitcnt lgkmcnt(2)
	v_fmac_f64_e32 v[138:139], v[204:205], v[198:199]
	ds_bpermute_b32 v198, v0, v142 offset:44
	ds_bpermute_b32 v199, v0, v143 offset:44
	v_add_co_u32_e32 v146, vcc, v124, v134
	v_addc_co_u32_e32 v147, vcc, v125, v135, vcc
	v_add_f64 v[192:193], v[192:193], v[200:201]
	s_waitcnt vmcnt(38) lgkmcnt(2)
	v_add_f64 v[200:201], v[208:209], -v[206:207]
	ds_bpermute_b32 v204, v0, v136 offset:48
	ds_bpermute_b32 v205, v0, v137 offset:48
	v_add_co_u32_e32 v148, vcc, v126, v134
	v_mul_f64 v[200:201], v[194:195], v[200:201]
	v_addc_co_u32_e32 v149, vcc, v127, v135, vcc
	s_waitcnt lgkmcnt(2)
	v_fmac_f64_e32 v[138:139], v[200:201], v[198:199]
	v_add_f64 v[192:193], v[192:193], v[194:195]
	ds_bpermute_b32 v194, v0, v142 offset:48
	ds_bpermute_b32 v195, v0, v143 offset:48
	;; [unrolled: 1-line block ×4, first 2 shown]
	global_load_dwordx2 v[146:147], v[146:147], off
	s_waitcnt vmcnt(37) lgkmcnt(4)
	v_add_f64 v[198:199], v[202:203], -v[204:205]
	global_load_dwordx2 v[148:149], v[148:149], off
	v_mul_f64 v[198:199], v[184:185], v[198:199]
	v_add_f64 v[184:185], v[192:193], v[184:185]
	ds_bpermute_b32 v192, v0, v142 offset:52
	ds_bpermute_b32 v193, v0, v143 offset:52
	s_waitcnt lgkmcnt(4)
	v_fmac_f64_e32 v[138:139], v[198:199], v[194:195]
	s_waitcnt vmcnt(36) lgkmcnt(2)
	v_add_f64 v[194:195], v[196:197], -v[200:201]
	ds_bpermute_b32 v196, v0, v136 offset:56
	ds_bpermute_b32 v197, v0, v137 offset:56
	v_mul_f64 v[194:195], v[180:181], v[194:195]
	v_add_f64 v[180:181], v[184:185], v[180:181]
	ds_bpermute_b32 v184, v0, v142 offset:56
	ds_bpermute_b32 v185, v0, v143 offset:56
	s_waitcnt lgkmcnt(4)
	v_fmac_f64_e32 v[138:139], v[194:195], v[192:193]
	ds_bpermute_b32 v192, v0, v136 offset:60
	ds_bpermute_b32 v193, v0, v137 offset:60
	s_waitcnt vmcnt(34) lgkmcnt(4)
	v_add_f64 v[188:189], v[188:189], -v[196:197]
	v_mul_f64 v[188:189], v[176:177], v[188:189]
	v_add_f64 v[176:177], v[180:181], v[176:177]
	ds_bpermute_b32 v180, v0, v142 offset:60
	ds_bpermute_b32 v181, v0, v143 offset:60
	s_waitcnt lgkmcnt(4)
	v_fmac_f64_e32 v[138:139], v[188:189], v[184:185]
	ds_bpermute_b32 v184, v0, v136 offset:64
	ds_bpermute_b32 v185, v0, v137 offset:64
	s_waitcnt vmcnt(32) lgkmcnt(4)
	v_add_f64 v[182:183], v[182:183], -v[192:193]
	;; [unrolled: 10-line block ×9, first 2 shown]
	v_mul_f64 v[154:155], v[140:141], v[154:155]
	s_waitcnt lgkmcnt(2)
	v_fmac_f64_e32 v[138:139], v[154:155], v[152:153]
	v_add_f64 v[140:141], v[144:145], v[140:141]
	ds_bpermute_b32 v144, v0, v142 offset:92
	ds_bpermute_b32 v145, v0, v143 offset:92
	;; [unrolled: 1-line block ×4, first 2 shown]
	s_waitcnt vmcnt(16) lgkmcnt(4)
	v_add_f64 v[150:151], v[150:151], -v[156:157]
	s_waitcnt vmcnt(15)
	v_mul_f64 v[150:151], v[2:3], v[150:151]
	v_add_f64 v[2:3], v[140:141], v[2:3]
	ds_bpermute_b32 v140, v0, v142 offset:96
	ds_bpermute_b32 v141, v0, v143 offset:96
	s_waitcnt lgkmcnt(4)
	v_fmac_f64_e32 v[138:139], v[150:151], v[144:145]
	s_waitcnt vmcnt(14) lgkmcnt(2)
	v_add_f64 v[144:145], v[222:223], -v[152:153]
	ds_bpermute_b32 v150, v0, v136 offset:100
	ds_bpermute_b32 v151, v0, v137 offset:100
	s_waitcnt vmcnt(12)
	v_mul_f64 v[144:145], v[190:191], v[144:145]
	s_waitcnt lgkmcnt(2)
	v_fmac_f64_e32 v[138:139], v[144:145], v[140:141]
	ds_bpermute_b32 v140, v0, v142 offset:100
	ds_bpermute_b32 v141, v0, v143 offset:100
	s_waitcnt vmcnt(10) lgkmcnt(2)
	v_add_f64 v[144:145], v[228:229], -v[150:151]
	ds_bpermute_b32 v150, v0, v136 offset:104
	ds_bpermute_b32 v151, v0, v137 offset:104
	s_waitcnt vmcnt(9)
	v_mul_f64 v[144:145], v[218:219], v[144:145]
	s_waitcnt lgkmcnt(2)
	v_fmac_f64_e32 v[138:139], v[144:145], v[140:141]
	ds_bpermute_b32 v140, v0, v142 offset:104
	ds_bpermute_b32 v141, v0, v143 offset:104
	;; [unrolled: 10-line block ×3, first 2 shown]
	s_waitcnt lgkmcnt(2)
	v_add_f64 v[144:145], v[242:243], -v[150:151]
	ds_bpermute_b32 v150, v0, v136 offset:112
	ds_bpermute_b32 v151, v0, v137 offset:112
	s_waitcnt vmcnt(3)
	v_mul_f64 v[144:145], v[236:237], v[144:145]
	s_waitcnt lgkmcnt(2)
	v_fmac_f64_e32 v[138:139], v[144:145], v[140:141]
	ds_bpermute_b32 v140, v0, v142 offset:112
	ds_bpermute_b32 v141, v0, v143 offset:112
	s_waitcnt lgkmcnt(2)
	v_add_f64 v[144:145], v[244:245], -v[150:151]
	ds_bpermute_b32 v150, v0, v136 offset:116
	ds_bpermute_b32 v151, v0, v137 offset:116
	s_waitcnt vmcnt(2)
	v_mul_f64 v[144:145], v[232:233], v[144:145]
	s_waitcnt lgkmcnt(2)
	v_fmac_f64_e32 v[138:139], v[144:145], v[140:141]
	ds_bpermute_b32 v140, v0, v142 offset:116
	ds_bpermute_b32 v141, v0, v143 offset:116
	s_waitcnt lgkmcnt(2)
	v_add_f64 v[144:145], v[240:241], -v[150:151]
	ds_bpermute_b32 v150, v0, v136 offset:120
	ds_bpermute_b32 v151, v0, v137 offset:120
	v_mul_f64 v[144:145], v[238:239], v[144:145]
	v_add_f64 v[2:3], v[2:3], v[190:191]
	s_waitcnt lgkmcnt(2)
	v_fmac_f64_e32 v[138:139], v[144:145], v[140:141]
	ds_bpermute_b32 v140, v0, v142 offset:120
	ds_bpermute_b32 v141, v0, v143 offset:120
	v_add_f64 v[2:3], v[2:3], v[218:219]
	v_add_f64 v[2:3], v[2:3], v[226:227]
	;; [unrolled: 1-line block ×3, first 2 shown]
	s_waitcnt lgkmcnt(2)
	v_add_f64 v[150:151], v[186:187], -v[150:151]
	v_add_f64 v[2:3], v[2:3], v[232:233]
	ds_bpermute_b32 v144, v0, v142 offset:124
	ds_bpermute_b32 v145, v0, v143 offset:124
	;; [unrolled: 1-line block ×4, first 2 shown]
	v_mul_f64 v[136:137], v[230:231], v[150:151]
	v_add_f64 v[2:3], v[2:3], v[238:239]
	s_waitcnt lgkmcnt(4)
	v_fmac_f64_e32 v[138:139], v[136:137], v[140:141]
	v_add_f64 v[2:3], v[2:3], v[230:231]
	v_pk_mov_b32 v[136:137], v[138:139], v[138:139] op_sel:[0,1]
.LBB38_225:                             ;   in Loop: Header=BB38_149 Depth=1
	s_waitcnt vmcnt(1)
	v_add_f64 v[2:3], v[2:3], v[146:147]
	v_accvgpr_write_b32 a2, v2
	v_accvgpr_write_b32 a3, v3
	v_add_co_u32_e32 v128, vcc, s7, v128
	v_mov_b32_e32 v2, s9
	v_addc_co_u32_e32 v253, vcc, v253, v2, vcc
	v_add_co_u32_e32 v4, vcc, s10, v4
	v_mov_b32_e32 v2, s11
	v_addc_co_u32_e32 v5, vcc, v5, v2, vcc
	v_add_co_u32_e32 v6, vcc, s10, v6
	v_addc_co_u32_e32 v7, vcc, v7, v2, vcc
	v_add_co_u32_e32 v8, vcc, s10, v8
	;; [unrolled: 2-line block ×62, first 2 shown]
	s_waitcnt vmcnt(0) lgkmcnt(0)
	v_add_f64 v[138:139], v[148:149], -v[142:143]
	v_addc_co_u32_e32 v127, vcc, v127, v2, vcc
	v_mul_f64 v[138:139], v[146:147], v[138:139]
	v_add_co_u32_e32 v132, vcc, s10, v132
	v_fmac_f64_e32 v[136:137], v[138:139], v[144:145]
	v_addc_co_u32_e32 v129, vcc, v129, v2, vcc
	v_accvgpr_read_b32 v138, a4
	v_add_co_u32_e32 v138, vcc, s10, v138
	v_accvgpr_write_b32 a4, v138
	v_addc_co_u32_e32 v131, vcc, v131, v2, vcc
	v_accvgpr_read_b32 v138, a6
	v_add_co_u32_e32 v138, vcc, s10, v138
	v_accvgpr_write_b32 a6, v138
	v_addc_co_u32_e32 v133, vcc, v133, v2, vcc
	v_accvgpr_read_b32 v138, a8
	v_add_co_u32_e32 v138, vcc, s10, v138
	v_accvgpr_read_b32 v3, a5
	v_accvgpr_write_b32 a8, v138
	v_addc_co_u32_e32 v3, vcc, v3, v2, vcc
	v_accvgpr_read_b32 v138, a10
	v_accvgpr_write_b32 a5, v3
	v_add_co_u32_e32 v138, vcc, s10, v138
	v_accvgpr_read_b32 v3, a7
	v_accvgpr_write_b32 a10, v138
	v_addc_co_u32_e32 v3, vcc, v3, v2, vcc
	v_accvgpr_read_b32 v138, a12
	v_accvgpr_write_b32 a7, v3
	;; [unrolled: 6-line block ×56, first 2 shown]
	v_add_co_u32_e32 v138, vcc, s10, v138
	v_accvgpr_read_b32 v3, a117
	v_addc_co_u32_e32 v3, vcc, v3, v2, vcc
	v_accvgpr_write_b32 a117, v3
	v_add_co_u32_e32 v252, vcc, s10, v252
	v_accvgpr_read_b32 v3, a119
	v_accvgpr_write_b32 a120, v138
	v_addc_co_u32_e32 v3, vcc, v3, v2, vcc
	v_accvgpr_read_b32 v138, a122
	v_accvgpr_write_b32 a119, v3
	v_add_co_u32_e32 v138, vcc, s10, v138
	v_accvgpr_read_b32 v3, a121
	v_accvgpr_write_b32 a122, v138
	v_addc_co_u32_e32 v3, vcc, v3, v2, vcc
	v_accvgpr_read_b32 v138, a124
	v_accvgpr_write_b32 a121, v3
	v_add_co_u32_e32 v138, vcc, s10, v138
	v_accvgpr_read_b32 v3, a123
	s_add_u32 s18, s18, s7
	v_addc_co_u32_e32 v3, vcc, v3, v2, vcc
	s_addc_u32 s19, s19, 0
	v_accvgpr_write_b32 a123, v3
	v_pk_mov_b32 v[2:3], s[12:13], s[12:13] op_sel:[0,1]
	s_add_u32 s16, s16, s7
	v_cmp_ge_i64_e32 vcc, s[18:19], v[2:3]
	s_addc_u32 s17, s17, 0
	s_cbranch_vccnz .LBB38_228
; %bb.226:                              ;   in Loop: Header=BB38_149 Depth=1
	v_accvgpr_write_b32 a124, v138
	v_pk_mov_b32 v[138:139], v[136:137], v[136:137] op_sel:[0,1]
	s_branch .LBB38_149
.LBB38_227:
	v_accvgpr_read_b32 v132, a0
	s_andn2_b64 vcc, exec, s[26:27]
	s_cbranch_vccz .LBB38_147
	s_branch .LBB38_229
.LBB38_228:
	v_accvgpr_read_b32 v132, a0
.LBB38_229:
	s_mov_b32 s7, 0
	s_lshl_b64 s[0:1], s[6:7], 5
	v_and_b32_e32 v0, 0x3ff, v132
	v_or_b32_e32 v4, s0, v0
	v_mov_b32_e32 v5, s1
	v_cmp_gt_i64_e32 vcc, s[14:15], v[4:5]
	s_and_saveexec_b64 s[0:1], vcc
	s_cbranch_execz .LBB38_234
; %bb.230:
	s_load_dword s6, s[4:5], 0x4c
	s_load_dwordx4 s[0:3], s[4:5], 0x30
	v_bfe_u32 v0, v132, 10, 10
	v_mov_b32_e32 v1, 0
	v_mov_b32_e32 v2, s8
	s_waitcnt lgkmcnt(0)
	s_lshr_b32 s4, s6, 16
	v_mad_u64_u32 v[2:3], s[4:5], s4, v2, v[0:1]
	s_cmp_eq_u64 s[0:1], 0
	v_mul_lo_u32 v3, v3, s14
	v_mul_lo_u32 v6, v2, s15
	v_lshlrev_b64 v[0:1], 3, v[4:5]
	s_cbranch_scc1 .LBB38_232
; %bb.231:
	v_mad_u64_u32 v[4:5], s[4:5], v2, s14, 0
	v_add3_u32 v5, v5, v6, v3
	v_lshlrev_b64 v[4:5], 3, v[4:5]
	v_mov_b32_e32 v7, s1
	v_add_co_u32_e32 v4, vcc, s0, v4
	v_addc_co_u32_e32 v5, vcc, v7, v5, vcc
	v_add_co_u32_e32 v4, vcc, v4, v0
	v_addc_co_u32_e32 v5, vcc, v5, v1, vcc
	global_store_dwordx2 v[4:5], v[136:137], off
.LBB38_232:
	s_cmp_eq_u64 s[2:3], 0
	s_cbranch_scc1 .LBB38_234
; %bb.233:
	v_mad_u64_u32 v[4:5], s[0:1], v2, s14, 0
	v_add3_u32 v5, v5, v6, v3
	v_lshlrev_b64 v[2:3], 3, v[4:5]
	v_mov_b32_e32 v4, s3
	v_add_co_u32_e32 v2, vcc, s2, v2
	v_addc_co_u32_e32 v3, vcc, v4, v3, vcc
	v_add_co_u32_e32 v0, vcc, v2, v0
	v_addc_co_u32_e32 v1, vcc, v3, v1, vcc
	global_store_dwordx2 v[0:1], a[2:3], off
.LBB38_234:
	s_endpgm
	.section	.rodata,"a",@progbits
	.p2align	6, 0x0
	.amdhsa_kernel _ZN2at6native12_GLOBAL__N_135GammaBetaBackwardCUDAKernelTemplateIddLj32ELj1ELj32ELb1ELb0ELb0EEEvllPKT_S5_PKT0_S8_PS3_S9_
		.amdhsa_group_segment_fixed_size 0
		.amdhsa_private_segment_fixed_size 0
		.amdhsa_kernarg_size 320
		.amdhsa_user_sgpr_count 6
		.amdhsa_user_sgpr_private_segment_buffer 1
		.amdhsa_user_sgpr_dispatch_ptr 0
		.amdhsa_user_sgpr_queue_ptr 0
		.amdhsa_user_sgpr_kernarg_segment_ptr 1
		.amdhsa_user_sgpr_dispatch_id 0
		.amdhsa_user_sgpr_flat_scratch_init 0
		.amdhsa_user_sgpr_kernarg_preload_length 0
		.amdhsa_user_sgpr_kernarg_preload_offset 0
		.amdhsa_user_sgpr_private_segment_size 0
		.amdhsa_uses_dynamic_stack 0
		.amdhsa_system_sgpr_private_segment_wavefront_offset 0
		.amdhsa_system_sgpr_workgroup_id_x 1
		.amdhsa_system_sgpr_workgroup_id_y 1
		.amdhsa_system_sgpr_workgroup_id_z 0
		.amdhsa_system_sgpr_workgroup_info 0
		.amdhsa_system_vgpr_workitem_id 1
		.amdhsa_next_free_vgpr 404
		.amdhsa_next_free_sgpr 42
		.amdhsa_accum_offset 256
		.amdhsa_reserve_vcc 1
		.amdhsa_reserve_flat_scratch 0
		.amdhsa_float_round_mode_32 0
		.amdhsa_float_round_mode_16_64 0
		.amdhsa_float_denorm_mode_32 3
		.amdhsa_float_denorm_mode_16_64 3
		.amdhsa_dx10_clamp 1
		.amdhsa_ieee_mode 1
		.amdhsa_fp16_overflow 0
		.amdhsa_tg_split 0
		.amdhsa_exception_fp_ieee_invalid_op 0
		.amdhsa_exception_fp_denorm_src 0
		.amdhsa_exception_fp_ieee_div_zero 0
		.amdhsa_exception_fp_ieee_overflow 0
		.amdhsa_exception_fp_ieee_underflow 0
		.amdhsa_exception_fp_ieee_inexact 0
		.amdhsa_exception_int_div_zero 0
	.end_amdhsa_kernel
	.section	.text._ZN2at6native12_GLOBAL__N_135GammaBetaBackwardCUDAKernelTemplateIddLj32ELj1ELj32ELb1ELb0ELb0EEEvllPKT_S5_PKT0_S8_PS3_S9_,"axG",@progbits,_ZN2at6native12_GLOBAL__N_135GammaBetaBackwardCUDAKernelTemplateIddLj32ELj1ELj32ELb1ELb0ELb0EEEvllPKT_S5_PKT0_S8_PS3_S9_,comdat
.Lfunc_end38:
	.size	_ZN2at6native12_GLOBAL__N_135GammaBetaBackwardCUDAKernelTemplateIddLj32ELj1ELj32ELb1ELb0ELb0EEEvllPKT_S5_PKT0_S8_PS3_S9_, .Lfunc_end38-_ZN2at6native12_GLOBAL__N_135GammaBetaBackwardCUDAKernelTemplateIddLj32ELj1ELj32ELb1ELb0ELb0EEEvllPKT_S5_PKT0_S8_PS3_S9_
                                        ; -- End function
	.section	.AMDGPU.csdata,"",@progbits
; Kernel info:
; codeLenInByte = 30804
; NumSgprs: 46
; NumVgprs: 256
; NumAgprs: 148
; TotalNumVgprs: 404
; ScratchSize: 0
; MemoryBound: 0
; FloatMode: 240
; IeeeMode: 1
; LDSByteSize: 0 bytes/workgroup (compile time only)
; SGPRBlocks: 5
; VGPRBlocks: 50
; NumSGPRsForWavesPerEU: 46
; NumVGPRsForWavesPerEU: 404
; AccumOffset: 256
; Occupancy: 1
; WaveLimiterHint : 0
; COMPUTE_PGM_RSRC2:SCRATCH_EN: 0
; COMPUTE_PGM_RSRC2:USER_SGPR: 6
; COMPUTE_PGM_RSRC2:TRAP_HANDLER: 0
; COMPUTE_PGM_RSRC2:TGID_X_EN: 1
; COMPUTE_PGM_RSRC2:TGID_Y_EN: 1
; COMPUTE_PGM_RSRC2:TGID_Z_EN: 0
; COMPUTE_PGM_RSRC2:TIDIG_COMP_CNT: 1
; COMPUTE_PGM_RSRC3_GFX90A:ACCUM_OFFSET: 63
; COMPUTE_PGM_RSRC3_GFX90A:TG_SPLIT: 0
	.section	.text._ZN2at6native12_GLOBAL__N_135GammaBetaBackwardCUDAKernelTemplateIddLj32ELj1ELj8ELb1ELb1ELb0EEEvllPKT_S5_PKT0_S8_PS3_S9_,"axG",@progbits,_ZN2at6native12_GLOBAL__N_135GammaBetaBackwardCUDAKernelTemplateIddLj32ELj1ELj8ELb1ELb1ELb0EEEvllPKT_S5_PKT0_S8_PS3_S9_,comdat
	.globl	_ZN2at6native12_GLOBAL__N_135GammaBetaBackwardCUDAKernelTemplateIddLj32ELj1ELj8ELb1ELb1ELb0EEEvllPKT_S5_PKT0_S8_PS3_S9_ ; -- Begin function _ZN2at6native12_GLOBAL__N_135GammaBetaBackwardCUDAKernelTemplateIddLj32ELj1ELj8ELb1ELb1ELb0EEEvllPKT_S5_PKT0_S8_PS3_S9_
	.p2align	8
	.type	_ZN2at6native12_GLOBAL__N_135GammaBetaBackwardCUDAKernelTemplateIddLj32ELj1ELj8ELb1ELb1ELb0EEEvllPKT_S5_PKT0_S8_PS3_S9_,@function
_ZN2at6native12_GLOBAL__N_135GammaBetaBackwardCUDAKernelTemplateIddLj32ELj1ELj8ELb1ELb1ELb0EEEvllPKT_S5_PKT0_S8_PS3_S9_: ; @_ZN2at6native12_GLOBAL__N_135GammaBetaBackwardCUDAKernelTemplateIddLj32ELj1ELj8ELb1ELb1ELb0EEEvllPKT_S5_PKT0_S8_PS3_S9_
; %bb.0:
	s_load_dwordx4 s[16:19], s[4:5], 0x0
	s_lshl_b32 s24, s7, 3
	s_mov_b32 s25, 0
	s_mov_b32 s2, s7
	v_bfe_u32 v16, v0, 10, 10
	s_waitcnt lgkmcnt(0)
	v_pk_mov_b32 v[2:3], s[16:17], s[16:17] op_sel:[0,1]
	v_cmp_lt_i64_e32 vcc, s[24:25], v[2:3]
	s_cbranch_vccnz .LBB39_2
; %bb.1:
	s_add_u32 s26, s4, 64
	s_addc_u32 s27, s5, 0
	s_mov_b64 s[0:1], 0
	s_mov_b64 s[8:9], 0
	v_bfe_u32 v2, v0, 10, 10
	s_branch .LBB39_3
.LBB39_2:
	s_mov_b64 s[0:1], -1
                                        ; implicit-def: $sgpr8_sgpr9
                                        ; implicit-def: $sgpr26_sgpr27
                                        ; implicit-def: $vgpr2
.LBB39_3:
	s_load_dwordx4 s[20:23], s[4:5], 0x30
	v_and_b32_e32 v17, 0x3ff, v0
	s_andn2_b64 vcc, exec, s[0:1]
	v_pk_mov_b32 v[10:11], s[8:9], s[8:9] op_sel:[0,1]
	v_pk_mov_b32 v[0:1], s[8:9], s[8:9] op_sel:[0,1]
	s_cbranch_vccnz .LBB39_11
; %bb.4:
	s_load_dword s0, s[4:5], 0x4c
	s_load_dword s3, s[4:5], 0x44
	s_load_dwordx8 s[8:15], s[4:5], 0x10
	v_mbcnt_lo_u32_b32 v4, -1, 0
	s_add_u32 s26, s4, 64
	v_mbcnt_hi_u32_b32 v4, -1, v4
	s_addc_u32 s27, s5, 0
	s_waitcnt lgkmcnt(0)
	s_and_b32 s0, s0, 0xffff
	v_lshlrev_b32_e32 v3, 3, v16
	v_lshlrev_b32_e32 v4, 2, v4
	v_mad_u32_u24 v0, v16, s0, v17
	v_and_b32_e32 v18, 0x100, v4
	v_mov_b32_e32 v4, s25
	v_add_co_u32_e32 v6, vcc, s24, v3
	v_and_b32_e32 v2, 63, v0
	v_addc_co_u32_e32 v7, vcc, 0, v4, vcc
	v_cmp_gt_u32_e64 s[0:1], 8, v2
	v_add_co_u32_e32 v2, vcc, v6, v2
	v_addc_co_u32_e32 v3, vcc, 0, v7, vcc
	v_mul_lo_u32 v8, s19, v6
	v_mul_lo_u32 v9, s18, v7
	v_mad_u64_u32 v[6:7], s[30:31], s18, v6, 0
	v_mov_b32_e32 v1, 0
	v_lshl_add_u32 v0, s6, 5, v17
	s_lshl_b32 s4, s3, 3
	v_add3_u32 v7, v7, v9, v8
	s_mov_b32 s5, 0
	v_lshlrev_b64 v[6:7], 3, v[6:7]
	v_lshlrev_b64 v[0:1], 3, v[0:1]
	s_mul_i32 s3, s19, s4
	s_mul_hi_u32 s7, s18, s4
	s_lshl_b64 s[28:29], s[4:5], 3
	v_add_co_u32_e32 v6, vcc, v6, v0
	s_add_i32 s31, s7, s3
	s_mul_i32 s30, s18, s4
	s_lshl_b64 s[34:35], s[18:19], 3
	v_pk_mov_b32 v[8:9], 0, 0
	v_or_b32_e32 v19, 4, v18
	v_or_b32_e32 v20, 8, v18
	;; [unrolled: 1-line block ×7, first 2 shown]
	v_lshlrev_b64 v[4:5], 3, v[2:3]
	v_addc_co_u32_e32 v7, vcc, v7, v1, vcc
	s_lshl_b64 s[30:31], s[30:31], 3
	v_mov_b32_e32 v26, s9
	v_mov_b32_e32 v27, s11
	;; [unrolled: 1-line block ×4, first 2 shown]
	v_pk_mov_b32 v[0:1], v[8:9], v[8:9] op_sel:[0,1]
	v_pk_mov_b32 v[10:11], v[8:9], v[8:9] op_sel:[0,1]
	s_branch .LBB39_7
.LBB39_5:                               ;   in Loop: Header=BB39_7 Depth=1
	s_or_b64 exec, exec, s[38:39]
.LBB39_6:                               ;   in Loop: Header=BB39_7 Depth=1
	s_or_b64 exec, exec, s[36:37]
	v_add_co_u32_e32 v30, vcc, s10, v6
	v_addc_co_u32_e32 v31, vcc, v27, v7, vcc
	v_add_co_u32_e32 v34, vcc, s8, v6
	global_load_dwordx2 v[32:33], v[30:31], off
	v_addc_co_u32_e32 v35, vcc, v26, v7, vcc
	global_load_dwordx2 v[36:37], v[34:35], off
	v_add_co_u32_e32 v34, vcc, s34, v34
	v_addc_co_u32_e32 v35, vcc, v35, v28, vcc
	v_add_co_u32_e32 v30, vcc, s34, v30
	v_addc_co_u32_e32 v31, vcc, v31, v28, vcc
	global_load_dwordx2 v[42:43], v[34:35], off
	global_load_dwordx2 v[44:45], v[30:31], off
	v_add_co_u32_e32 v34, vcc, s34, v34
	v_addc_co_u32_e32 v35, vcc, v35, v28, vcc
	v_add_co_u32_e32 v30, vcc, s34, v30
	v_addc_co_u32_e32 v31, vcc, v31, v28, vcc
	global_load_dwordx2 v[46:47], v[34:35], off
	;; [unrolled: 6-line block ×4, first 2 shown]
	global_load_dwordx2 v[56:57], v[30:31], off
	v_add_co_u32_e32 v34, vcc, s34, v34
	v_addc_co_u32_e32 v35, vcc, v35, v28, vcc
	s_waitcnt vmcnt(11)
	ds_bpermute_b32 v40, v18, v14
	ds_bpermute_b32 v41, v18, v15
	v_add_co_u32_e32 v30, vcc, s34, v30
	v_addc_co_u32_e32 v31, vcc, v31, v28, vcc
	s_waitcnt vmcnt(10)
	ds_bpermute_b32 v38, v18, v12
	ds_bpermute_b32 v39, v18, v13
	global_load_dwordx2 v[58:59], v[30:31], off
	v_add_co_u32_e32 v30, vcc, s34, v30
	v_addc_co_u32_e32 v31, vcc, v31, v28, vcc
	v_add_co_u32_e32 v60, vcc, s34, v34
	v_addc_co_u32_e32 v61, vcc, v35, v28, vcc
	global_load_dwordx2 v[34:35], v[34:35], off
	s_add_u32 s24, s24, s4
	s_addc_u32 s25, s25, 0
	s_waitcnt vmcnt(11) lgkmcnt(2)
	v_add_f64 v[32:33], v[32:33], -v[40:41]
	global_load_dwordx2 v[40:41], v[60:61], off
	s_waitcnt vmcnt(11)
	v_mul_f64 v[32:33], v[36:37], v[32:33]
	s_waitcnt lgkmcnt(0)
	v_fmac_f64_e32 v[0:1], v[32:33], v[38:39]
	v_add_co_u32_e32 v38, vcc, s34, v60
	v_addc_co_u32_e32 v39, vcc, v61, v28, vcc
	global_load_dwordx2 v[32:33], v[30:31], off
	v_add_co_u32_e32 v30, vcc, s34, v30
	v_addc_co_u32_e32 v31, vcc, v31, v28, vcc
	global_load_dwordx2 v[60:61], v[30:31], off
	global_load_dwordx2 v[62:63], v[38:39], off
	ds_bpermute_b32 v30, v19, v14
	ds_bpermute_b32 v31, v19, v15
	v_add_f64 v[10:11], v[10:11], v[36:37]
	ds_bpermute_b32 v36, v19, v12
	ds_bpermute_b32 v37, v19, v13
	ds_bpermute_b32 v38, v20, v14
	s_waitcnt vmcnt(12) lgkmcnt(3)
	v_add_f64 v[30:31], v[44:45], -v[30:31]
	ds_bpermute_b32 v39, v20, v15
	v_mul_f64 v[30:31], v[42:43], v[30:31]
	s_waitcnt lgkmcnt(2)
	v_fmac_f64_e32 v[0:1], v[30:31], v[36:37]
	ds_bpermute_b32 v30, v20, v12
	ds_bpermute_b32 v31, v20, v13
	s_waitcnt vmcnt(10) lgkmcnt(2)
	v_add_f64 v[36:37], v[48:49], -v[38:39]
	ds_bpermute_b32 v38, v21, v14
	ds_bpermute_b32 v39, v21, v15
	v_mul_f64 v[36:37], v[46:47], v[36:37]
	s_waitcnt lgkmcnt(2)
	v_fmac_f64_e32 v[0:1], v[36:37], v[30:31]
	ds_bpermute_b32 v30, v21, v12
	ds_bpermute_b32 v31, v21, v13
	s_waitcnt vmcnt(8) lgkmcnt(2)
	v_add_f64 v[36:37], v[52:53], -v[38:39]
	ds_bpermute_b32 v38, v22, v14
	;; [unrolled: 9-line block ×3, first 2 shown]
	ds_bpermute_b32 v39, v23, v15
	v_mul_f64 v[36:37], v[54:55], v[36:37]
	s_waitcnt lgkmcnt(2)
	v_fmac_f64_e32 v[0:1], v[36:37], v[30:31]
	ds_bpermute_b32 v30, v23, v12
	ds_bpermute_b32 v31, v23, v13
	v_add_co_u32_e32 v4, vcc, s28, v4
	v_add_f64 v[10:11], v[10:11], v[42:43]
	v_addc_co_u32_e32 v5, vcc, v5, v29, vcc
	s_waitcnt vmcnt(5) lgkmcnt(2)
	v_add_f64 v[36:37], v[58:59], -v[38:39]
	ds_bpermute_b32 v38, v24, v14
	ds_bpermute_b32 v39, v24, v15
	;; [unrolled: 1-line block ×4, first 2 shown]
	v_add_f64 v[10:11], v[10:11], v[46:47]
	v_add_co_u32_e32 v2, vcc, s4, v2
	s_waitcnt vmcnt(4)
	v_mul_f64 v[36:37], v[34:35], v[36:37]
	s_waitcnt lgkmcnt(4)
	v_fmac_f64_e32 v[0:1], v[36:37], v[30:31]
	ds_bpermute_b32 v30, v24, v12
	ds_bpermute_b32 v31, v24, v13
	;; [unrolled: 1-line block ×4, first 2 shown]
	v_add_f64 v[10:11], v[10:11], v[50:51]
	v_add_f64 v[10:11], v[10:11], v[54:55]
	;; [unrolled: 1-line block ×3, first 2 shown]
	s_waitcnt vmcnt(3)
	v_add_f64 v[10:11], v[10:11], v[40:41]
	s_waitcnt vmcnt(2) lgkmcnt(6)
	v_add_f64 v[32:33], v[32:33], -v[38:39]
	v_mul_f64 v[32:33], v[40:41], v[32:33]
	s_waitcnt lgkmcnt(2)
	v_fmac_f64_e32 v[0:1], v[32:33], v[30:31]
	s_waitcnt vmcnt(1)
	v_add_f64 v[14:15], v[60:61], -v[14:15]
	s_waitcnt vmcnt(0)
	v_mul_f64 v[14:15], v[62:63], v[14:15]
	s_waitcnt lgkmcnt(0)
	v_fmac_f64_e32 v[0:1], v[14:15], v[12:13]
	v_mov_b32_e32 v12, s5
	v_addc_co_u32_e32 v3, vcc, v3, v12, vcc
	v_mov_b32_e32 v12, s31
	v_add_co_u32_e32 v6, vcc, s30, v6
	v_addc_co_u32_e32 v7, vcc, v7, v12, vcc
	v_pk_mov_b32 v[12:13], s[16:17], s[16:17] op_sel:[0,1]
	v_cmp_lt_i64_e32 vcc, s[24:25], v[12:13]
	v_add_f64 v[10:11], v[10:11], v[62:63]
	s_cbranch_vccz .LBB39_10
.LBB39_7:                               ; =>This Inner Loop Header: Depth=1
	v_pk_mov_b32 v[12:13], v[8:9], v[8:9] op_sel:[0,1]
	v_pk_mov_b32 v[14:15], v[8:9], v[8:9] op_sel:[0,1]
	s_and_saveexec_b64 s[36:37], s[0:1]
	s_cbranch_execz .LBB39_6
; %bb.8:                                ;   in Loop: Header=BB39_7 Depth=1
	v_pk_mov_b32 v[14:15], 0, 0
	v_cmp_gt_i64_e32 vcc, s[16:17], v[2:3]
	v_pk_mov_b32 v[12:13], v[14:15], v[14:15] op_sel:[0,1]
	s_and_saveexec_b64 s[38:39], vcc
	s_cbranch_execz .LBB39_5
; %bb.9:                                ;   in Loop: Header=BB39_7 Depth=1
	v_mov_b32_e32 v12, s15
	v_add_co_u32_e32 v30, vcc, s14, v4
	v_addc_co_u32_e32 v31, vcc, v12, v5, vcc
	v_mov_b32_e32 v12, s13
	v_add_co_u32_e32 v32, vcc, s12, v4
	v_addc_co_u32_e32 v33, vcc, v12, v5, vcc
	global_load_dwordx2 v[14:15], v[32:33], off
	global_load_dwordx2 v[12:13], v[30:31], off
	s_branch .LBB39_5
.LBB39_10:
	v_mov_b32_e32 v2, v16
.LBB39_11:
	s_mov_b32 s7, 0
	s_lshl_b64 s[0:1], s[6:7], 5
	v_mov_b32_e32 v4, s1
	s_load_dword s1, s[26:27], 0xc
	v_add_co_u32_e32 v8, vcc, s0, v17
	v_mov_b32_e32 v3, 0
	v_addc_co_u32_e32 v9, vcc, 0, v4, vcc
	s_waitcnt lgkmcnt(0)
	s_lshr_b32 s0, s1, 16
	v_mov_b32_e32 v4, s2
	v_mad_u64_u32 v[4:5], s[0:1], s0, v4, v[2:3]
	s_cmp_eq_u64 s[20:21], 0
	v_mul_lo_u32 v5, v5, s18
	v_mul_lo_u32 v6, v4, s19
	v_lshlrev_b64 v[2:3], 3, v[8:9]
	s_cbranch_scc1 .LBB39_13
; %bb.12:
	v_mad_u64_u32 v[8:9], s[0:1], v4, s18, 0
	v_add3_u32 v9, v9, v6, v5
	v_lshlrev_b64 v[8:9], 3, v[8:9]
	v_mov_b32_e32 v7, s21
	v_add_co_u32_e32 v8, vcc, s20, v8
	v_addc_co_u32_e32 v7, vcc, v7, v9, vcc
	v_add_co_u32_e32 v8, vcc, v8, v2
	v_addc_co_u32_e32 v9, vcc, v7, v3, vcc
	global_store_dwordx2 v[8:9], v[0:1], off
.LBB39_13:
	s_cmp_eq_u64 s[22:23], 0
	s_cbranch_scc1 .LBB39_15
; %bb.14:
	v_mad_u64_u32 v[0:1], s[0:1], v4, s18, 0
	v_add3_u32 v1, v1, v6, v5
	v_lshlrev_b64 v[0:1], 3, v[0:1]
	v_mov_b32_e32 v4, s23
	v_add_co_u32_e32 v0, vcc, s22, v0
	v_addc_co_u32_e32 v1, vcc, v4, v1, vcc
	v_add_co_u32_e32 v0, vcc, v0, v2
	v_addc_co_u32_e32 v1, vcc, v1, v3, vcc
	global_store_dwordx2 v[0:1], v[10:11], off
.LBB39_15:
	s_endpgm
	.section	.rodata,"a",@progbits
	.p2align	6, 0x0
	.amdhsa_kernel _ZN2at6native12_GLOBAL__N_135GammaBetaBackwardCUDAKernelTemplateIddLj32ELj1ELj8ELb1ELb1ELb0EEEvllPKT_S5_PKT0_S8_PS3_S9_
		.amdhsa_group_segment_fixed_size 0
		.amdhsa_private_segment_fixed_size 0
		.amdhsa_kernarg_size 320
		.amdhsa_user_sgpr_count 6
		.amdhsa_user_sgpr_private_segment_buffer 1
		.amdhsa_user_sgpr_dispatch_ptr 0
		.amdhsa_user_sgpr_queue_ptr 0
		.amdhsa_user_sgpr_kernarg_segment_ptr 1
		.amdhsa_user_sgpr_dispatch_id 0
		.amdhsa_user_sgpr_flat_scratch_init 0
		.amdhsa_user_sgpr_kernarg_preload_length 0
		.amdhsa_user_sgpr_kernarg_preload_offset 0
		.amdhsa_user_sgpr_private_segment_size 0
		.amdhsa_uses_dynamic_stack 0
		.amdhsa_system_sgpr_private_segment_wavefront_offset 0
		.amdhsa_system_sgpr_workgroup_id_x 1
		.amdhsa_system_sgpr_workgroup_id_y 1
		.amdhsa_system_sgpr_workgroup_id_z 0
		.amdhsa_system_sgpr_workgroup_info 0
		.amdhsa_system_vgpr_workitem_id 1
		.amdhsa_next_free_vgpr 64
		.amdhsa_next_free_sgpr 40
		.amdhsa_accum_offset 64
		.amdhsa_reserve_vcc 1
		.amdhsa_reserve_flat_scratch 0
		.amdhsa_float_round_mode_32 0
		.amdhsa_float_round_mode_16_64 0
		.amdhsa_float_denorm_mode_32 3
		.amdhsa_float_denorm_mode_16_64 3
		.amdhsa_dx10_clamp 1
		.amdhsa_ieee_mode 1
		.amdhsa_fp16_overflow 0
		.amdhsa_tg_split 0
		.amdhsa_exception_fp_ieee_invalid_op 0
		.amdhsa_exception_fp_denorm_src 0
		.amdhsa_exception_fp_ieee_div_zero 0
		.amdhsa_exception_fp_ieee_overflow 0
		.amdhsa_exception_fp_ieee_underflow 0
		.amdhsa_exception_fp_ieee_inexact 0
		.amdhsa_exception_int_div_zero 0
	.end_amdhsa_kernel
	.section	.text._ZN2at6native12_GLOBAL__N_135GammaBetaBackwardCUDAKernelTemplateIddLj32ELj1ELj8ELb1ELb1ELb0EEEvllPKT_S5_PKT0_S8_PS3_S9_,"axG",@progbits,_ZN2at6native12_GLOBAL__N_135GammaBetaBackwardCUDAKernelTemplateIddLj32ELj1ELj8ELb1ELb1ELb0EEEvllPKT_S5_PKT0_S8_PS3_S9_,comdat
.Lfunc_end39:
	.size	_ZN2at6native12_GLOBAL__N_135GammaBetaBackwardCUDAKernelTemplateIddLj32ELj1ELj8ELb1ELb1ELb0EEEvllPKT_S5_PKT0_S8_PS3_S9_, .Lfunc_end39-_ZN2at6native12_GLOBAL__N_135GammaBetaBackwardCUDAKernelTemplateIddLj32ELj1ELj8ELb1ELb1ELb0EEEvllPKT_S5_PKT0_S8_PS3_S9_
                                        ; -- End function
	.section	.AMDGPU.csdata,"",@progbits
; Kernel info:
; codeLenInByte = 1608
; NumSgprs: 44
; NumVgprs: 64
; NumAgprs: 0
; TotalNumVgprs: 64
; ScratchSize: 0
; MemoryBound: 0
; FloatMode: 240
; IeeeMode: 1
; LDSByteSize: 0 bytes/workgroup (compile time only)
; SGPRBlocks: 5
; VGPRBlocks: 7
; NumSGPRsForWavesPerEU: 44
; NumVGPRsForWavesPerEU: 64
; AccumOffset: 64
; Occupancy: 8
; WaveLimiterHint : 0
; COMPUTE_PGM_RSRC2:SCRATCH_EN: 0
; COMPUTE_PGM_RSRC2:USER_SGPR: 6
; COMPUTE_PGM_RSRC2:TRAP_HANDLER: 0
; COMPUTE_PGM_RSRC2:TGID_X_EN: 1
; COMPUTE_PGM_RSRC2:TGID_Y_EN: 1
; COMPUTE_PGM_RSRC2:TGID_Z_EN: 0
; COMPUTE_PGM_RSRC2:TIDIG_COMP_CNT: 1
; COMPUTE_PGM_RSRC3_GFX90A:ACCUM_OFFSET: 15
; COMPUTE_PGM_RSRC3_GFX90A:TG_SPLIT: 0
	.section	.text._ZN2at6native12_GLOBAL__N_135GammaBetaBackwardCUDAKernelTemplateIddLj32ELj1ELj8ELb1ELb0ELb0EEEvllPKT_S5_PKT0_S8_PS3_S9_,"axG",@progbits,_ZN2at6native12_GLOBAL__N_135GammaBetaBackwardCUDAKernelTemplateIddLj32ELj1ELj8ELb1ELb0ELb0EEEvllPKT_S5_PKT0_S8_PS3_S9_,comdat
	.globl	_ZN2at6native12_GLOBAL__N_135GammaBetaBackwardCUDAKernelTemplateIddLj32ELj1ELj8ELb1ELb0ELb0EEEvllPKT_S5_PKT0_S8_PS3_S9_ ; -- Begin function _ZN2at6native12_GLOBAL__N_135GammaBetaBackwardCUDAKernelTemplateIddLj32ELj1ELj8ELb1ELb0ELb0EEEvllPKT_S5_PKT0_S8_PS3_S9_
	.p2align	8
	.type	_ZN2at6native12_GLOBAL__N_135GammaBetaBackwardCUDAKernelTemplateIddLj32ELj1ELj8ELb1ELb0ELb0EEEvllPKT_S5_PKT0_S8_PS3_S9_,@function
_ZN2at6native12_GLOBAL__N_135GammaBetaBackwardCUDAKernelTemplateIddLj32ELj1ELj8ELb1ELb0ELb0EEEvllPKT_S5_PKT0_S8_PS3_S9_: ; @_ZN2at6native12_GLOBAL__N_135GammaBetaBackwardCUDAKernelTemplateIddLj32ELj1ELj8ELb1ELb0ELb0EEEvllPKT_S5_PKT0_S8_PS3_S9_
; %bb.0:
	s_load_dwordx8 s[36:43], s[4:5], 0x0
	s_load_dwordx4 s[28:31], s[4:5], 0x20
	s_mov_b32 s8, s7
	s_lshl_b32 s7, s6, 5
	s_or_b32 s34, s7, 31
	s_mov_b32 s35, 0
	s_waitcnt lgkmcnt(0)
	v_pk_mov_b32 v[2:3], s[38:39], s[38:39] op_sel:[0,1]
	v_cmp_ge_i64_e32 vcc, s[34:35], v[2:3]
	s_lshl_b32 s34, s8, 3
	v_pk_mov_b32 v[2:3], s[36:37], s[36:37] op_sel:[0,1]
	v_cmp_lt_i64_e64 s[0:1], s[34:35], v[2:3]
	v_cndmask_b32_e64 v1, 0, 1, s[0:1]
	v_cmp_ne_u32_e64 s[0:1], 1, v1
	s_cbranch_vccz .LBB40_49
; %bb.1:
	v_pk_mov_b32 v[50:51], 0, 0
	s_mov_b64 s[44:45], 0
	s_and_b64 vcc, exec, s[0:1]
	v_pk_mov_b32 v[52:53], v[50:51], v[50:51] op_sel:[0,1]
	s_cbranch_vccnz .LBB40_50
; %bb.2:
	v_and_b32_e32 v89, 0x3ff, v0
	v_mov_b32_e32 v4, 0
	v_bfe_u32 v98, v0, 10, 10
	v_add_u32_e32 v2, s7, v89
	v_mov_b32_e32 v3, v4
	v_lshlrev_b32_e32 v54, 3, v98
	v_cmp_gt_i64_e64 s[2:3], s[38:39], v[2:3]
	v_lshlrev_b64 v[56:57], 3, v[2:3]
	v_mov_b32_e32 v2, s35
	v_add_co_u32_e32 v5, vcc, s34, v54
	v_addc_co_u32_e32 v6, vcc, 0, v2, vcc
	v_add_co_u32_e32 v2, vcc, 7, v5
	v_addc_co_u32_e32 v3, vcc, 0, v6, vcc
	v_mul_lo_u32 v7, s39, v2
	v_mul_lo_u32 v8, s38, v3
	v_mad_u64_u32 v[2:3], s[10:11], s38, v2, 0
	s_load_dword s9, s[4:5], 0x44
	v_add3_u32 v3, v3, v8, v7
	v_lshlrev_b64 v[2:3], 3, v[2:3]
	v_mov_b32_e32 v7, s41
	v_add_co_u32_e32 v58, vcc, s40, v2
	v_addc_co_u32_e32 v55, vcc, v7, v3, vcc
	s_add_u32 s46, s4, 64
	v_mov_b32_e32 v8, s43
	v_add_co_u32_e32 v60, vcc, s42, v2
	s_addc_u32 s47, s5, 0
	s_waitcnt lgkmcnt(0)
	s_lshl_b32 s9, s9, 3
	v_addc_co_u32_e32 v59, vcc, v8, v3, vcc
	s_mul_i32 s10, s39, s9
	s_mul_hi_u32 s11, s38, s9
	v_add_co_u32_e32 v2, vcc, 6, v5
	s_add_i32 s11, s11, s10
	s_mul_i32 s10, s38, s9
	v_addc_co_u32_e32 v3, vcc, 0, v6, vcc
	s_lshl_b64 s[50:51], s[10:11], 3
	v_mul_lo_u32 v9, s39, v2
	v_mul_lo_u32 v10, s38, v3
	v_mad_u64_u32 v[2:3], s[10:11], s38, v2, 0
	v_add3_u32 v3, v3, v10, v9
	v_lshlrev_b64 v[2:3], 3, v[2:3]
	v_add_co_u32_e32 v62, vcc, s40, v2
	v_addc_co_u32_e32 v61, vcc, v7, v3, vcc
	v_add_co_u32_e32 v64, vcc, s42, v2
	v_addc_co_u32_e32 v63, vcc, v8, v3, vcc
	v_add_co_u32_e32 v2, vcc, 5, v5
	v_addc_co_u32_e32 v3, vcc, 0, v6, vcc
	v_mul_lo_u32 v9, s39, v2
	v_mul_lo_u32 v10, s38, v3
	v_mad_u64_u32 v[2:3], s[10:11], s38, v2, 0
	v_add3_u32 v3, v3, v10, v9
	v_lshlrev_b64 v[2:3], 3, v[2:3]
	v_add_co_u32_e32 v66, vcc, s40, v2
	v_addc_co_u32_e32 v65, vcc, v7, v3, vcc
	v_add_co_u32_e32 v68, vcc, s42, v2
	v_addc_co_u32_e32 v67, vcc, v8, v3, vcc
	v_add_co_u32_e32 v2, vcc, 4, v5
	v_addc_co_u32_e32 v3, vcc, 0, v6, vcc
	;; [unrolled: 11-line block ×4, first 2 shown]
	v_mul_lo_u32 v9, s39, v2
	v_mul_lo_u32 v10, s38, v3
	v_mad_u64_u32 v[2:3], s[10:11], s38, v2, 0
	v_add3_u32 v3, v3, v10, v9
	v_lshlrev_b64 v[2:3], 3, v[2:3]
	v_add_co_u32_e32 v78, vcc, s40, v2
	v_addc_co_u32_e32 v77, vcc, v7, v3, vcc
	v_add_co_u32_e32 v80, vcc, s42, v2
	v_addc_co_u32_e32 v79, vcc, v8, v3, vcc
	v_pk_mov_b32 v[2:3], s[38:39], s[38:39] op_sel:[0,1]
	v_mad_u64_u32 v[2:3], s[10:11], s38, v5, v[2:3]
	v_mul_lo_u32 v6, s38, v6
	v_mul_lo_u32 v9, s39, v5
	v_add3_u32 v3, v9, v3, v6
	v_lshlrev_b64 v[2:3], 3, v[2:3]
	v_add_co_u32_e32 v82, vcc, s40, v2
	v_addc_co_u32_e32 v81, vcc, v7, v3, vcc
	v_add_co_u32_e32 v84, vcc, s42, v2
	v_addc_co_u32_e32 v83, vcc, v8, v3, vcc
	v_mad_u64_u32 v[2:3], s[10:11], s38, v5, 0
	v_add3_u32 v3, v3, v6, v9
	v_lshlrev_b64 v[2:3], 3, v[2:3]
	v_add_co_u32_e32 v86, vcc, s40, v2
	v_addc_co_u32_e32 v85, vcc, v7, v3, vcc
	v_add_co_u32_e32 v88, vcc, s42, v2
	v_mbcnt_lo_u32_b32 v2, -1, 0
	v_mbcnt_hi_u32_b32 v2, -1, v2
	s_mov_b32 s12, 0
	v_pk_mov_b32 v[90:91], 0, 0
	v_lshlrev_b32_e32 v2, 2, v2
	v_mov_b32_e32 v1, v4
	s_mov_b32 s33, s12
	s_mov_b64 s[48:49], 7
	v_addc_co_u32_e32 v87, vcc, v8, v3, vcc
	v_and_b32_e32 v99, 0x100, v2
	v_pk_mov_b32 v[50:51], v[90:91], v[90:91] op_sel:[0,1]
	s_mov_b64 s[52:53], s[34:35]
.LBB40_3:                               ; =>This Inner Loop Header: Depth=1
	s_add_u32 s10, s34, s48
	s_addc_u32 s11, 0, s49
	v_pk_mov_b32 v[2:3], s[36:37], s[36:37] op_sel:[0,1]
	v_cmp_ge_i64_e32 vcc, s[10:11], v[2:3]
	v_mov_b32_e32 v2, s35
	v_add_co_u32_e64 v92, s[10:11], s34, v54
	v_addc_co_u32_e64 v93, s[10:11], v2, v1, s[10:11]
	s_cbranch_vccz .LBB40_25
; %bb.4:                                ;   in Loop: Header=BB40_3 Depth=1
	s_load_dword s10, s[46:47], 0xc
	v_pk_mov_b32 v[96:97], 0, 0
	v_pk_mov_b32 v[94:95], v[96:97], v[96:97] op_sel:[0,1]
	s_waitcnt lgkmcnt(0)
	s_and_b32 s10, s10, 0xffff
	v_mad_u32_u24 v2, v98, s10, v89
	v_and_b32_e32 v2, 63, v2
	v_cmp_gt_u32_e32 vcc, 8, v2
	s_and_saveexec_b64 s[10:11], vcc
	s_cbranch_execz .LBB40_8
; %bb.5:                                ;   in Loop: Header=BB40_3 Depth=1
	v_add_co_u32_e32 v2, vcc, v92, v2
	v_addc_co_u32_e32 v3, vcc, 0, v93, vcc
	v_pk_mov_b32 v[94:95], 0, 0
	v_cmp_gt_i64_e32 vcc, s[36:37], v[2:3]
	v_pk_mov_b32 v[96:97], v[94:95], v[94:95] op_sel:[0,1]
	s_and_saveexec_b64 s[14:15], vcc
	s_cbranch_execz .LBB40_7
; %bb.6:                                ;   in Loop: Header=BB40_3 Depth=1
	v_lshlrev_b64 v[2:3], 3, v[2:3]
	v_mov_b32_e32 v5, s31
	v_add_co_u32_e32 v6, vcc, s30, v2
	v_addc_co_u32_e32 v7, vcc, v5, v3, vcc
	v_mov_b32_e32 v5, s29
	v_add_co_u32_e32 v2, vcc, s28, v2
	v_addc_co_u32_e32 v3, vcc, v5, v3, vcc
	global_load_dwordx2 v[94:95], v[2:3], off
	global_load_dwordx2 v[96:97], v[6:7], off
.LBB40_7:                               ;   in Loop: Header=BB40_3 Depth=1
	s_or_b64 exec, exec, s[14:15]
.LBB40_8:                               ;   in Loop: Header=BB40_3 Depth=1
	s_or_b64 exec, exec, s[10:11]
	s_mov_b32 s26, s12
	s_mov_b32 s27, s12
	;; [unrolled: 1-line block ×15, first 2 shown]
	v_pk_mov_b32 v[32:33], s[26:27], s[26:27] op_sel:[0,1]
	v_cmp_gt_i64_e32 vcc, s[36:37], v[92:93]
	v_pk_mov_b32 v[30:31], s[24:25], s[24:25] op_sel:[0,1]
	v_pk_mov_b32 v[28:29], s[22:23], s[22:23] op_sel:[0,1]
	;; [unrolled: 1-line block ×8, first 2 shown]
	s_and_b64 s[54:55], s[2:3], vcc
	v_pk_mov_b32 v[46:47], v[30:31], v[30:31] op_sel:[0,1]
	v_pk_mov_b32 v[44:45], v[28:29], v[28:29] op_sel:[0,1]
	;; [unrolled: 1-line block ×7, first 2 shown]
	s_and_saveexec_b64 s[10:11], s[54:55]
	s_cbranch_execz .LBB40_10
; %bb.9:                                ;   in Loop: Header=BB40_3 Depth=1
	v_add_co_u32_e32 v2, vcc, v86, v56
	v_addc_co_u32_e32 v3, vcc, v85, v57, vcc
	v_add_co_u32_e32 v6, vcc, v88, v56
	global_load_dwordx2 v[2:3], v[2:3], off
	v_addc_co_u32_e32 v7, vcc, v87, v57, vcc
	global_load_dwordx2 v[18:19], v[6:7], off
	v_mov_b32_e32 v16, v4
	v_mov_b32_e32 v17, v4
	;; [unrolled: 1-line block ×13, first 2 shown]
	s_waitcnt vmcnt(1)
	v_pk_mov_b32 v[48:49], v[16:17], v[16:17] op_sel:[0,1]
	v_mov_b32_e32 v20, v4
	v_mov_b32_e32 v21, v4
	;; [unrolled: 1-line block ×14, first 2 shown]
	v_pk_mov_b32 v[46:47], v[14:15], v[14:15] op_sel:[0,1]
	v_pk_mov_b32 v[44:45], v[12:13], v[12:13] op_sel:[0,1]
	;; [unrolled: 1-line block ×7, first 2 shown]
.LBB40_10:                              ;   in Loop: Header=BB40_3 Depth=1
	s_or_b64 exec, exec, s[10:11]
	v_add_co_u32_e32 v2, vcc, 1, v92
	v_addc_co_u32_e32 v3, vcc, 0, v93, vcc
	v_cmp_gt_i64_e32 vcc, s[36:37], v[2:3]
	s_and_b64 s[14:15], s[2:3], vcc
	s_and_saveexec_b64 s[10:11], s[14:15]
	s_cbranch_execz .LBB40_12
; %bb.11:                               ;   in Loop: Header=BB40_3 Depth=1
	v_add_co_u32_e32 v2, vcc, v82, v56
	v_addc_co_u32_e32 v3, vcc, v81, v57, vcc
	global_load_dwordx2 v[36:37], v[2:3], off
	v_add_co_u32_e32 v2, vcc, v84, v56
	v_addc_co_u32_e32 v3, vcc, v83, v57, vcc
	global_load_dwordx2 v[20:21], v[2:3], off
.LBB40_12:                              ;   in Loop: Header=BB40_3 Depth=1
	s_or_b64 exec, exec, s[10:11]
	v_add_co_u32_e32 v2, vcc, 2, v92
	v_addc_co_u32_e32 v3, vcc, 0, v93, vcc
	v_cmp_gt_i64_e32 vcc, s[36:37], v[2:3]
	s_and_b64 s[14:15], s[2:3], vcc
	s_and_saveexec_b64 s[10:11], s[14:15]
	s_cbranch_execz .LBB40_14
; %bb.13:                               ;   in Loop: Header=BB40_3 Depth=1
	v_add_co_u32_e32 v2, vcc, v78, v56
	v_addc_co_u32_e32 v3, vcc, v77, v57, vcc
	global_load_dwordx2 v[38:39], v[2:3], off
	v_add_co_u32_e32 v2, vcc, v80, v56
	v_addc_co_u32_e32 v3, vcc, v79, v57, vcc
	global_load_dwordx2 v[22:23], v[2:3], off
.LBB40_14:                              ;   in Loop: Header=BB40_3 Depth=1
	;; [unrolled: 15-line block ×7, first 2 shown]
	s_or_b64 exec, exec, s[10:11]
	s_waitcnt vmcnt(1)
	ds_bpermute_b32 v2, v99, v94
	ds_bpermute_b32 v3, v99, v95
	s_waitcnt vmcnt(0)
	ds_bpermute_b32 v6, v99, v96
	ds_bpermute_b32 v7, v99, v97
	ds_bpermute_b32 v8, v99, v94 offset:4
	ds_bpermute_b32 v9, v99, v95 offset:4
	s_waitcnt lgkmcnt(4)
	v_add_f64 v[2:3], v[18:19], -v[2:3]
	v_mul_f64 v[2:3], v[34:35], v[2:3]
	s_waitcnt lgkmcnt(2)
	v_fma_f64 v[52:53], v[2:3], v[6:7], v[90:91]
	ds_bpermute_b32 v6, v99, v96 offset:4
	ds_bpermute_b32 v7, v99, v97 offset:4
	;; [unrolled: 1-line block ×4, first 2 shown]
	s_waitcnt lgkmcnt(4)
	v_add_f64 v[8:9], v[20:21], -v[8:9]
	v_mul_f64 v[8:9], v[36:37], v[8:9]
	s_waitcnt lgkmcnt(2)
	v_fmac_f64_e32 v[52:53], v[8:9], v[6:7]
	ds_bpermute_b32 v6, v99, v96 offset:8
	ds_bpermute_b32 v7, v99, v97 offset:8
	s_waitcnt lgkmcnt(2)
	v_add_f64 v[8:9], v[22:23], -v[10:11]
	ds_bpermute_b32 v10, v99, v94 offset:12
	ds_bpermute_b32 v11, v99, v95 offset:12
	v_mul_f64 v[8:9], v[38:39], v[8:9]
	s_waitcnt lgkmcnt(2)
	v_fmac_f64_e32 v[52:53], v[8:9], v[6:7]
	ds_bpermute_b32 v6, v99, v96 offset:12
	ds_bpermute_b32 v7, v99, v97 offset:12
	s_waitcnt lgkmcnt(2)
	v_add_f64 v[8:9], v[24:25], -v[10:11]
	ds_bpermute_b32 v10, v99, v94 offset:16
	ds_bpermute_b32 v11, v99, v95 offset:16
	;; [unrolled: 9-line block ×3, first 2 shown]
	v_mul_f64 v[8:9], v[42:43], v[8:9]
	v_add_f64 v[2:3], v[50:51], v[34:35]
	s_waitcnt lgkmcnt(2)
	v_fmac_f64_e32 v[52:53], v[8:9], v[6:7]
	ds_bpermute_b32 v6, v99, v96 offset:20
	ds_bpermute_b32 v7, v99, v97 offset:20
	v_add_f64 v[2:3], v[36:37], v[2:3]
	v_add_f64 v[2:3], v[38:39], v[2:3]
	s_waitcnt lgkmcnt(2)
	v_add_f64 v[8:9], v[28:29], -v[10:11]
	ds_bpermute_b32 v10, v99, v94 offset:24
	ds_bpermute_b32 v11, v99, v95 offset:24
	v_add_f64 v[2:3], v[40:41], v[2:3]
	v_add_f64 v[2:3], v[42:43], v[2:3]
	v_mul_f64 v[8:9], v[44:45], v[8:9]
	ds_bpermute_b32 v12, v99, v96 offset:24
	ds_bpermute_b32 v13, v99, v97 offset:24
	s_waitcnt lgkmcnt(4)
	v_fmac_f64_e32 v[52:53], v[8:9], v[6:7]
	v_add_f64 v[8:9], v[44:45], v[2:3]
	ds_bpermute_b32 v2, v99, v96 offset:28
	ds_bpermute_b32 v3, v99, v97 offset:28
	;; [unrolled: 1-line block ×4, first 2 shown]
	s_waitcnt lgkmcnt(6)
	v_add_f64 v[10:11], v[30:31], -v[10:11]
	v_mul_f64 v[10:11], v[46:47], v[10:11]
	s_waitcnt lgkmcnt(4)
	v_fmac_f64_e32 v[52:53], v[10:11], v[12:13]
	v_add_f64 v[8:9], v[46:47], v[8:9]
	s_branch .LBB40_40
.LBB40_25:                              ;   in Loop: Header=BB40_3 Depth=1
                                        ; implicit-def: $vgpr2_vgpr3
                                        ; implicit-def: $vgpr18_vgpr19_vgpr20_vgpr21_vgpr22_vgpr23_vgpr24_vgpr25_vgpr26_vgpr27_vgpr28_vgpr29_vgpr30_vgpr31_vgpr32_vgpr33
                                        ; implicit-def: $vgpr34_vgpr35_vgpr36_vgpr37_vgpr38_vgpr39_vgpr40_vgpr41_vgpr42_vgpr43_vgpr44_vgpr45_vgpr46_vgpr47_vgpr48_vgpr49
                                        ; implicit-def: $vgpr6
                                        ; implicit-def: $vgpr8_vgpr9
                                        ; implicit-def: $vgpr52_vgpr53
	s_cbranch_execz .LBB40_40
; %bb.26:                               ;   in Loop: Header=BB40_3 Depth=1
	s_load_dword s10, s[46:47], 0x0
	v_pk_mov_b32 v[94:95], 0, 0
	v_pk_mov_b32 v[52:53], v[94:95], v[94:95] op_sel:[0,1]
	s_waitcnt lgkmcnt(0)
	s_cmp_lt_u32 s6, s10
	s_cselect_b32 s10, 12, 18
	s_add_u32 s10, s46, s10
	s_addc_u32 s11, s47, 0
	global_load_ushort v2, v4, s[10:11]
	s_waitcnt vmcnt(0)
	v_mad_u32_u24 v2, v98, v2, v89
	v_and_b32_e32 v2, 63, v2
	v_cmp_gt_u32_e32 vcc, 8, v2
	s_and_saveexec_b64 s[10:11], vcc
	s_cbranch_execz .LBB40_30
; %bb.27:                               ;   in Loop: Header=BB40_3 Depth=1
	v_add_co_u32_e32 v2, vcc, v92, v2
	v_addc_co_u32_e32 v3, vcc, 0, v93, vcc
	v_pk_mov_b32 v[52:53], 0, 0
	v_cmp_gt_i64_e32 vcc, s[36:37], v[2:3]
	v_pk_mov_b32 v[94:95], v[52:53], v[52:53] op_sel:[0,1]
	s_and_saveexec_b64 s[14:15], vcc
	s_cbranch_execz .LBB40_29
; %bb.28:                               ;   in Loop: Header=BB40_3 Depth=1
	v_lshlrev_b64 v[2:3], 3, v[2:3]
	v_mov_b32_e32 v5, s31
	v_add_co_u32_e32 v6, vcc, s30, v2
	v_addc_co_u32_e32 v7, vcc, v5, v3, vcc
	v_mov_b32_e32 v5, s29
	v_add_co_u32_e32 v2, vcc, s28, v2
	v_addc_co_u32_e32 v3, vcc, v5, v3, vcc
	global_load_dwordx2 v[52:53], v[2:3], off
	global_load_dwordx2 v[94:95], v[6:7], off
.LBB40_29:                              ;   in Loop: Header=BB40_3 Depth=1
	s_or_b64 exec, exec, s[14:15]
.LBB40_30:                              ;   in Loop: Header=BB40_3 Depth=1
	s_or_b64 exec, exec, s[10:11]
	s_mov_b32 s26, s12
	s_mov_b32 s27, s12
	;; [unrolled: 1-line block ×15, first 2 shown]
	v_pk_mov_b32 v[32:33], s[26:27], s[26:27] op_sel:[0,1]
	v_pk_mov_b32 v[30:31], s[24:25], s[24:25] op_sel:[0,1]
	v_pk_mov_b32 v[28:29], s[22:23], s[22:23] op_sel:[0,1]
	v_pk_mov_b32 v[26:27], s[20:21], s[20:21] op_sel:[0,1]
	v_pk_mov_b32 v[24:25], s[18:19], s[18:19] op_sel:[0,1]
	v_pk_mov_b32 v[22:23], s[16:17], s[16:17] op_sel:[0,1]
	v_pk_mov_b32 v[20:21], s[14:15], s[14:15] op_sel:[0,1]
	v_pk_mov_b32 v[18:19], s[12:13], s[12:13] op_sel:[0,1]
	v_pk_mov_b32 v[48:49], v[32:33], v[32:33] op_sel:[0,1]
	v_pk_mov_b32 v[46:47], v[30:31], v[30:31] op_sel:[0,1]
	v_pk_mov_b32 v[44:45], v[28:29], v[28:29] op_sel:[0,1]
	v_pk_mov_b32 v[42:43], v[26:27], v[26:27] op_sel:[0,1]
	v_pk_mov_b32 v[40:41], v[24:25], v[24:25] op_sel:[0,1]
	v_pk_mov_b32 v[38:39], v[22:23], v[22:23] op_sel:[0,1]
	v_pk_mov_b32 v[36:37], v[20:21], v[20:21] op_sel:[0,1]
	v_pk_mov_b32 v[34:35], v[18:19], v[18:19] op_sel:[0,1]
	s_and_saveexec_b64 s[10:11], s[2:3]
	s_cbranch_execnz .LBB40_42
; %bb.31:                               ;   in Loop: Header=BB40_3 Depth=1
	s_or_b64 exec, exec, s[10:11]
	s_and_saveexec_b64 s[10:11], s[2:3]
	s_cbranch_execnz .LBB40_43
.LBB40_32:                              ;   in Loop: Header=BB40_3 Depth=1
	s_or_b64 exec, exec, s[10:11]
	s_and_saveexec_b64 s[10:11], s[2:3]
	s_cbranch_execnz .LBB40_44
.LBB40_33:                              ;   in Loop: Header=BB40_3 Depth=1
	s_or_b64 exec, exec, s[10:11]
	s_and_saveexec_b64 s[10:11], s[2:3]
	s_cbranch_execnz .LBB40_45
.LBB40_34:                              ;   in Loop: Header=BB40_3 Depth=1
	s_or_b64 exec, exec, s[10:11]
	s_and_saveexec_b64 s[10:11], s[2:3]
	s_cbranch_execnz .LBB40_46
.LBB40_35:                              ;   in Loop: Header=BB40_3 Depth=1
	s_or_b64 exec, exec, s[10:11]
	s_and_saveexec_b64 s[10:11], s[2:3]
	s_cbranch_execnz .LBB40_47
.LBB40_36:                              ;   in Loop: Header=BB40_3 Depth=1
	s_or_b64 exec, exec, s[10:11]
	s_and_saveexec_b64 s[10:11], s[2:3]
	s_cbranch_execnz .LBB40_48
.LBB40_37:                              ;   in Loop: Header=BB40_3 Depth=1
	s_or_b64 exec, exec, s[10:11]
	s_and_saveexec_b64 s[10:11], s[2:3]
	s_cbranch_execz .LBB40_39
.LBB40_38:                              ;   in Loop: Header=BB40_3 Depth=1
	v_add_co_u32_e32 v2, vcc, v58, v56
	v_addc_co_u32_e32 v3, vcc, v55, v57, vcc
	global_load_dwordx2 v[48:49], v[2:3], off
	v_add_co_u32_e32 v2, vcc, v60, v56
	v_addc_co_u32_e32 v3, vcc, v59, v57, vcc
	global_load_dwordx2 v[32:33], v[2:3], off
.LBB40_39:                              ;   in Loop: Header=BB40_3 Depth=1
	s_or_b64 exec, exec, s[10:11]
	s_waitcnt vmcnt(1)
	ds_bpermute_b32 v2, v99, v52
	ds_bpermute_b32 v3, v99, v53
	s_waitcnt vmcnt(0)
	ds_bpermute_b32 v6, v99, v94
	ds_bpermute_b32 v7, v99, v95
	ds_bpermute_b32 v8, v99, v52 offset:4
	ds_bpermute_b32 v9, v99, v53 offset:4
	s_waitcnt lgkmcnt(4)
	v_add_f64 v[2:3], v[18:19], -v[2:3]
	v_mul_f64 v[2:3], v[34:35], v[2:3]
	s_waitcnt lgkmcnt(2)
	v_fmac_f64_e32 v[90:91], v[2:3], v[6:7]
	ds_bpermute_b32 v6, v99, v94 offset:4
	ds_bpermute_b32 v7, v99, v95 offset:4
	ds_bpermute_b32 v10, v99, v52 offset:8
	ds_bpermute_b32 v11, v99, v53 offset:8
	s_waitcnt lgkmcnt(4)
	v_add_f64 v[8:9], v[20:21], -v[8:9]
	v_mul_f64 v[8:9], v[36:37], v[8:9]
	s_waitcnt lgkmcnt(2)
	v_fmac_f64_e32 v[90:91], v[8:9], v[6:7]
	ds_bpermute_b32 v6, v99, v94 offset:8
	ds_bpermute_b32 v7, v99, v95 offset:8
	s_waitcnt lgkmcnt(2)
	v_add_f64 v[8:9], v[22:23], -v[10:11]
	ds_bpermute_b32 v10, v99, v52 offset:12
	ds_bpermute_b32 v11, v99, v53 offset:12
	v_mul_f64 v[8:9], v[38:39], v[8:9]
	s_waitcnt lgkmcnt(2)
	v_fmac_f64_e32 v[90:91], v[8:9], v[6:7]
	ds_bpermute_b32 v6, v99, v94 offset:12
	ds_bpermute_b32 v7, v99, v95 offset:12
	s_waitcnt lgkmcnt(2)
	v_add_f64 v[8:9], v[24:25], -v[10:11]
	ds_bpermute_b32 v10, v99, v52 offset:16
	ds_bpermute_b32 v11, v99, v53 offset:16
	;; [unrolled: 9-line block ×4, first 2 shown]
	v_add_f64 v[2:3], v[50:51], v[34:35]
	ds_bpermute_b32 v12, v99, v94 offset:24
	ds_bpermute_b32 v13, v99, v95 offset:24
	v_add_f64 v[2:3], v[36:37], v[2:3]
	v_add_f64 v[2:3], v[38:39], v[2:3]
	;; [unrolled: 1-line block ×3, first 2 shown]
	v_mul_f64 v[8:9], v[44:45], v[8:9]
	s_waitcnt lgkmcnt(2)
	v_add_f64 v[10:11], v[30:31], -v[10:11]
	v_add_f64 v[2:3], v[42:43], v[2:3]
	v_fmac_f64_e32 v[90:91], v[8:9], v[6:7]
	v_mul_f64 v[10:11], v[46:47], v[10:11]
	v_add_f64 v[8:9], v[44:45], v[2:3]
	s_waitcnt lgkmcnt(0)
	v_fmac_f64_e32 v[90:91], v[10:11], v[12:13]
	ds_bpermute_b32 v2, v99, v94 offset:28
	ds_bpermute_b32 v3, v99, v95 offset:28
	;; [unrolled: 1-line block ×4, first 2 shown]
	v_add_f64 v[8:9], v[46:47], v[8:9]
	v_pk_mov_b32 v[52:53], v[90:91], v[90:91] op_sel:[0,1]
.LBB40_40:                              ;   in Loop: Header=BB40_3 Depth=1
	s_waitcnt lgkmcnt(0)
	v_add_f64 v[6:7], v[32:33], -v[6:7]
	v_mul_f64 v[6:7], v[48:49], v[6:7]
	v_fmac_f64_e32 v[52:53], v[6:7], v[2:3]
	v_mov_b32_e32 v2, s51
	v_add_co_u32_e32 v58, vcc, s50, v58
	v_addc_co_u32_e32 v55, vcc, v55, v2, vcc
	v_add_co_u32_e32 v60, vcc, s50, v60
	v_addc_co_u32_e32 v59, vcc, v59, v2, vcc
	;; [unrolled: 2-line block ×14, first 2 shown]
	v_mov_b32_e32 v3, s33
	v_add_co_u32_e32 v54, vcc, s9, v54
	v_addc_co_u32_e32 v1, vcc, v1, v3, vcc
	v_add_co_u32_e32 v86, vcc, s50, v86
	v_addc_co_u32_e32 v85, vcc, v85, v2, vcc
	s_add_u32 s52, s52, s9
	v_add_co_u32_e32 v88, vcc, s50, v88
	s_addc_u32 s53, s53, 0
	v_addc_co_u32_e32 v87, vcc, v87, v2, vcc
	v_pk_mov_b32 v[2:3], s[36:37], s[36:37] op_sel:[0,1]
	s_add_u32 s48, s48, s9
	v_cmp_lt_i64_e32 vcc, s[52:53], v[2:3]
	v_add_f64 v[50:51], v[8:9], v[48:49]
	s_addc_u32 s49, s49, 0
	s_cbranch_vccz .LBB40_50
; %bb.41:                               ;   in Loop: Header=BB40_3 Depth=1
	v_pk_mov_b32 v[90:91], v[52:53], v[52:53] op_sel:[0,1]
	s_branch .LBB40_3
.LBB40_42:                              ;   in Loop: Header=BB40_3 Depth=1
	v_add_co_u32_e32 v2, vcc, v86, v56
	v_addc_co_u32_e32 v3, vcc, v85, v57, vcc
	v_add_co_u32_e32 v6, vcc, v88, v56
	global_load_dwordx2 v[2:3], v[2:3], off
	v_addc_co_u32_e32 v7, vcc, v87, v57, vcc
	global_load_dwordx2 v[18:19], v[6:7], off
	v_mov_b32_e32 v16, v4
	v_mov_b32_e32 v17, v4
	;; [unrolled: 1-line block ×13, first 2 shown]
	s_waitcnt vmcnt(1)
	v_pk_mov_b32 v[48:49], v[16:17], v[16:17] op_sel:[0,1]
	v_mov_b32_e32 v20, v4
	v_mov_b32_e32 v21, v4
	;; [unrolled: 1-line block ×14, first 2 shown]
	v_pk_mov_b32 v[46:47], v[14:15], v[14:15] op_sel:[0,1]
	v_pk_mov_b32 v[44:45], v[12:13], v[12:13] op_sel:[0,1]
	;; [unrolled: 1-line block ×7, first 2 shown]
	s_or_b64 exec, exec, s[10:11]
	s_and_saveexec_b64 s[10:11], s[2:3]
	s_cbranch_execz .LBB40_32
.LBB40_43:                              ;   in Loop: Header=BB40_3 Depth=1
	v_add_co_u32_e32 v2, vcc, v82, v56
	v_addc_co_u32_e32 v3, vcc, v81, v57, vcc
	global_load_dwordx2 v[36:37], v[2:3], off
	v_add_co_u32_e32 v2, vcc, v84, v56
	v_addc_co_u32_e32 v3, vcc, v83, v57, vcc
	global_load_dwordx2 v[20:21], v[2:3], off
	s_or_b64 exec, exec, s[10:11]
	s_and_saveexec_b64 s[10:11], s[2:3]
	s_cbranch_execz .LBB40_33
.LBB40_44:                              ;   in Loop: Header=BB40_3 Depth=1
	v_add_co_u32_e32 v2, vcc, v78, v56
	v_addc_co_u32_e32 v3, vcc, v77, v57, vcc
	global_load_dwordx2 v[38:39], v[2:3], off
	v_add_co_u32_e32 v2, vcc, v80, v56
	v_addc_co_u32_e32 v3, vcc, v79, v57, vcc
	global_load_dwordx2 v[22:23], v[2:3], off
	s_or_b64 exec, exec, s[10:11]
	s_and_saveexec_b64 s[10:11], s[2:3]
	s_cbranch_execz .LBB40_34
.LBB40_45:                              ;   in Loop: Header=BB40_3 Depth=1
	v_add_co_u32_e32 v2, vcc, v74, v56
	v_addc_co_u32_e32 v3, vcc, v73, v57, vcc
	global_load_dwordx2 v[40:41], v[2:3], off
	v_add_co_u32_e32 v2, vcc, v76, v56
	v_addc_co_u32_e32 v3, vcc, v75, v57, vcc
	global_load_dwordx2 v[24:25], v[2:3], off
	s_or_b64 exec, exec, s[10:11]
	s_and_saveexec_b64 s[10:11], s[2:3]
	s_cbranch_execz .LBB40_35
.LBB40_46:                              ;   in Loop: Header=BB40_3 Depth=1
	v_add_co_u32_e32 v2, vcc, v70, v56
	v_addc_co_u32_e32 v3, vcc, v69, v57, vcc
	global_load_dwordx2 v[42:43], v[2:3], off
	v_add_co_u32_e32 v2, vcc, v72, v56
	v_addc_co_u32_e32 v3, vcc, v71, v57, vcc
	global_load_dwordx2 v[26:27], v[2:3], off
	s_or_b64 exec, exec, s[10:11]
	s_and_saveexec_b64 s[10:11], s[2:3]
	s_cbranch_execz .LBB40_36
.LBB40_47:                              ;   in Loop: Header=BB40_3 Depth=1
	v_add_co_u32_e32 v2, vcc, v66, v56
	v_addc_co_u32_e32 v3, vcc, v65, v57, vcc
	global_load_dwordx2 v[44:45], v[2:3], off
	v_add_co_u32_e32 v2, vcc, v68, v56
	v_addc_co_u32_e32 v3, vcc, v67, v57, vcc
	global_load_dwordx2 v[28:29], v[2:3], off
	s_or_b64 exec, exec, s[10:11]
	s_and_saveexec_b64 s[10:11], s[2:3]
	s_cbranch_execz .LBB40_37
.LBB40_48:                              ;   in Loop: Header=BB40_3 Depth=1
	v_add_co_u32_e32 v2, vcc, v62, v56
	v_addc_co_u32_e32 v3, vcc, v61, v57, vcc
	global_load_dwordx2 v[46:47], v[2:3], off
	v_add_co_u32_e32 v2, vcc, v64, v56
	v_addc_co_u32_e32 v3, vcc, v63, v57, vcc
	global_load_dwordx2 v[30:31], v[2:3], off
	s_or_b64 exec, exec, s[10:11]
	s_and_saveexec_b64 s[10:11], s[2:3]
	s_cbranch_execnz .LBB40_38
	s_branch .LBB40_39
.LBB40_49:
	s_mov_b64 s[44:45], -1
                                        ; implicit-def: $vgpr50_vgpr51
                                        ; implicit-def: $vgpr52_vgpr53
.LBB40_50:
	s_andn2_b64 vcc, exec, s[44:45]
	s_cbranch_vccnz .LBB40_82
; %bb.51:
	v_pk_mov_b32 v[50:51], 0, 0
	s_and_b64 vcc, exec, s[0:1]
	v_pk_mov_b32 v[52:53], v[50:51], v[50:51] op_sel:[0,1]
	s_cbranch_vccnz .LBB40_82
; %bb.52:
	v_bfe_u32 v103, v0, 10, 10
	s_add_u32 s2, s4, 64
	s_addc_u32 s3, s5, 0
	v_lshlrev_b32_e32 v1, 6, v103
	s_lshl_b64 s[0:1], s[34:35], 3
	v_mov_b32_e32 v2, s1
	v_add_co_u32_e32 v1, vcc, s0, v1
	v_addc_co_u32_e32 v4, vcc, 0, v2, vcc
	v_add_co_u32_e32 v6, vcc, 8, v1
	v_addc_co_u32_e32 v5, vcc, 0, v4, vcc
	v_add_co_u32_e32 v9, vcc, 16, v1
	v_mul_lo_u32 v7, s38, v5
	v_addc_co_u32_e32 v5, vcc, 0, v4, vcc
	v_add_co_u32_e32 v12, vcc, 24, v1
	v_mul_lo_u32 v10, s38, v5
	;; [unrolled: 3-line block ×5, first 2 shown]
	v_addc_co_u32_e32 v5, vcc, 0, v4, vcc
	v_add_co_u32_e32 v24, vcc, 56, v1
	v_lshlrev_b32_e32 v38, 3, v103
	v_addc_co_u32_e32 v1, vcc, 0, v4, vcc
	v_mul_lo_u32 v25, s38, v1
	v_mov_b32_e32 v1, s35
	v_add_co_u32_e32 v27, vcc, s34, v38
	v_pk_mov_b32 v[2:3], s[40:41], s[40:41] op_sel:[0,1]
	v_addc_co_u32_e32 v28, vcc, 0, v1, vcc
	v_mad_u64_u32 v[40:41], s[0:1], s38, v6, v[2:3]
	v_mad_u64_u32 v[42:43], s[0:1], s38, v9, v[2:3]
	v_mad_u64_u32 v[44:45], s[0:1], s38, v12, v[2:3]
	v_mad_u64_u32 v[46:47], s[0:1], s38, v15, v[2:3]
	v_mad_u64_u32 v[48:49], s[0:1], s38, v18, v[2:3]
	v_mad_u64_u32 v[54:55], s[0:1], s38, v21, v[2:3]
	v_mad_u64_u32 v[56:57], s[0:1], s38, v24, v[2:3]
	v_mul_lo_u32 v29, s39, v27
	v_mul_lo_u32 v30, s38, v28
	v_mad_u64_u32 v[2:3], s[0:1], s38, v27, 0
	v_add3_u32 v3, v3, v30, v29
	v_lshlrev_b64 v[2:3], 3, v[2:3]
	v_mul_lo_u32 v22, s38, v5
	v_mov_b32_e32 v31, s41
	v_add_co_u32_e32 v58, vcc, s40, v2
	v_pk_mov_b32 v[4:5], s[42:43], s[42:43] op_sel:[0,1]
	v_mul_lo_u32 v17, s39, v15
	v_addc_co_u32_e32 v1, vcc, v31, v3, vcc
	v_mad_u64_u32 v[66:67], s[0:1], s38, v15, v[4:5]
	v_add3_u32 v47, v17, v47, v16
	v_add3_u32 v67, v17, v67, v16
	v_mov_b32_e32 v16, s43
	v_add_co_u32_e32 v74, vcc, s42, v2
	v_addc_co_u32_e32 v39, vcc, v16, v3, vcc
	v_add_co_u32_e32 v2, vcc, 7, v27
	v_addc_co_u32_e32 v3, vcc, 0, v28, vcc
	v_mad_u64_u32 v[60:61], s[0:1], s38, v6, v[4:5]
	v_mad_u64_u32 v[62:63], s[0:1], s38, v9, v[4:5]
	;; [unrolled: 1-line block ×6, first 2 shown]
	v_mul_lo_u32 v4, s39, v2
	v_mul_lo_u32 v5, s38, v3
	v_mad_u64_u32 v[2:3], s[0:1], s38, v2, 0
	v_add3_u32 v3, v3, v5, v4
	v_add_co_u32_e32 v4, vcc, 6, v27
	v_mul_lo_u32 v8, s39, v6
	v_addc_co_u32_e32 v5, vcc, 0, v28, vcc
	v_add3_u32 v41, v8, v41, v7
	v_add3_u32 v61, v8, v61, v7
	v_mul_lo_u32 v6, s39, v4
	v_mul_lo_u32 v7, s38, v5
	v_mad_u64_u32 v[4:5], s[0:1], s38, v4, 0
	v_add3_u32 v5, v5, v7, v6
	v_add_co_u32_e32 v6, vcc, 5, v27
	v_addc_co_u32_e32 v7, vcc, 0, v28, vcc
	v_mul_lo_u32 v11, s39, v9
	v_mul_lo_u32 v8, s39, v6
	;; [unrolled: 1-line block ×3, first 2 shown]
	v_mad_u64_u32 v[6:7], s[0:1], s38, v6, 0
	v_add3_u32 v7, v7, v9, v8
	v_add_co_u32_e32 v8, vcc, 4, v27
	v_addc_co_u32_e32 v9, vcc, 0, v28, vcc
	v_add3_u32 v43, v11, v43, v10
	v_add3_u32 v63, v11, v63, v10
	v_mul_lo_u32 v10, s39, v8
	v_mul_lo_u32 v11, s38, v9
	v_mad_u64_u32 v[8:9], s[0:1], s38, v8, 0
	v_add3_u32 v9, v9, v11, v10
	v_add_co_u32_e32 v10, vcc, 3, v27
	v_mul_lo_u32 v14, s39, v12
	v_addc_co_u32_e32 v11, vcc, 0, v28, vcc
	v_add3_u32 v45, v14, v45, v13
	v_add3_u32 v65, v14, v65, v13
	v_mul_lo_u32 v12, s39, v10
	v_mul_lo_u32 v13, s38, v11
	v_mad_u64_u32 v[10:11], s[0:1], s38, v10, 0
	v_add3_u32 v11, v11, v13, v12
	v_add_co_u32_e32 v12, vcc, 2, v27
	v_lshlrev_b64 v[2:3], 3, v[2:3]
	v_addc_co_u32_e32 v13, vcc, 0, v28, vcc
	v_add_co_u32_e32 v76, vcc, s40, v2
	v_addc_co_u32_e32 v59, vcc, v31, v3, vcc
	v_add_co_u32_e32 v78, vcc, s42, v2
	v_addc_co_u32_e32 v75, vcc, v16, v3, vcc
	v_lshlrev_b64 v[2:3], 3, v[4:5]
	v_add_co_u32_e32 v80, vcc, s40, v2
	v_addc_co_u32_e32 v77, vcc, v31, v3, vcc
	v_add_co_u32_e32 v82, vcc, s42, v2
	v_addc_co_u32_e32 v79, vcc, v16, v3, vcc
	v_lshlrev_b64 v[2:3], 3, v[6:7]
	;; [unrolled: 5-line block ×4, first 2 shown]
	v_add_co_u32_e32 v92, vcc, s40, v2
	v_mul_lo_u32 v14, s39, v12
	v_mul_lo_u32 v15, s38, v13
	v_mad_u64_u32 v[12:13], s[0:1], s38, v12, 0
	v_addc_co_u32_e32 v89, vcc, v31, v3, vcc
	v_add3_u32 v13, v13, v15, v14
	v_add_co_u32_e32 v94, vcc, s42, v2
	v_addc_co_u32_e32 v91, vcc, v16, v3, vcc
	v_lshlrev_b64 v[2:3], 3, v[12:13]
	v_pk_mov_b32 v[14:15], s[38:39], s[38:39] op_sel:[0,1]
	v_add_co_u32_e32 v96, vcc, s40, v2
	v_mad_u64_u32 v[14:15], s[0:1], s38, v27, v[14:15]
	v_addc_co_u32_e32 v93, vcc, v31, v3, vcc
	v_add3_u32 v15, v29, v15, v30
	v_add_co_u32_e32 v98, vcc, s42, v2
	v_addc_co_u32_e32 v95, vcc, v16, v3, vcc
	v_lshlrev_b64 v[2:3], 3, v[14:15]
	s_load_dword s0, s[4:5], 0x44
	v_add_co_u32_e32 v100, vcc, s40, v2
	v_addc_co_u32_e32 v97, vcc, v31, v3, vcc
	v_add_co_u32_e32 v102, vcc, s42, v2
	v_and_b32_e32 v112, 0x3ff, v0
	v_mov_b32_e32 v4, 0
	v_addc_co_u32_e32 v99, vcc, v16, v3, vcc
	v_add_u32_e32 v2, s7, v112
	v_mov_b32_e32 v3, v4
	s_waitcnt lgkmcnt(0)
	s_lshl_b32 s7, s0, 3
	v_lshlrev_b64 v[104:105], 3, v[2:3]
	v_mbcnt_lo_u32_b32 v2, -1, 0
	s_mul_i32 s0, s39, s7
	s_mul_hi_u32 s1, s38, s7
	v_mbcnt_hi_u32_b32 v2, -1, v2
	v_mul_lo_u32 v20, s39, v18
	v_mul_lo_u32 v23, s39, v21
	;; [unrolled: 1-line block ×3, first 2 shown]
	s_mov_b32 s12, 0
	s_add_i32 s1, s1, s0
	s_mul_i32 s0, s38, s7
	v_lshlrev_b32_e32 v2, 2, v2
	v_pk_mov_b32 v[52:53], 0, 0
	v_add3_u32 v49, v20, v49, v19
	v_add3_u32 v55, v23, v55, v22
	;; [unrolled: 1-line block ×6, first 2 shown]
	s_mov_b32 s9, s12
	s_lshl_b64 s[10:11], s[0:1], 3
	s_mov_b64 s[40:41], 7
	v_and_b32_e32 v113, 0x100, v2
	s_mov_b64 s[42:43], s[34:35]
	v_mov_b32_e32 v101, v4
	v_pk_mov_b32 v[50:51], v[52:53], v[52:53] op_sel:[0,1]
	s_branch .LBB40_56
.LBB40_53:                              ;   in Loop: Header=BB40_56 Depth=1
	s_or_b64 exec, exec, s[14:15]
.LBB40_54:                              ;   in Loop: Header=BB40_56 Depth=1
	s_or_b64 exec, exec, s[0:1]
	v_add_co_u32_e32 v8, vcc, v58, v104
	v_addc_co_u32_e32 v9, vcc, v1, v105, vcc
	v_add_co_u32_e32 v10, vcc, v74, v104
	v_addc_co_u32_e32 v11, vcc, v39, v105, vcc
	global_load_dwordx2 v[10:11], v[10:11], off
	v_add_co_u32_e32 v12, vcc, v40, v104
	v_addc_co_u32_e32 v13, vcc, v41, v105, vcc
	global_load_dwordx2 v[8:9], v[8:9], off
	;; [unrolled: 3-line block ×3, first 2 shown]
	global_load_dwordx2 v[18:19], v[12:13], off
	v_add_co_u32_e32 v12, vcc, v42, v104
	v_addc_co_u32_e32 v13, vcc, v43, v105, vcc
	v_add_co_u32_e32 v14, vcc, v62, v104
	v_addc_co_u32_e32 v15, vcc, v63, v105, vcc
	global_load_dwordx2 v[22:23], v[14:15], off
	global_load_dwordx2 v[24:25], v[12:13], off
	v_add_co_u32_e32 v12, vcc, v44, v104
	v_addc_co_u32_e32 v13, vcc, v45, v105, vcc
	v_add_co_u32_e32 v14, vcc, v64, v104
	v_addc_co_u32_e32 v15, vcc, v65, v105, vcc
	global_load_dwordx2 v[14:15], v[14:15], off
	v_add_co_u32_e32 v20, vcc, v46, v104
	v_addc_co_u32_e32 v21, vcc, v47, v105, vcc
	global_load_dwordx2 v[26:27], v[20:21], off
	v_add_co_u32_e32 v20, vcc, v66, v104
	global_load_dwordx2 v[12:13], v[12:13], off
	v_addc_co_u32_e32 v21, vcc, v67, v105, vcc
	global_load_dwordx2 v[28:29], v[20:21], off
	v_add_co_u32_e32 v20, vcc, v48, v104
	v_addc_co_u32_e32 v21, vcc, v49, v105, vcc
	global_load_dwordx2 v[30:31], v[20:21], off
	v_add_co_u32_e32 v20, vcc, v68, v104
	;; [unrolled: 3-line block ×5, first 2 shown]
	v_addc_co_u32_e32 v107, vcc, v57, v105, vcc
	v_add_co_u32_e32 v108, vcc, v72, v104
	v_addc_co_u32_e32 v109, vcc, v73, v105, vcc
	global_load_dwordx2 v[110:111], v[108:109], off
	global_load_dwordx2 v[20:21], v[106:107], off
	s_waitcnt vmcnt(17)
	ds_bpermute_b32 v106, v113, v6
	ds_bpermute_b32 v107, v113, v7
	s_waitcnt vmcnt(16)
	ds_bpermute_b32 v108, v113, v2
	ds_bpermute_b32 v109, v113, v3
	ds_bpermute_b32 v114, v113, v2 offset:4
	ds_bpermute_b32 v115, v113, v3 offset:4
	s_waitcnt vmcnt(15) lgkmcnt(4)
	v_add_f64 v[10:11], v[10:11], -v[106:107]
	ds_bpermute_b32 v106, v113, v6 offset:4
	ds_bpermute_b32 v107, v113, v7 offset:4
	s_waitcnt vmcnt(14)
	v_mul_f64 v[10:11], v[8:9], v[10:11]
	s_waitcnt lgkmcnt(4)
	v_fmac_f64_e32 v[52:53], v[10:11], v[108:109]
	v_add_f64 v[8:9], v[50:51], v[8:9]
	s_waitcnt vmcnt(13) lgkmcnt(0)
	v_add_f64 v[10:11], v[16:17], -v[106:107]
	ds_bpermute_b32 v16, v113, v6 offset:8
	ds_bpermute_b32 v17, v113, v7 offset:8
	;; [unrolled: 1-line block ×4, first 2 shown]
	s_waitcnt vmcnt(12)
	v_mul_f64 v[10:11], v[18:19], v[10:11]
	v_fmac_f64_e32 v[52:53], v[10:11], v[114:115]
	v_add_f64 v[8:9], v[8:9], v[18:19]
	s_waitcnt vmcnt(11) lgkmcnt(2)
	v_add_f64 v[10:11], v[22:23], -v[16:17]
	s_waitcnt vmcnt(10)
	v_mul_f64 v[10:11], v[24:25], v[10:11]
	s_waitcnt lgkmcnt(0)
	v_fmac_f64_e32 v[52:53], v[10:11], v[106:107]
	ds_bpermute_b32 v10, v113, v6 offset:12
	ds_bpermute_b32 v11, v113, v7 offset:12
	;; [unrolled: 1-line block ×4, first 2 shown]
	v_add_f64 v[8:9], v[8:9], v[24:25]
	s_waitcnt vmcnt(9) lgkmcnt(2)
	v_add_f64 v[10:11], v[14:15], -v[10:11]
	ds_bpermute_b32 v14, v113, v6 offset:16
	ds_bpermute_b32 v15, v113, v7 offset:16
	s_waitcnt vmcnt(7)
	v_mul_f64 v[10:11], v[12:13], v[10:11]
	s_waitcnt lgkmcnt(2)
	v_fmac_f64_e32 v[52:53], v[10:11], v[16:17]
	v_add_f64 v[8:9], v[8:9], v[12:13]
	ds_bpermute_b32 v10, v113, v2 offset:16
	ds_bpermute_b32 v11, v113, v3 offset:16
	s_waitcnt vmcnt(6) lgkmcnt(2)
	v_add_f64 v[12:13], v[28:29], -v[14:15]
	ds_bpermute_b32 v14, v113, v6 offset:20
	ds_bpermute_b32 v15, v113, v7 offset:20
	v_mul_f64 v[12:13], v[26:27], v[12:13]
	s_waitcnt lgkmcnt(2)
	v_fmac_f64_e32 v[52:53], v[12:13], v[10:11]
	ds_bpermute_b32 v10, v113, v2 offset:20
	ds_bpermute_b32 v11, v113, v3 offset:20
	v_add_f64 v[8:9], v[8:9], v[26:27]
	s_waitcnt vmcnt(4) lgkmcnt(2)
	v_add_f64 v[12:13], v[32:33], -v[14:15]
	ds_bpermute_b32 v14, v113, v6 offset:24
	ds_bpermute_b32 v15, v113, v7 offset:24
	v_mul_f64 v[12:13], v[30:31], v[12:13]
	s_waitcnt lgkmcnt(2)
	v_fmac_f64_e32 v[52:53], v[12:13], v[10:11]
	ds_bpermute_b32 v10, v113, v2 offset:24
	ds_bpermute_b32 v11, v113, v3 offset:24
	;; [unrolled: 1-line block ×4, first 2 shown]
	v_add_f64 v[8:9], v[8:9], v[30:31]
	s_waitcnt vmcnt(2) lgkmcnt(4)
	v_add_f64 v[12:13], v[36:37], -v[14:15]
	ds_bpermute_b32 v14, v113, v6 offset:28
	ds_bpermute_b32 v15, v113, v7 offset:28
	v_mul_f64 v[12:13], v[34:35], v[12:13]
	v_add_f64 v[6:7], v[8:9], v[34:35]
	s_waitcnt lgkmcnt(4)
	v_fmac_f64_e32 v[52:53], v[12:13], v[10:11]
	s_waitcnt vmcnt(1) lgkmcnt(0)
	v_add_f64 v[8:9], v[110:111], -v[14:15]
	s_waitcnt vmcnt(0)
	v_mul_f64 v[8:9], v[20:21], v[8:9]
	v_mul_f64 v[8:9], v[8:9], v[2:3]
	v_pk_mov_b32 v[2:3], v[52:53], v[52:53] op_sel:[0,1]
.LBB40_55:                              ;   in Loop: Header=BB40_56 Depth=1
	v_add_f64 v[52:53], v[2:3], v[8:9]
	v_mov_b32_e32 v2, s9
	v_add_co_u32_e32 v38, vcc, s7, v38
	v_addc_co_u32_e32 v101, vcc, v101, v2, vcc
	v_mov_b32_e32 v2, s11
	v_add_co_u32_e32 v40, vcc, s10, v40
	v_addc_co_u32_e32 v41, vcc, v41, v2, vcc
	v_add_co_u32_e32 v42, vcc, s10, v42
	v_addc_co_u32_e32 v43, vcc, v43, v2, vcc
	;; [unrolled: 2-line block ×29, first 2 shown]
	s_add_u32 s42, s42, s7
	v_add_co_u32_e32 v102, vcc, s10, v102
	s_addc_u32 s43, s43, 0
	v_addc_co_u32_e32 v99, vcc, v99, v2, vcc
	v_pk_mov_b32 v[2:3], s[36:37], s[36:37] op_sel:[0,1]
	s_add_u32 s40, s40, s7
	v_cmp_ge_i64_e32 vcc, s[42:43], v[2:3]
	v_add_f64 v[50:51], v[6:7], v[20:21]
	s_addc_u32 s41, s41, 0
	s_cbranch_vccnz .LBB40_82
.LBB40_56:                              ; =>This Inner Loop Header: Depth=1
	s_add_u32 s0, s34, s40
	s_addc_u32 s1, 0, s41
	v_pk_mov_b32 v[2:3], s[36:37], s[36:37] op_sel:[0,1]
	v_cmp_ge_i64_e32 vcc, s[0:1], v[2:3]
	v_mov_b32_e32 v2, s35
	v_add_co_u32_e64 v106, s[0:1], s34, v38
	v_addc_co_u32_e64 v107, s[0:1], v2, v101, s[0:1]
	s_cbranch_vccz .LBB40_78
; %bb.57:                               ;   in Loop: Header=BB40_56 Depth=1
	s_load_dword s0, s[2:3], 0xc
	v_pk_mov_b32 v[108:109], 0, 0
	v_pk_mov_b32 v[110:111], v[108:109], v[108:109] op_sel:[0,1]
	s_waitcnt lgkmcnt(0)
	s_and_b32 s0, s0, 0xffff
	v_mad_u32_u24 v2, v103, s0, v112
	v_and_b32_e32 v2, 63, v2
	v_cmp_gt_u32_e32 vcc, 8, v2
	s_and_saveexec_b64 s[0:1], vcc
	s_cbranch_execz .LBB40_61
; %bb.58:                               ;   in Loop: Header=BB40_56 Depth=1
	v_add_co_u32_e32 v2, vcc, v106, v2
	v_addc_co_u32_e32 v3, vcc, 0, v107, vcc
	v_pk_mov_b32 v[110:111], 0, 0
	v_cmp_gt_i64_e32 vcc, s[36:37], v[2:3]
	v_pk_mov_b32 v[108:109], v[110:111], v[110:111] op_sel:[0,1]
	s_and_saveexec_b64 s[14:15], vcc
	s_cbranch_execz .LBB40_60
; %bb.59:                               ;   in Loop: Header=BB40_56 Depth=1
	v_lshlrev_b64 v[2:3], 3, v[2:3]
	v_mov_b32_e32 v5, s31
	v_add_co_u32_e32 v6, vcc, s30, v2
	v_addc_co_u32_e32 v7, vcc, v5, v3, vcc
	v_mov_b32_e32 v5, s29
	v_add_co_u32_e32 v2, vcc, s28, v2
	v_addc_co_u32_e32 v3, vcc, v5, v3, vcc
	global_load_dwordx2 v[110:111], v[2:3], off
	global_load_dwordx2 v[108:109], v[6:7], off
.LBB40_60:                              ;   in Loop: Header=BB40_56 Depth=1
	s_or_b64 exec, exec, s[14:15]
.LBB40_61:                              ;   in Loop: Header=BB40_56 Depth=1
	s_or_b64 exec, exec, s[0:1]
	s_mov_b32 s26, s12
	s_mov_b32 s27, s12
	;; [unrolled: 1-line block ×15, first 2 shown]
	v_pk_mov_b32 v[36:37], s[26:27], s[26:27] op_sel:[0,1]
	v_pk_mov_b32 v[22:23], s[12:13], s[12:13] op_sel:[0,1]
	;; [unrolled: 1-line block ×9, first 2 shown]
	v_cmp_gt_i64_e32 vcc, s[36:37], v[106:107]
	v_pk_mov_b32 v[8:9], v[24:25], v[24:25] op_sel:[0,1]
	v_pk_mov_b32 v[10:11], v[26:27], v[26:27] op_sel:[0,1]
	;; [unrolled: 1-line block ×7, first 2 shown]
	s_and_saveexec_b64 s[0:1], vcc
	s_cbranch_execz .LBB40_63
; %bb.62:                               ;   in Loop: Header=BB40_56 Depth=1
	v_add_co_u32_e32 v2, vcc, v58, v104
	v_addc_co_u32_e32 v3, vcc, v1, v105, vcc
	v_add_co_u32_e32 v6, vcc, v74, v104
	global_load_dwordx2 v[2:3], v[2:3], off
	v_addc_co_u32_e32 v7, vcc, v39, v105, vcc
	global_load_dwordx2 v[22:23], v[6:7], off
	v_mov_b32_e32 v6, v4
	v_mov_b32_e32 v7, v4
	;; [unrolled: 1-line block ×13, first 2 shown]
	s_waitcnt vmcnt(1)
	v_pk_mov_b32 v[20:21], v[16:17], v[16:17] op_sel:[0,1]
	v_mov_b32_e32 v24, v4
	v_mov_b32_e32 v25, v4
	;; [unrolled: 1-line block ×14, first 2 shown]
	v_pk_mov_b32 v[18:19], v[14:15], v[14:15] op_sel:[0,1]
	v_pk_mov_b32 v[16:17], v[12:13], v[12:13] op_sel:[0,1]
	v_pk_mov_b32 v[14:15], v[10:11], v[10:11] op_sel:[0,1]
	v_pk_mov_b32 v[12:13], v[8:9], v[8:9] op_sel:[0,1]
	v_pk_mov_b32 v[10:11], v[6:7], v[6:7] op_sel:[0,1]
	v_pk_mov_b32 v[8:9], v[4:5], v[4:5] op_sel:[0,1]
	v_pk_mov_b32 v[6:7], v[2:3], v[2:3] op_sel:[0,1]
.LBB40_63:                              ;   in Loop: Header=BB40_56 Depth=1
	s_or_b64 exec, exec, s[0:1]
	v_add_co_u32_e32 v2, vcc, 1, v106
	v_addc_co_u32_e32 v3, vcc, 0, v107, vcc
	v_cmp_gt_i64_e32 vcc, s[36:37], v[2:3]
	s_and_saveexec_b64 s[0:1], vcc
	s_cbranch_execz .LBB40_65
; %bb.64:                               ;   in Loop: Header=BB40_56 Depth=1
	v_add_co_u32_e32 v2, vcc, v100, v104
	v_addc_co_u32_e32 v3, vcc, v97, v105, vcc
	global_load_dwordx2 v[8:9], v[2:3], off
	v_add_co_u32_e32 v2, vcc, v102, v104
	v_addc_co_u32_e32 v3, vcc, v99, v105, vcc
	global_load_dwordx2 v[24:25], v[2:3], off
.LBB40_65:                              ;   in Loop: Header=BB40_56 Depth=1
	s_or_b64 exec, exec, s[0:1]
	v_add_co_u32_e32 v2, vcc, 2, v106
	v_addc_co_u32_e32 v3, vcc, 0, v107, vcc
	v_cmp_gt_i64_e32 vcc, s[36:37], v[2:3]
	s_and_saveexec_b64 s[0:1], vcc
	s_cbranch_execz .LBB40_67
; %bb.66:                               ;   in Loop: Header=BB40_56 Depth=1
	v_add_co_u32_e32 v2, vcc, v96, v104
	v_addc_co_u32_e32 v3, vcc, v93, v105, vcc
	global_load_dwordx2 v[10:11], v[2:3], off
	v_add_co_u32_e32 v2, vcc, v98, v104
	v_addc_co_u32_e32 v3, vcc, v95, v105, vcc
	global_load_dwordx2 v[26:27], v[2:3], off
.LBB40_67:                              ;   in Loop: Header=BB40_56 Depth=1
	;; [unrolled: 14-line block ×7, first 2 shown]
	s_or_b64 exec, exec, s[0:1]
	s_waitcnt vmcnt(1)
	ds_bpermute_b32 v2, v113, v110
	ds_bpermute_b32 v3, v113, v111
	s_waitcnt vmcnt(0)
	ds_bpermute_b32 v114, v113, v108
	ds_bpermute_b32 v115, v113, v109
	ds_bpermute_b32 v116, v113, v110 offset:4
	ds_bpermute_b32 v117, v113, v111 offset:4
	s_waitcnt lgkmcnt(4)
	v_add_f64 v[2:3], v[22:23], -v[2:3]
	v_mul_f64 v[2:3], v[6:7], v[2:3]
	s_waitcnt lgkmcnt(2)
	v_fma_f64 v[2:3], v[2:3], v[114:115], v[52:53]
	ds_bpermute_b32 v22, v113, v108 offset:4
	ds_bpermute_b32 v23, v113, v109 offset:4
	;; [unrolled: 1-line block ×4, first 2 shown]
	v_add_f64 v[6:7], v[50:51], v[6:7]
	s_waitcnt lgkmcnt(4)
	v_add_f64 v[24:25], v[24:25], -v[116:117]
	v_mul_f64 v[24:25], v[8:9], v[24:25]
	v_add_f64 v[6:7], v[8:9], v[6:7]
	ds_bpermute_b32 v8, v113, v108 offset:8
	ds_bpermute_b32 v9, v113, v109 offset:8
	s_waitcnt lgkmcnt(4)
	v_fmac_f64_e32 v[2:3], v[24:25], v[22:23]
	s_waitcnt lgkmcnt(2)
	v_add_f64 v[22:23], v[26:27], -v[114:115]
	ds_bpermute_b32 v24, v113, v110 offset:12
	ds_bpermute_b32 v25, v113, v111 offset:12
	v_mul_f64 v[22:23], v[10:11], v[22:23]
	s_waitcnt lgkmcnt(2)
	v_fmac_f64_e32 v[2:3], v[22:23], v[8:9]
	ds_bpermute_b32 v8, v113, v108 offset:12
	ds_bpermute_b32 v9, v113, v109 offset:12
	v_add_f64 v[6:7], v[10:11], v[6:7]
	s_waitcnt lgkmcnt(2)
	v_add_f64 v[10:11], v[28:29], -v[24:25]
	ds_bpermute_b32 v22, v113, v110 offset:16
	ds_bpermute_b32 v23, v113, v111 offset:16
	v_mul_f64 v[10:11], v[12:13], v[10:11]
	s_waitcnt lgkmcnt(2)
	v_fmac_f64_e32 v[2:3], v[10:11], v[8:9]
	v_add_f64 v[6:7], v[12:13], v[6:7]
	ds_bpermute_b32 v8, v113, v108 offset:16
	ds_bpermute_b32 v9, v113, v109 offset:16
	;; [unrolled: 1-line block ×4, first 2 shown]
	s_waitcnt lgkmcnt(4)
	v_add_f64 v[10:11], v[30:31], -v[22:23]
	v_mul_f64 v[10:11], v[14:15], v[10:11]
	s_waitcnt lgkmcnt(2)
	v_fmac_f64_e32 v[2:3], v[10:11], v[8:9]
	ds_bpermute_b32 v8, v113, v108 offset:20
	ds_bpermute_b32 v9, v113, v109 offset:20
	s_waitcnt lgkmcnt(2)
	v_add_f64 v[10:11], v[32:33], -v[12:13]
	ds_bpermute_b32 v12, v113, v110 offset:24
	ds_bpermute_b32 v13, v113, v111 offset:24
	v_mul_f64 v[10:11], v[16:17], v[10:11]
	s_waitcnt lgkmcnt(2)
	v_fmac_f64_e32 v[2:3], v[10:11], v[8:9]
	ds_bpermute_b32 v8, v113, v108 offset:24
	ds_bpermute_b32 v9, v113, v109 offset:24
	s_waitcnt lgkmcnt(2)
	v_add_f64 v[10:11], v[34:35], -v[12:13]
	ds_bpermute_b32 v12, v113, v110 offset:28
	ds_bpermute_b32 v13, v113, v111 offset:28
	v_add_f64 v[6:7], v[14:15], v[6:7]
	ds_bpermute_b32 v14, v113, v108 offset:28
	ds_bpermute_b32 v15, v113, v109 offset:28
	v_mul_f64 v[10:11], v[18:19], v[10:11]
	s_waitcnt lgkmcnt(4)
	v_fmac_f64_e32 v[2:3], v[10:11], v[8:9]
	s_waitcnt lgkmcnt(2)
	v_add_f64 v[8:9], v[36:37], -v[12:13]
	v_add_f64 v[6:7], v[16:17], v[6:7]
	v_mul_f64 v[8:9], v[20:21], v[8:9]
	v_add_f64 v[6:7], v[18:19], v[6:7]
	s_waitcnt lgkmcnt(0)
	v_mul_f64 v[8:9], v[8:9], v[14:15]
	s_branch .LBB40_55
.LBB40_78:                              ;   in Loop: Header=BB40_56 Depth=1
                                        ; implicit-def: $vgpr20_vgpr21
                                        ; implicit-def: $vgpr8_vgpr9
                                        ; implicit-def: $vgpr6_vgpr7
                                        ; implicit-def: $vgpr2_vgpr3
	s_cbranch_execz .LBB40_55
; %bb.79:                               ;   in Loop: Header=BB40_56 Depth=1
	s_load_dword s0, s[2:3], 0x0
	v_pk_mov_b32 v[2:3], 0, 0
	v_pk_mov_b32 v[6:7], v[2:3], v[2:3] op_sel:[0,1]
	s_waitcnt lgkmcnt(0)
	s_cmp_lt_u32 s6, s0
	s_cselect_b32 s0, 12, 18
	s_add_u32 s0, s2, s0
	s_addc_u32 s1, s3, 0
	global_load_ushort v5, v4, s[0:1]
	s_waitcnt vmcnt(0)
	v_mad_u32_u24 v5, v103, v5, v112
	v_and_b32_e32 v5, 63, v5
	v_cmp_gt_u32_e32 vcc, 8, v5
	s_and_saveexec_b64 s[0:1], vcc
	s_cbranch_execz .LBB40_54
; %bb.80:                               ;   in Loop: Header=BB40_56 Depth=1
	v_add_co_u32_e32 v8, vcc, v106, v5
	v_addc_co_u32_e32 v9, vcc, 0, v107, vcc
	v_pk_mov_b32 v[6:7], 0, 0
	v_cmp_gt_i64_e32 vcc, s[36:37], v[8:9]
	v_pk_mov_b32 v[2:3], v[6:7], v[6:7] op_sel:[0,1]
	s_and_saveexec_b64 s[14:15], vcc
	s_cbranch_execz .LBB40_53
; %bb.81:                               ;   in Loop: Header=BB40_56 Depth=1
	v_lshlrev_b64 v[2:3], 3, v[8:9]
	v_mov_b32_e32 v5, s31
	v_add_co_u32_e32 v8, vcc, s30, v2
	v_addc_co_u32_e32 v9, vcc, v5, v3, vcc
	v_mov_b32_e32 v5, s29
	v_add_co_u32_e32 v10, vcc, s28, v2
	v_addc_co_u32_e32 v11, vcc, v5, v3, vcc
	global_load_dwordx2 v[6:7], v[10:11], off
	global_load_dwordx2 v[2:3], v[8:9], off
	s_branch .LBB40_53
.LBB40_82:
	s_mov_b32 s7, 0
	s_lshl_b64 s[0:1], s[6:7], 5
	v_and_b32_e32 v1, 0x3ff, v0
	v_or_b32_e32 v4, s0, v1
	v_mov_b32_e32 v5, s1
	v_cmp_gt_i64_e32 vcc, s[38:39], v[4:5]
	s_and_saveexec_b64 s[0:1], vcc
	s_cbranch_execz .LBB40_87
; %bb.83:
	s_load_dword s6, s[4:5], 0x4c
	s_load_dwordx4 s[0:3], s[4:5], 0x30
	v_bfe_u32 v0, v0, 10, 10
	v_mov_b32_e32 v1, 0
	v_mov_b32_e32 v2, s8
	s_waitcnt lgkmcnt(0)
	s_lshr_b32 s4, s6, 16
	v_mad_u64_u32 v[2:3], s[4:5], s4, v2, v[0:1]
	s_cmp_eq_u64 s[0:1], 0
	v_mul_lo_u32 v3, v3, s38
	v_mul_lo_u32 v6, v2, s39
	v_lshlrev_b64 v[0:1], 3, v[4:5]
	s_cbranch_scc1 .LBB40_85
; %bb.84:
	v_mad_u64_u32 v[4:5], s[4:5], v2, s38, 0
	v_add3_u32 v5, v5, v6, v3
	v_lshlrev_b64 v[4:5], 3, v[4:5]
	v_mov_b32_e32 v7, s1
	v_add_co_u32_e32 v4, vcc, s0, v4
	v_addc_co_u32_e32 v5, vcc, v7, v5, vcc
	v_add_co_u32_e32 v4, vcc, v4, v0
	v_addc_co_u32_e32 v5, vcc, v5, v1, vcc
	global_store_dwordx2 v[4:5], v[52:53], off
.LBB40_85:
	s_cmp_eq_u64 s[2:3], 0
	s_cbranch_scc1 .LBB40_87
; %bb.86:
	v_mad_u64_u32 v[4:5], s[0:1], v2, s38, 0
	v_add3_u32 v5, v5, v6, v3
	v_lshlrev_b64 v[2:3], 3, v[4:5]
	v_mov_b32_e32 v4, s3
	v_add_co_u32_e32 v2, vcc, s2, v2
	v_addc_co_u32_e32 v3, vcc, v4, v3, vcc
	v_add_co_u32_e32 v0, vcc, v2, v0
	v_addc_co_u32_e32 v1, vcc, v3, v1, vcc
	global_store_dwordx2 v[0:1], v[50:51], off
.LBB40_87:
	s_endpgm
	.section	.rodata,"a",@progbits
	.p2align	6, 0x0
	.amdhsa_kernel _ZN2at6native12_GLOBAL__N_135GammaBetaBackwardCUDAKernelTemplateIddLj32ELj1ELj8ELb1ELb0ELb0EEEvllPKT_S5_PKT0_S8_PS3_S9_
		.amdhsa_group_segment_fixed_size 0
		.amdhsa_private_segment_fixed_size 0
		.amdhsa_kernarg_size 320
		.amdhsa_user_sgpr_count 6
		.amdhsa_user_sgpr_private_segment_buffer 1
		.amdhsa_user_sgpr_dispatch_ptr 0
		.amdhsa_user_sgpr_queue_ptr 0
		.amdhsa_user_sgpr_kernarg_segment_ptr 1
		.amdhsa_user_sgpr_dispatch_id 0
		.amdhsa_user_sgpr_flat_scratch_init 0
		.amdhsa_user_sgpr_kernarg_preload_length 0
		.amdhsa_user_sgpr_kernarg_preload_offset 0
		.amdhsa_user_sgpr_private_segment_size 0
		.amdhsa_uses_dynamic_stack 0
		.amdhsa_system_sgpr_private_segment_wavefront_offset 0
		.amdhsa_system_sgpr_workgroup_id_x 1
		.amdhsa_system_sgpr_workgroup_id_y 1
		.amdhsa_system_sgpr_workgroup_id_z 0
		.amdhsa_system_sgpr_workgroup_info 0
		.amdhsa_system_vgpr_workitem_id 1
		.amdhsa_next_free_vgpr 118
		.amdhsa_next_free_sgpr 56
		.amdhsa_accum_offset 120
		.amdhsa_reserve_vcc 1
		.amdhsa_reserve_flat_scratch 0
		.amdhsa_float_round_mode_32 0
		.amdhsa_float_round_mode_16_64 0
		.amdhsa_float_denorm_mode_32 3
		.amdhsa_float_denorm_mode_16_64 3
		.amdhsa_dx10_clamp 1
		.amdhsa_ieee_mode 1
		.amdhsa_fp16_overflow 0
		.amdhsa_tg_split 0
		.amdhsa_exception_fp_ieee_invalid_op 0
		.amdhsa_exception_fp_denorm_src 0
		.amdhsa_exception_fp_ieee_div_zero 0
		.amdhsa_exception_fp_ieee_overflow 0
		.amdhsa_exception_fp_ieee_underflow 0
		.amdhsa_exception_fp_ieee_inexact 0
		.amdhsa_exception_int_div_zero 0
	.end_amdhsa_kernel
	.section	.text._ZN2at6native12_GLOBAL__N_135GammaBetaBackwardCUDAKernelTemplateIddLj32ELj1ELj8ELb1ELb0ELb0EEEvllPKT_S5_PKT0_S8_PS3_S9_,"axG",@progbits,_ZN2at6native12_GLOBAL__N_135GammaBetaBackwardCUDAKernelTemplateIddLj32ELj1ELj8ELb1ELb0ELb0EEEvllPKT_S5_PKT0_S8_PS3_S9_,comdat
.Lfunc_end40:
	.size	_ZN2at6native12_GLOBAL__N_135GammaBetaBackwardCUDAKernelTemplateIddLj32ELj1ELj8ELb1ELb0ELb0EEEvllPKT_S5_PKT0_S8_PS3_S9_, .Lfunc_end40-_ZN2at6native12_GLOBAL__N_135GammaBetaBackwardCUDAKernelTemplateIddLj32ELj1ELj8ELb1ELb0ELb0EEEvllPKT_S5_PKT0_S8_PS3_S9_
                                        ; -- End function
	.section	.AMDGPU.csdata,"",@progbits
; Kernel info:
; codeLenInByte = 8276
; NumSgprs: 60
; NumVgprs: 118
; NumAgprs: 0
; TotalNumVgprs: 118
; ScratchSize: 0
; MemoryBound: 1
; FloatMode: 240
; IeeeMode: 1
; LDSByteSize: 0 bytes/workgroup (compile time only)
; SGPRBlocks: 7
; VGPRBlocks: 14
; NumSGPRsForWavesPerEU: 60
; NumVGPRsForWavesPerEU: 118
; AccumOffset: 120
; Occupancy: 4
; WaveLimiterHint : 0
; COMPUTE_PGM_RSRC2:SCRATCH_EN: 0
; COMPUTE_PGM_RSRC2:USER_SGPR: 6
; COMPUTE_PGM_RSRC2:TRAP_HANDLER: 0
; COMPUTE_PGM_RSRC2:TGID_X_EN: 1
; COMPUTE_PGM_RSRC2:TGID_Y_EN: 1
; COMPUTE_PGM_RSRC2:TGID_Z_EN: 0
; COMPUTE_PGM_RSRC2:TIDIG_COMP_CNT: 1
; COMPUTE_PGM_RSRC3_GFX90A:ACCUM_OFFSET: 29
; COMPUTE_PGM_RSRC3_GFX90A:TG_SPLIT: 0
	.section	.text._ZN2at6native12_GLOBAL__N_135GammaBetaBackwardCUDAKernelTemplateIddLj32ELj8ELj64ELb0ELb1ELb0EEEvllPKT_S5_PKT0_S8_PS3_S9_,"axG",@progbits,_ZN2at6native12_GLOBAL__N_135GammaBetaBackwardCUDAKernelTemplateIddLj32ELj8ELj64ELb0ELb1ELb0EEEvllPKT_S5_PKT0_S8_PS3_S9_,comdat
	.globl	_ZN2at6native12_GLOBAL__N_135GammaBetaBackwardCUDAKernelTemplateIddLj32ELj8ELj64ELb0ELb1ELb0EEEvllPKT_S5_PKT0_S8_PS3_S9_ ; -- Begin function _ZN2at6native12_GLOBAL__N_135GammaBetaBackwardCUDAKernelTemplateIddLj32ELj8ELj64ELb0ELb1ELb0EEEvllPKT_S5_PKT0_S8_PS3_S9_
	.p2align	8
	.type	_ZN2at6native12_GLOBAL__N_135GammaBetaBackwardCUDAKernelTemplateIddLj32ELj8ELj64ELb0ELb1ELb0EEEvllPKT_S5_PKT0_S8_PS3_S9_,@function
_ZN2at6native12_GLOBAL__N_135GammaBetaBackwardCUDAKernelTemplateIddLj32ELj8ELj64ELb0ELb1ELb0EEEvllPKT_S5_PKT0_S8_PS3_S9_: ; @_ZN2at6native12_GLOBAL__N_135GammaBetaBackwardCUDAKernelTemplateIddLj32ELj8ELj64ELb0ELb1ELb0EEEvllPKT_S5_PKT0_S8_PS3_S9_
; %bb.0:
	s_load_dwordx4 s[20:23], s[4:5], 0x0
	s_lshl_b32 s24, s7, 6
	s_mov_b32 s25, 0
	v_bfe_u32 v18, v0, 10, 10
	s_waitcnt lgkmcnt(0)
	v_pk_mov_b32 v[2:3], s[20:21], s[20:21] op_sel:[0,1]
	v_cmp_lt_i64_e32 vcc, s[24:25], v[2:3]
	s_cbranch_vccnz .LBB41_2
; %bb.1:
	s_mov_b64 s[0:1], 0
	s_mov_b64 s[2:3], 0
	v_bfe_u32 v1, v0, 10, 10
	s_branch .LBB41_3
.LBB41_2:
	s_mov_b64 s[0:1], -1
                                        ; implicit-def: $sgpr2_sgpr3
                                        ; implicit-def: $vgpr1
.LBB41_3:
	s_load_dwordx4 s[16:19], s[4:5], 0x30
	v_and_b32_e32 v16, 0x3ff, v0
	s_andn2_b64 vcc, exec, s[0:1]
	v_pk_mov_b32 v[10:11], s[2:3], s[2:3] op_sel:[0,1]
	v_mbcnt_lo_u32_b32 v17, -1, 0
	v_pk_mov_b32 v[6:7], s[2:3], s[2:3] op_sel:[0,1]
	s_cbranch_vccnz .LBB41_11
; %bb.4:
	s_load_dword s0, s[4:5], 0x4c
	s_load_dword s2, s[4:5], 0x44
	s_load_dwordx8 s[8:15], s[4:5], 0x10
	v_mbcnt_hi_u32_b32 v2, -1, v17
	v_lshlrev_b32_e32 v0, 3, v18
	s_waitcnt lgkmcnt(0)
	s_and_b32 s0, s0, 0xffff
	v_lshlrev_b32_e32 v2, 2, v2
	v_mad_u32_u24 v1, v18, s0, v16
	v_and_b32_e32 v19, 0x100, v2
	v_mov_b32_e32 v2, s25
	v_add_co_u32_e32 v6, vcc, s24, v0
	v_and_b32_e32 v1, 63, v1
	v_addc_co_u32_e32 v7, vcc, 0, v2, vcc
	v_add_co_u32_e32 v0, vcc, v6, v1
	v_cmp_gt_u32_e64 s[0:1], 8, v1
	s_lshl_b32 s4, s2, 6
	v_addc_co_u32_e32 v1, vcc, 0, v7, vcc
	v_mul_lo_u32 v8, s23, v6
	v_mul_lo_u32 v9, s22, v7
	v_mad_u64_u32 v[6:7], s[2:3], s22, v6, 0
	v_mov_b32_e32 v5, 0
	v_lshl_add_u32 v4, s6, 5, v16
	v_add3_u32 v7, v7, v9, v8
	s_mov_b32 s5, 0
	v_lshlrev_b64 v[6:7], 3, v[6:7]
	v_lshlrev_b64 v[4:5], 3, v[4:5]
	s_mul_i32 s2, s23, s4
	s_mul_hi_u32 s3, s22, s4
	s_lshl_b64 s[26:27], s[4:5], 3
	v_add_co_u32_e32 v4, vcc, v6, v4
	s_add_i32 s3, s3, s2
	s_mul_i32 s2, s22, s4
	s_lshl_b64 s[22:23], s[22:23], 3
	v_pk_mov_b32 v[8:9], 0, 0
	v_or_b32_e32 v20, 4, v19
	v_or_b32_e32 v21, 8, v19
	;; [unrolled: 1-line block ×7, first 2 shown]
	v_lshlrev_b64 v[2:3], 3, v[0:1]
	v_addc_co_u32_e32 v5, vcc, v7, v5, vcc
	s_lshl_b64 s[28:29], s[2:3], 3
	v_mov_b32_e32 v27, s9
	v_mov_b32_e32 v28, s11
	;; [unrolled: 1-line block ×4, first 2 shown]
	v_pk_mov_b32 v[6:7], v[8:9], v[8:9] op_sel:[0,1]
	v_pk_mov_b32 v[10:11], v[8:9], v[8:9] op_sel:[0,1]
	s_branch .LBB41_7
.LBB41_5:                               ;   in Loop: Header=BB41_7 Depth=1
	s_or_b64 exec, exec, s[30:31]
.LBB41_6:                               ;   in Loop: Header=BB41_7 Depth=1
	s_or_b64 exec, exec, s[2:3]
	v_add_co_u32_e32 v32, vcc, s10, v4
	v_addc_co_u32_e32 v33, vcc, v28, v5, vcc
	v_add_co_u32_e32 v36, vcc, s8, v4
	v_addc_co_u32_e32 v37, vcc, v27, v5, vcc
	global_load_dwordx2 v[34:35], v[32:33], off
	v_add_co_u32_e32 v32, vcc, s22, v32
	global_load_dwordx2 v[38:39], v[36:37], off
	v_addc_co_u32_e32 v33, vcc, v33, v29, vcc
	global_load_dwordx2 v[40:41], v[32:33], off
	v_add_co_u32_e32 v36, vcc, s22, v36
	v_addc_co_u32_e32 v37, vcc, v37, v29, vcc
	global_load_dwordx2 v[42:43], v[36:37], off
	v_add_co_u32_e64 v32, s[2:3], s22, v32
	v_add_co_u32_e32 v36, vcc, s22, v36
	v_addc_co_u32_e64 v33, s[2:3], v33, v29, s[2:3]
	global_load_dwordx2 v[44:45], v[32:33], off
	v_addc_co_u32_e32 v37, vcc, v37, v29, vcc
	global_load_dwordx2 v[46:47], v[36:37], off
	s_waitcnt vmcnt(7)
	ds_bpermute_b32 v50, v19, v14
	ds_bpermute_b32 v51, v19, v15
	s_waitcnt vmcnt(6)
	ds_bpermute_b32 v48, v19, v12
	ds_bpermute_b32 v49, v19, v13
	;; [unrolled: 1-line block ×4, first 2 shown]
	v_add_co_u32_e32 v36, vcc, s22, v36
	v_addc_co_u32_e32 v37, vcc, v37, v29, vcc
	v_add_co_u32_e32 v32, vcc, s22, v32
	v_addc_co_u32_e32 v33, vcc, v33, v29, vcc
	ds_bpermute_b32 v54, v20, v12
	ds_bpermute_b32 v55, v20, v13
	s_add_u32 s24, s24, s4
	s_addc_u32 s25, s25, 0
	s_waitcnt vmcnt(5) lgkmcnt(6)
	v_add_f64 v[34:35], v[34:35], -v[50:51]
	ds_bpermute_b32 v50, v21, v14
	ds_bpermute_b32 v51, v21, v15
	s_waitcnt vmcnt(4)
	v_mul_f64 v[34:35], v[38:39], v[34:35]
	s_waitcnt lgkmcnt(6)
	v_fmac_f64_e32 v[6:7], v[34:35], v[48:49]
	v_add_co_u32_e32 v48, vcc, s22, v36
	s_waitcnt vmcnt(3) lgkmcnt(4)
	v_add_f64 v[40:41], v[40:41], -v[52:53]
	v_add_co_u32_e64 v52, s[2:3], s22, v32
	v_addc_co_u32_e32 v49, vcc, v37, v29, vcc
	v_addc_co_u32_e64 v53, vcc, v33, v29, s[2:3]
	global_load_dwordx2 v[32:33], v[32:33], off
	s_waitcnt vmcnt(3)
	v_mul_f64 v[40:41], v[42:43], v[40:41]
	global_load_dwordx2 v[36:37], v[36:37], off
	s_waitcnt lgkmcnt(2)
	v_fmac_f64_e32 v[6:7], v[40:41], v[54:55]
	v_add_co_u32_e32 v40, vcc, s22, v48
	v_add_co_u32_e64 v54, s[2:3], s22, v52
	ds_bpermute_b32 v34, v21, v12
	ds_bpermute_b32 v35, v21, v13
	v_addc_co_u32_e32 v41, vcc, v49, v29, vcc
	v_addc_co_u32_e64 v55, vcc, v53, v29, s[2:3]
	global_load_dwordx2 v[52:53], v[52:53], off
	s_waitcnt vmcnt(4) lgkmcnt(2)
	v_add_f64 v[44:45], v[44:45], -v[50:51]
	global_load_dwordx2 v[48:49], v[48:49], off
	s_waitcnt vmcnt(4)
	v_mul_f64 v[44:45], v[46:47], v[44:45]
	v_add_co_u32_e32 v50, vcc, s22, v54
	s_waitcnt lgkmcnt(0)
	v_fmac_f64_e32 v[6:7], v[44:45], v[34:35]
	v_add_co_u32_e64 v34, s[2:3], s22, v40
	global_load_dwordx2 v[44:45], v[54:55], off
	v_addc_co_u32_e32 v51, vcc, v55, v29, vcc
	v_addc_co_u32_e64 v35, vcc, v41, v29, s[2:3]
	global_load_dwordx2 v[40:41], v[40:41], off
	v_add_co_u32_e32 v54, vcc, s22, v50
	v_addc_co_u32_e32 v55, vcc, v51, v29, vcc
	global_load_dwordx2 v[50:51], v[50:51], off
	v_add_f64 v[10:11], v[10:11], v[38:39]
	v_add_co_u32_e32 v38, vcc, s22, v34
	v_addc_co_u32_e32 v39, vcc, v35, v29, vcc
	global_load_dwordx2 v[56:57], v[34:35], off
	global_load_dwordx2 v[58:59], v[54:55], off
	;; [unrolled: 1-line block ×3, first 2 shown]
	ds_bpermute_b32 v34, v22, v14
	ds_bpermute_b32 v35, v22, v15
	;; [unrolled: 1-line block ×4, first 2 shown]
	v_add_f64 v[10:11], v[10:11], v[42:43]
	v_add_f64 v[10:11], v[10:11], v[46:47]
	v_add_co_u32_e32 v2, vcc, s26, v2
	v_addc_co_u32_e32 v3, vcc, v3, v30, vcc
	v_add_co_u32_e32 v0, vcc, s4, v0
	s_waitcnt vmcnt(9) lgkmcnt(2)
	v_add_f64 v[32:33], v[32:33], -v[34:35]
	ds_bpermute_b32 v34, v23, v14
	ds_bpermute_b32 v35, v23, v15
	s_waitcnt vmcnt(8)
	v_mul_f64 v[32:33], v[36:37], v[32:33]
	s_waitcnt lgkmcnt(2)
	v_fmac_f64_e32 v[6:7], v[32:33], v[38:39]
	ds_bpermute_b32 v32, v23, v12
	ds_bpermute_b32 v33, v23, v13
	v_add_f64 v[10:11], v[10:11], v[36:37]
	ds_bpermute_b32 v36, v24, v14
	ds_bpermute_b32 v37, v24, v15
	s_waitcnt vmcnt(7) lgkmcnt(4)
	v_add_f64 v[34:35], v[52:53], -v[34:35]
	s_waitcnt vmcnt(6)
	v_mul_f64 v[34:35], v[48:49], v[34:35]
	s_waitcnt lgkmcnt(2)
	v_fmac_f64_e32 v[6:7], v[34:35], v[32:33]
	ds_bpermute_b32 v32, v24, v12
	ds_bpermute_b32 v33, v24, v13
	v_add_f64 v[10:11], v[10:11], v[48:49]
	s_waitcnt vmcnt(5) lgkmcnt(2)
	v_add_f64 v[34:35], v[44:45], -v[36:37]
	ds_bpermute_b32 v36, v25, v14
	ds_bpermute_b32 v37, v25, v15
	;; [unrolled: 1-line block ×4, first 2 shown]
	s_waitcnt vmcnt(4)
	v_mul_f64 v[34:35], v[40:41], v[34:35]
	s_waitcnt lgkmcnt(4)
	v_fmac_f64_e32 v[6:7], v[34:35], v[32:33]
	ds_bpermute_b32 v32, v25, v12
	ds_bpermute_b32 v33, v25, v13
	;; [unrolled: 1-line block ×4, first 2 shown]
	s_waitcnt vmcnt(3) lgkmcnt(6)
	v_add_f64 v[34:35], v[50:51], -v[36:37]
	v_add_f64 v[10:11], v[10:11], v[40:41]
	s_waitcnt vmcnt(2)
	v_mul_f64 v[34:35], v[56:57], v[34:35]
	s_waitcnt vmcnt(1) lgkmcnt(4)
	v_add_f64 v[14:15], v[58:59], -v[14:15]
	s_waitcnt lgkmcnt(2)
	v_fmac_f64_e32 v[6:7], v[34:35], v[32:33]
	s_waitcnt vmcnt(0)
	v_mul_f64 v[14:15], v[60:61], v[14:15]
	s_waitcnt lgkmcnt(0)
	v_fmac_f64_e32 v[6:7], v[14:15], v[12:13]
	v_mov_b32_e32 v12, s5
	v_addc_co_u32_e32 v1, vcc, v1, v12, vcc
	v_mov_b32_e32 v12, s29
	v_add_co_u32_e32 v4, vcc, s28, v4
	v_addc_co_u32_e32 v5, vcc, v5, v12, vcc
	v_pk_mov_b32 v[12:13], s[20:21], s[20:21] op_sel:[0,1]
	v_add_f64 v[10:11], v[10:11], v[56:57]
	v_cmp_lt_i64_e32 vcc, s[24:25], v[12:13]
	v_add_f64 v[10:11], v[10:11], v[60:61]
	s_cbranch_vccz .LBB41_10
.LBB41_7:                               ; =>This Inner Loop Header: Depth=1
	v_pk_mov_b32 v[12:13], v[8:9], v[8:9] op_sel:[0,1]
	v_pk_mov_b32 v[14:15], v[8:9], v[8:9] op_sel:[0,1]
	s_and_saveexec_b64 s[2:3], s[0:1]
	s_cbranch_execz .LBB41_6
; %bb.8:                                ;   in Loop: Header=BB41_7 Depth=1
	v_pk_mov_b32 v[14:15], 0, 0
	v_cmp_gt_i64_e32 vcc, s[20:21], v[0:1]
	v_pk_mov_b32 v[12:13], v[14:15], v[14:15] op_sel:[0,1]
	s_and_saveexec_b64 s[30:31], vcc
	s_cbranch_execz .LBB41_5
; %bb.9:                                ;   in Loop: Header=BB41_7 Depth=1
	v_mov_b32_e32 v12, s15
	v_add_co_u32_e32 v32, vcc, s14, v2
	v_addc_co_u32_e32 v33, vcc, v12, v3, vcc
	v_mov_b32_e32 v12, s13
	v_add_co_u32_e32 v34, vcc, s12, v2
	v_addc_co_u32_e32 v35, vcc, v12, v3, vcc
	global_load_dwordx2 v[14:15], v[34:35], off
	global_load_dwordx2 v[12:13], v[32:33], off
	s_branch .LBB41_5
.LBB41_10:
	v_mov_b32_e32 v1, v18
.LBB41_11:
	v_mad_u32_u24 v0, v1, 33, v16
	v_lshl_add_u32 v2, v0, 3, 0
	v_sub_u32_e32 v0, v0, v1
	s_movk_i32 s0, 0x800
	s_mov_b32 s7, 0
	v_cmp_gt_u32_e32 vcc, s0, v0
	ds_write_b64 v2, v[6:7]
	ds_write_b64 v2, v[10:11] offset:2112
	s_waitcnt lgkmcnt(0)
	s_barrier
	s_and_saveexec_b64 s[0:1], vcc
	s_cbranch_execz .LBB41_21
; %bb.12:
	v_lshrrev_b32_e32 v4, 6, v0
	v_and_b32_e32 v5, 63, v0
	v_mbcnt_hi_u32_b32 v0, -1, v17
	v_and_b32_e32 v1, 64, v0
	v_add_u32_e32 v1, 64, v1
	v_xor_b32_e32 v2, 4, v0
	v_cmp_lt_i32_e32 vcc, v2, v1
	v_cndmask_b32_e32 v2, v0, v2, vcc
	v_lshlrev_b32_e32 v8, 2, v2
	v_xor_b32_e32 v2, 2, v0
	v_cmp_lt_i32_e32 vcc, v2, v1
	v_cndmask_b32_e32 v2, v0, v2, vcc
	v_lshlrev_b32_e32 v9, 2, v2
	v_xor_b32_e32 v2, 1, v0
	s_cmp_lg_u64 s[16:17], 0
	v_cmp_lt_i32_e32 vcc, v2, v1
	s_cselect_b64 s[8:9], -1, 0
	s_cmp_lg_u64 s[18:19], 0
	v_cndmask_b32_e32 v0, v0, v2, vcc
	s_cselect_b64 s[10:11], -1, 0
	v_lshlrev_b32_e32 v10, 2, v0
	s_lshl_b64 s[6:7], s[6:7], 8
	v_lshlrev_b32_e32 v0, 3, v4
	v_mov_b32_e32 v1, s7
	v_add_co_u32_e32 v2, vcc, s6, v0
	v_addc_co_u32_e32 v3, vcc, 0, v1, vcc
	v_mov_b32_e32 v1, s19
	v_add_co_u32_e32 v0, vcc, s18, v2
	v_addc_co_u32_e32 v1, vcc, v1, v3, vcc
	v_add_u32_e32 v11, -4, v4
	v_mov_b32_e32 v6, s17
	v_add_co_u32_e32 v2, vcc, s16, v2
	v_mad_u32_u24 v4, v5, 33, v4
	v_cmp_gt_u32_e64 s[0:1], 8, v5
	v_cmp_eq_u32_e64 s[2:3], 0, v16
	s_mov_b64 s[4:5], 0
	v_addc_co_u32_e32 v3, vcc, v6, v3, vcc
	v_lshl_add_u32 v12, v4, 3, 0
                                        ; implicit-def: $vgpr4_vgpr5
                                        ; implicit-def: $vgpr6_vgpr7
	s_branch .LBB41_14
.LBB41_13:                              ;   in Loop: Header=BB41_14 Depth=1
	s_or_b64 exec, exec, s[6:7]
	v_add_co_u32_e32 v0, vcc, 32, v0
	v_addc_co_u32_e32 v1, vcc, 0, v1, vcc
	v_add_co_u32_e32 v2, vcc, 32, v2
	v_add_u32_e32 v11, 4, v11
	v_addc_co_u32_e32 v3, vcc, 0, v3, vcc
	v_cmp_lt_u32_e32 vcc, 27, v11
	s_or_b64 s[4:5], vcc, s[4:5]
	v_add_u32_e32 v12, 32, v12
	s_andn2_b64 exec, exec, s[4:5]
	s_cbranch_execz .LBB41_21
.LBB41_14:                              ; =>This Inner Loop Header: Depth=1
	s_and_saveexec_b64 s[6:7], s[0:1]
	s_cbranch_execz .LBB41_16
; %bb.15:                               ;   in Loop: Header=BB41_14 Depth=1
	ds_read_b64 v[4:5], v12
	ds_read_b64 v[6:7], v12 offset:2112
.LBB41_16:                              ;   in Loop: Header=BB41_14 Depth=1
	s_or_b64 exec, exec, s[6:7]
	s_waitcnt lgkmcnt(1)
	ds_bpermute_b32 v14, v8, v4
	ds_bpermute_b32 v15, v8, v5
	s_waitcnt lgkmcnt(2)
	ds_bpermute_b32 v16, v8, v6
	ds_bpermute_b32 v17, v8, v7
	s_waitcnt lgkmcnt(2)
	v_add_f64 v[4:5], v[4:5], v[14:15]
	ds_bpermute_b32 v14, v9, v4
	s_waitcnt lgkmcnt(1)
	v_add_f64 v[6:7], v[6:7], v[16:17]
	ds_bpermute_b32 v15, v9, v5
	ds_bpermute_b32 v16, v9, v6
	;; [unrolled: 1-line block ×3, first 2 shown]
	s_waitcnt lgkmcnt(2)
	v_add_f64 v[4:5], v[4:5], v[14:15]
	ds_bpermute_b32 v14, v10, v4
	s_waitcnt lgkmcnt(1)
	v_add_f64 v[6:7], v[6:7], v[16:17]
	ds_bpermute_b32 v15, v10, v5
	ds_bpermute_b32 v16, v10, v6
	;; [unrolled: 1-line block ×3, first 2 shown]
	s_waitcnt lgkmcnt(2)
	v_add_f64 v[4:5], v[4:5], v[14:15]
	s_waitcnt lgkmcnt(0)
	v_add_f64 v[6:7], v[6:7], v[16:17]
	s_and_saveexec_b64 s[6:7], s[2:3]
	s_cbranch_execz .LBB41_13
; %bb.17:                               ;   in Loop: Header=BB41_14 Depth=1
	s_andn2_b64 vcc, exec, s[8:9]
	s_cbranch_vccnz .LBB41_19
; %bb.18:                               ;   in Loop: Header=BB41_14 Depth=1
	global_store_dwordx2 v[2:3], v[4:5], off
.LBB41_19:                              ;   in Loop: Header=BB41_14 Depth=1
	s_andn2_b64 vcc, exec, s[10:11]
	s_cbranch_vccnz .LBB41_13
; %bb.20:                               ;   in Loop: Header=BB41_14 Depth=1
	global_store_dwordx2 v[0:1], v[6:7], off
	s_branch .LBB41_13
.LBB41_21:
	s_endpgm
	.section	.rodata,"a",@progbits
	.p2align	6, 0x0
	.amdhsa_kernel _ZN2at6native12_GLOBAL__N_135GammaBetaBackwardCUDAKernelTemplateIddLj32ELj8ELj64ELb0ELb1ELb0EEEvllPKT_S5_PKT0_S8_PS3_S9_
		.amdhsa_group_segment_fixed_size 0
		.amdhsa_private_segment_fixed_size 0
		.amdhsa_kernarg_size 320
		.amdhsa_user_sgpr_count 6
		.amdhsa_user_sgpr_private_segment_buffer 1
		.amdhsa_user_sgpr_dispatch_ptr 0
		.amdhsa_user_sgpr_queue_ptr 0
		.amdhsa_user_sgpr_kernarg_segment_ptr 1
		.amdhsa_user_sgpr_dispatch_id 0
		.amdhsa_user_sgpr_flat_scratch_init 0
		.amdhsa_user_sgpr_kernarg_preload_length 0
		.amdhsa_user_sgpr_kernarg_preload_offset 0
		.amdhsa_user_sgpr_private_segment_size 0
		.amdhsa_uses_dynamic_stack 0
		.amdhsa_system_sgpr_private_segment_wavefront_offset 0
		.amdhsa_system_sgpr_workgroup_id_x 1
		.amdhsa_system_sgpr_workgroup_id_y 1
		.amdhsa_system_sgpr_workgroup_id_z 0
		.amdhsa_system_sgpr_workgroup_info 0
		.amdhsa_system_vgpr_workitem_id 1
		.amdhsa_next_free_vgpr 62
		.amdhsa_next_free_sgpr 32
		.amdhsa_accum_offset 64
		.amdhsa_reserve_vcc 1
		.amdhsa_reserve_flat_scratch 0
		.amdhsa_float_round_mode_32 0
		.amdhsa_float_round_mode_16_64 0
		.amdhsa_float_denorm_mode_32 3
		.amdhsa_float_denorm_mode_16_64 3
		.amdhsa_dx10_clamp 1
		.amdhsa_ieee_mode 1
		.amdhsa_fp16_overflow 0
		.amdhsa_tg_split 0
		.amdhsa_exception_fp_ieee_invalid_op 0
		.amdhsa_exception_fp_denorm_src 0
		.amdhsa_exception_fp_ieee_div_zero 0
		.amdhsa_exception_fp_ieee_overflow 0
		.amdhsa_exception_fp_ieee_underflow 0
		.amdhsa_exception_fp_ieee_inexact 0
		.amdhsa_exception_int_div_zero 0
	.end_amdhsa_kernel
	.section	.text._ZN2at6native12_GLOBAL__N_135GammaBetaBackwardCUDAKernelTemplateIddLj32ELj8ELj64ELb0ELb1ELb0EEEvllPKT_S5_PKT0_S8_PS3_S9_,"axG",@progbits,_ZN2at6native12_GLOBAL__N_135GammaBetaBackwardCUDAKernelTemplateIddLj32ELj8ELj64ELb0ELb1ELb0EEEvllPKT_S5_PKT0_S8_PS3_S9_,comdat
.Lfunc_end41:
	.size	_ZN2at6native12_GLOBAL__N_135GammaBetaBackwardCUDAKernelTemplateIddLj32ELj8ELj64ELb0ELb1ELb0EEEvllPKT_S5_PKT0_S8_PS3_S9_, .Lfunc_end41-_ZN2at6native12_GLOBAL__N_135GammaBetaBackwardCUDAKernelTemplateIddLj32ELj8ELj64ELb0ELb1ELb0EEEvllPKT_S5_PKT0_S8_PS3_S9_
                                        ; -- End function
	.section	.AMDGPU.csdata,"",@progbits
; Kernel info:
; codeLenInByte = 1972
; NumSgprs: 36
; NumVgprs: 62
; NumAgprs: 0
; TotalNumVgprs: 62
; ScratchSize: 0
; MemoryBound: 0
; FloatMode: 240
; IeeeMode: 1
; LDSByteSize: 0 bytes/workgroup (compile time only)
; SGPRBlocks: 4
; VGPRBlocks: 7
; NumSGPRsForWavesPerEU: 36
; NumVGPRsForWavesPerEU: 62
; AccumOffset: 64
; Occupancy: 8
; WaveLimiterHint : 0
; COMPUTE_PGM_RSRC2:SCRATCH_EN: 0
; COMPUTE_PGM_RSRC2:USER_SGPR: 6
; COMPUTE_PGM_RSRC2:TRAP_HANDLER: 0
; COMPUTE_PGM_RSRC2:TGID_X_EN: 1
; COMPUTE_PGM_RSRC2:TGID_Y_EN: 1
; COMPUTE_PGM_RSRC2:TGID_Z_EN: 0
; COMPUTE_PGM_RSRC2:TIDIG_COMP_CNT: 1
; COMPUTE_PGM_RSRC3_GFX90A:ACCUM_OFFSET: 15
; COMPUTE_PGM_RSRC3_GFX90A:TG_SPLIT: 0
	.section	.text._ZN2at6native12_GLOBAL__N_135GammaBetaBackwardCUDAKernelTemplateIddLj32ELj8ELj64ELb0ELb0ELb0EEEvllPKT_S5_PKT0_S8_PS3_S9_,"axG",@progbits,_ZN2at6native12_GLOBAL__N_135GammaBetaBackwardCUDAKernelTemplateIddLj32ELj8ELj64ELb0ELb0ELb0EEEvllPKT_S5_PKT0_S8_PS3_S9_,comdat
	.globl	_ZN2at6native12_GLOBAL__N_135GammaBetaBackwardCUDAKernelTemplateIddLj32ELj8ELj64ELb0ELb0ELb0EEEvllPKT_S5_PKT0_S8_PS3_S9_ ; -- Begin function _ZN2at6native12_GLOBAL__N_135GammaBetaBackwardCUDAKernelTemplateIddLj32ELj8ELj64ELb0ELb0ELb0EEEvllPKT_S5_PKT0_S8_PS3_S9_
	.p2align	8
	.type	_ZN2at6native12_GLOBAL__N_135GammaBetaBackwardCUDAKernelTemplateIddLj32ELj8ELj64ELb0ELb0ELb0EEEvllPKT_S5_PKT0_S8_PS3_S9_,@function
_ZN2at6native12_GLOBAL__N_135GammaBetaBackwardCUDAKernelTemplateIddLj32ELj8ELj64ELb0ELb0ELb0EEEvllPKT_S5_PKT0_S8_PS3_S9_: ; @_ZN2at6native12_GLOBAL__N_135GammaBetaBackwardCUDAKernelTemplateIddLj32ELj8ELj64ELb0ELb0ELb0EEEvllPKT_S5_PKT0_S8_PS3_S9_
; %bb.0:
	s_load_dwordx8 s[36:43], s[4:5], 0x0
	s_load_dwordx4 s[28:31], s[4:5], 0x20
	s_lshl_b32 s33, s6, 5
	s_or_b32 s34, s33, 31
	s_mov_b32 s35, 0
	s_waitcnt lgkmcnt(0)
	v_pk_mov_b32 v[2:3], s[38:39], s[38:39] op_sel:[0,1]
	v_cmp_ge_i64_e32 vcc, s[34:35], v[2:3]
	s_lshl_b32 s34, s7, 6
	v_pk_mov_b32 v[2:3], s[36:37], s[36:37] op_sel:[0,1]
	v_cmp_lt_i64_e64 s[0:1], s[34:35], v[2:3]
	v_cndmask_b32_e64 v1, 0, 1, s[0:1]
	v_cmp_ne_u32_e64 s[0:1], 1, v1
	s_cbranch_vccz .LBB42_49
; %bb.1:
	v_pk_mov_b32 v[50:51], 0, 0
	s_mov_b64 s[10:11], 0
	s_and_b64 vcc, exec, s[0:1]
	v_pk_mov_b32 v[56:57], v[50:51], v[50:51] op_sel:[0,1]
	s_cbranch_vccnz .LBB42_50
; %bb.2:
	v_bfe_u32 v89, v0, 10, 10
	v_lshlrev_b32_e32 v52, 3, v89
	v_mov_b32_e32 v1, s35
	v_add_co_u32_e32 v5, vcc, s34, v52
	v_and_b32_e32 v87, 0x3ff, v0
	v_mov_b32_e32 v4, 0
	v_addc_co_u32_e32 v6, vcc, 0, v1, vcc
	v_add_u32_e32 v2, s33, v87
	v_mov_b32_e32 v3, v4
	v_add_co_u32_e32 v1, vcc, 7, v5
	v_cmp_gt_i64_e64 s[2:3], s[38:39], v[2:3]
	v_lshlrev_b64 v[54:55], 3, v[2:3]
	v_addc_co_u32_e32 v2, vcc, 0, v6, vcc
	v_mul_lo_u32 v7, s39, v1
	v_mul_lo_u32 v8, s38, v2
	v_mad_u64_u32 v[2:3], s[8:9], s38, v1, 0
	s_load_dword s7, s[4:5], 0x44
	v_add3_u32 v3, v3, v8, v7
	v_lshlrev_b64 v[2:3], 3, v[2:3]
	v_mov_b32_e32 v7, s41
	v_add_co_u32_e32 v58, vcc, s40, v2
	v_addc_co_u32_e32 v1, vcc, v7, v3, vcc
	s_add_u32 s44, s4, 64
	v_mov_b32_e32 v8, s43
	v_add_co_u32_e32 v60, vcc, s42, v2
	s_addc_u32 s45, s5, 0
	s_waitcnt lgkmcnt(0)
	s_lshl_b32 s7, s7, 6
	v_addc_co_u32_e32 v53, vcc, v8, v3, vcc
	s_mul_i32 s8, s39, s7
	s_mul_hi_u32 s9, s38, s7
	v_add_co_u32_e32 v2, vcc, 6, v5
	s_add_i32 s9, s9, s8
	s_mul_i32 s8, s38, s7
	v_addc_co_u32_e32 v3, vcc, 0, v6, vcc
	s_lshl_b64 s[46:47], s[8:9], 3
	v_mul_lo_u32 v9, s39, v2
	v_mul_lo_u32 v10, s38, v3
	v_mad_u64_u32 v[2:3], s[8:9], s38, v2, 0
	v_add3_u32 v3, v3, v10, v9
	v_lshlrev_b64 v[2:3], 3, v[2:3]
	v_add_co_u32_e32 v62, vcc, s40, v2
	v_addc_co_u32_e32 v59, vcc, v7, v3, vcc
	v_add_co_u32_e32 v64, vcc, s42, v2
	v_addc_co_u32_e32 v61, vcc, v8, v3, vcc
	v_add_co_u32_e32 v2, vcc, 5, v5
	v_addc_co_u32_e32 v3, vcc, 0, v6, vcc
	v_mul_lo_u32 v9, s39, v2
	v_mul_lo_u32 v10, s38, v3
	v_mad_u64_u32 v[2:3], s[8:9], s38, v2, 0
	v_add3_u32 v3, v3, v10, v9
	v_lshlrev_b64 v[2:3], 3, v[2:3]
	v_add_co_u32_e32 v66, vcc, s40, v2
	v_addc_co_u32_e32 v63, vcc, v7, v3, vcc
	v_add_co_u32_e32 v68, vcc, s42, v2
	v_addc_co_u32_e32 v65, vcc, v8, v3, vcc
	v_add_co_u32_e32 v2, vcc, 4, v5
	v_addc_co_u32_e32 v3, vcc, 0, v6, vcc
	;; [unrolled: 11-line block ×4, first 2 shown]
	v_mul_lo_u32 v9, s39, v2
	v_mul_lo_u32 v10, s38, v3
	v_mad_u64_u32 v[2:3], s[8:9], s38, v2, 0
	v_add3_u32 v3, v3, v10, v9
	v_lshlrev_b64 v[2:3], 3, v[2:3]
	v_add_co_u32_e32 v78, vcc, s40, v2
	v_addc_co_u32_e32 v75, vcc, v7, v3, vcc
	v_add_co_u32_e32 v80, vcc, s42, v2
	v_addc_co_u32_e32 v77, vcc, v8, v3, vcc
	v_pk_mov_b32 v[2:3], s[38:39], s[38:39] op_sel:[0,1]
	v_mad_u64_u32 v[2:3], s[8:9], s38, v5, v[2:3]
	v_mul_lo_u32 v6, s38, v6
	v_mul_lo_u32 v9, s39, v5
	v_add3_u32 v3, v9, v3, v6
	v_lshlrev_b64 v[2:3], 3, v[2:3]
	v_add_co_u32_e32 v82, vcc, s40, v2
	v_addc_co_u32_e32 v79, vcc, v7, v3, vcc
	v_add_co_u32_e32 v84, vcc, s42, v2
	v_addc_co_u32_e32 v81, vcc, v8, v3, vcc
	v_mad_u64_u32 v[2:3], s[8:9], s38, v5, 0
	v_add3_u32 v3, v3, v6, v9
	v_lshlrev_b64 v[2:3], 3, v[2:3]
	v_add_co_u32_e32 v86, vcc, s40, v2
	v_addc_co_u32_e32 v83, vcc, v7, v3, vcc
	v_add_co_u32_e32 v88, vcc, s42, v2
	v_mbcnt_lo_u32_b32 v2, -1, 0
	v_mbcnt_hi_u32_b32 v2, -1, v2
	s_add_u32 s48, s34, 63
	v_pk_mov_b32 v[90:91], 0, 0
	v_lshlrev_b32_e32 v2, 2, v2
	s_mov_b32 s12, 0
	s_addc_u32 s49, 0, 0
	v_addc_co_u32_e32 v85, vcc, v8, v3, vcc
	v_and_b32_e32 v96, 0x100, v2
	v_pk_mov_b32 v[50:51], v[90:91], v[90:91] op_sel:[0,1]
	s_mov_b64 s[50:51], s[34:35]
.LBB42_3:                               ; =>This Inner Loop Header: Depth=1
	v_pk_mov_b32 v[2:3], s[36:37], s[36:37] op_sel:[0,1]
	v_cmp_ge_i64_e32 vcc, s[48:49], v[2:3]
	v_mov_b32_e32 v2, s49
	v_add_co_u32_e64 v97, s[8:9], s48, v52
	v_addc_co_u32_e64 v98, s[8:9], 0, v2, s[8:9]
	s_cbranch_vccz .LBB42_25
; %bb.4:                                ;   in Loop: Header=BB42_3 Depth=1
	s_load_dword s8, s[44:45], 0xc
	v_pk_mov_b32 v[94:95], 0, 0
	v_pk_mov_b32 v[92:93], v[94:95], v[94:95] op_sel:[0,1]
	s_waitcnt lgkmcnt(0)
	s_and_b32 s8, s8, 0xffff
	v_mad_u32_u24 v2, v89, s8, v87
	v_and_b32_e32 v2, 63, v2
	v_cmp_gt_u32_e32 vcc, 8, v2
	s_and_saveexec_b64 s[8:9], vcc
	s_cbranch_execz .LBB42_8
; %bb.5:                                ;   in Loop: Header=BB42_3 Depth=1
	v_add_co_u32_e32 v2, vcc, v97, v2
	v_addc_co_u32_e32 v3, vcc, 0, v98, vcc
	v_add_co_u32_e32 v2, vcc, 0xffffffc1, v2
	v_addc_co_u32_e32 v3, vcc, -1, v3, vcc
	v_pk_mov_b32 v[92:93], 0, 0
	v_cmp_gt_i64_e32 vcc, s[36:37], v[2:3]
	v_pk_mov_b32 v[94:95], v[92:93], v[92:93] op_sel:[0,1]
	s_and_saveexec_b64 s[14:15], vcc
	s_cbranch_execz .LBB42_7
; %bb.6:                                ;   in Loop: Header=BB42_3 Depth=1
	v_lshlrev_b64 v[2:3], 3, v[2:3]
	v_mov_b32_e32 v5, s31
	v_add_co_u32_e32 v6, vcc, s30, v2
	v_addc_co_u32_e32 v7, vcc, v5, v3, vcc
	v_mov_b32_e32 v5, s29
	v_add_co_u32_e32 v2, vcc, s28, v2
	v_addc_co_u32_e32 v3, vcc, v5, v3, vcc
	global_load_dwordx2 v[92:93], v[2:3], off
	global_load_dwordx2 v[94:95], v[6:7], off
.LBB42_7:                               ;   in Loop: Header=BB42_3 Depth=1
	s_or_b64 exec, exec, s[14:15]
.LBB42_8:                               ;   in Loop: Header=BB42_3 Depth=1
	s_or_b64 exec, exec, s[8:9]
	v_add_co_u32_e32 v2, vcc, 0xffffffc1, v97
	s_mov_b32 s26, s12
	s_mov_b32 s27, s12
	v_addc_co_u32_e32 v3, vcc, -1, v98, vcc
	s_mov_b32 s13, s12
	s_mov_b32 s14, s12
	;; [unrolled: 1-line block ×13, first 2 shown]
	v_pk_mov_b32 v[32:33], s[26:27], s[26:27] op_sel:[0,1]
	v_cmp_gt_i64_e32 vcc, s[36:37], v[2:3]
	v_pk_mov_b32 v[30:31], s[24:25], s[24:25] op_sel:[0,1]
	v_pk_mov_b32 v[28:29], s[22:23], s[22:23] op_sel:[0,1]
	;; [unrolled: 1-line block ×8, first 2 shown]
	s_and_b64 s[52:53], s[2:3], vcc
	v_pk_mov_b32 v[46:47], v[30:31], v[30:31] op_sel:[0,1]
	v_pk_mov_b32 v[44:45], v[28:29], v[28:29] op_sel:[0,1]
	;; [unrolled: 1-line block ×7, first 2 shown]
	s_and_saveexec_b64 s[8:9], s[52:53]
	s_cbranch_execz .LBB42_10
; %bb.9:                                ;   in Loop: Header=BB42_3 Depth=1
	v_add_co_u32_e32 v2, vcc, v86, v54
	v_addc_co_u32_e32 v3, vcc, v83, v55, vcc
	v_add_co_u32_e32 v6, vcc, v88, v54
	global_load_dwordx2 v[2:3], v[2:3], off
	v_addc_co_u32_e32 v7, vcc, v85, v55, vcc
	global_load_dwordx2 v[18:19], v[6:7], off
	v_mov_b32_e32 v16, v4
	v_mov_b32_e32 v17, v4
	;; [unrolled: 1-line block ×13, first 2 shown]
	s_waitcnt vmcnt(1)
	v_pk_mov_b32 v[48:49], v[16:17], v[16:17] op_sel:[0,1]
	v_mov_b32_e32 v20, v4
	v_mov_b32_e32 v21, v4
	;; [unrolled: 1-line block ×14, first 2 shown]
	v_pk_mov_b32 v[46:47], v[14:15], v[14:15] op_sel:[0,1]
	v_pk_mov_b32 v[44:45], v[12:13], v[12:13] op_sel:[0,1]
	;; [unrolled: 1-line block ×7, first 2 shown]
.LBB42_10:                              ;   in Loop: Header=BB42_3 Depth=1
	s_or_b64 exec, exec, s[8:9]
	v_add_co_u32_e32 v2, vcc, 0xffffffc2, v97
	v_addc_co_u32_e32 v3, vcc, -1, v98, vcc
	v_cmp_gt_i64_e32 vcc, s[36:37], v[2:3]
	s_and_b64 s[14:15], s[2:3], vcc
	s_and_saveexec_b64 s[8:9], s[14:15]
	s_cbranch_execz .LBB42_12
; %bb.11:                               ;   in Loop: Header=BB42_3 Depth=1
	v_add_co_u32_e32 v2, vcc, v82, v54
	v_addc_co_u32_e32 v3, vcc, v79, v55, vcc
	global_load_dwordx2 v[36:37], v[2:3], off
	v_add_co_u32_e32 v2, vcc, v84, v54
	v_addc_co_u32_e32 v3, vcc, v81, v55, vcc
	global_load_dwordx2 v[20:21], v[2:3], off
.LBB42_12:                              ;   in Loop: Header=BB42_3 Depth=1
	s_or_b64 exec, exec, s[8:9]
	v_add_co_u32_e32 v2, vcc, 0xffffffc3, v97
	v_addc_co_u32_e32 v3, vcc, -1, v98, vcc
	v_cmp_gt_i64_e32 vcc, s[36:37], v[2:3]
	s_and_b64 s[14:15], s[2:3], vcc
	s_and_saveexec_b64 s[8:9], s[14:15]
	s_cbranch_execz .LBB42_14
; %bb.13:                               ;   in Loop: Header=BB42_3 Depth=1
	v_add_co_u32_e32 v2, vcc, v78, v54
	v_addc_co_u32_e32 v3, vcc, v75, v55, vcc
	global_load_dwordx2 v[38:39], v[2:3], off
	v_add_co_u32_e32 v2, vcc, v80, v54
	v_addc_co_u32_e32 v3, vcc, v77, v55, vcc
	global_load_dwordx2 v[22:23], v[2:3], off
.LBB42_14:                              ;   in Loop: Header=BB42_3 Depth=1
	;; [unrolled: 15-line block ×7, first 2 shown]
	s_or_b64 exec, exec, s[8:9]
	s_waitcnt vmcnt(1)
	ds_bpermute_b32 v2, v96, v92
	ds_bpermute_b32 v3, v96, v93
	s_waitcnt vmcnt(0)
	ds_bpermute_b32 v6, v96, v94
	ds_bpermute_b32 v7, v96, v95
	ds_bpermute_b32 v8, v96, v92 offset:4
	ds_bpermute_b32 v9, v96, v93 offset:4
	s_waitcnt lgkmcnt(4)
	v_add_f64 v[2:3], v[18:19], -v[2:3]
	v_mul_f64 v[2:3], v[34:35], v[2:3]
	s_waitcnt lgkmcnt(2)
	v_fma_f64 v[56:57], v[2:3], v[6:7], v[90:91]
	ds_bpermute_b32 v6, v96, v94 offset:4
	ds_bpermute_b32 v7, v96, v95 offset:4
	;; [unrolled: 1-line block ×4, first 2 shown]
	s_waitcnt lgkmcnt(4)
	v_add_f64 v[8:9], v[20:21], -v[8:9]
	v_mul_f64 v[8:9], v[36:37], v[8:9]
	s_waitcnt lgkmcnt(2)
	v_fmac_f64_e32 v[56:57], v[8:9], v[6:7]
	ds_bpermute_b32 v6, v96, v94 offset:8
	ds_bpermute_b32 v7, v96, v95 offset:8
	s_waitcnt lgkmcnt(2)
	v_add_f64 v[8:9], v[22:23], -v[10:11]
	ds_bpermute_b32 v10, v96, v92 offset:12
	ds_bpermute_b32 v11, v96, v93 offset:12
	v_mul_f64 v[8:9], v[38:39], v[8:9]
	s_waitcnt lgkmcnt(2)
	v_fmac_f64_e32 v[56:57], v[8:9], v[6:7]
	ds_bpermute_b32 v6, v96, v94 offset:12
	ds_bpermute_b32 v7, v96, v95 offset:12
	s_waitcnt lgkmcnt(2)
	v_add_f64 v[8:9], v[24:25], -v[10:11]
	ds_bpermute_b32 v10, v96, v92 offset:16
	ds_bpermute_b32 v11, v96, v93 offset:16
	;; [unrolled: 9-line block ×3, first 2 shown]
	v_mul_f64 v[8:9], v[42:43], v[8:9]
	v_add_f64 v[2:3], v[50:51], v[34:35]
	s_waitcnt lgkmcnt(2)
	v_fmac_f64_e32 v[56:57], v[8:9], v[6:7]
	ds_bpermute_b32 v6, v96, v94 offset:20
	ds_bpermute_b32 v7, v96, v95 offset:20
	v_add_f64 v[2:3], v[36:37], v[2:3]
	v_add_f64 v[2:3], v[38:39], v[2:3]
	s_waitcnt lgkmcnt(2)
	v_add_f64 v[8:9], v[28:29], -v[10:11]
	ds_bpermute_b32 v10, v96, v92 offset:24
	ds_bpermute_b32 v11, v96, v93 offset:24
	v_add_f64 v[2:3], v[40:41], v[2:3]
	v_add_f64 v[2:3], v[42:43], v[2:3]
	v_mul_f64 v[8:9], v[44:45], v[8:9]
	ds_bpermute_b32 v12, v96, v94 offset:24
	ds_bpermute_b32 v13, v96, v95 offset:24
	s_waitcnt lgkmcnt(4)
	v_fmac_f64_e32 v[56:57], v[8:9], v[6:7]
	v_add_f64 v[8:9], v[44:45], v[2:3]
	ds_bpermute_b32 v2, v96, v94 offset:28
	ds_bpermute_b32 v3, v96, v95 offset:28
	ds_bpermute_b32 v6, v96, v92 offset:28
	ds_bpermute_b32 v7, v96, v93 offset:28
	s_waitcnt lgkmcnt(6)
	v_add_f64 v[10:11], v[30:31], -v[10:11]
	v_mul_f64 v[10:11], v[46:47], v[10:11]
	s_waitcnt lgkmcnt(4)
	v_fmac_f64_e32 v[56:57], v[10:11], v[12:13]
	v_add_f64 v[8:9], v[46:47], v[8:9]
	s_branch .LBB42_40
.LBB42_25:                              ;   in Loop: Header=BB42_3 Depth=1
                                        ; implicit-def: $vgpr2_vgpr3
                                        ; implicit-def: $vgpr18_vgpr19_vgpr20_vgpr21_vgpr22_vgpr23_vgpr24_vgpr25_vgpr26_vgpr27_vgpr28_vgpr29_vgpr30_vgpr31_vgpr32_vgpr33
                                        ; implicit-def: $vgpr34_vgpr35_vgpr36_vgpr37_vgpr38_vgpr39_vgpr40_vgpr41_vgpr42_vgpr43_vgpr44_vgpr45_vgpr46_vgpr47_vgpr48_vgpr49
                                        ; implicit-def: $vgpr6
                                        ; implicit-def: $vgpr8_vgpr9
                                        ; implicit-def: $vgpr56_vgpr57
	s_cbranch_execz .LBB42_40
; %bb.26:                               ;   in Loop: Header=BB42_3 Depth=1
	s_load_dword s8, s[44:45], 0x0
	v_pk_mov_b32 v[92:93], 0, 0
	v_pk_mov_b32 v[56:57], v[92:93], v[92:93] op_sel:[0,1]
	s_waitcnt lgkmcnt(0)
	s_cmp_lt_u32 s6, s8
	s_cselect_b32 s8, 12, 18
	s_add_u32 s8, s44, s8
	s_addc_u32 s9, s45, 0
	global_load_ushort v2, v4, s[8:9]
	s_waitcnt vmcnt(0)
	v_mad_u32_u24 v2, v89, v2, v87
	v_and_b32_e32 v2, 63, v2
	v_cmp_gt_u32_e32 vcc, 8, v2
	s_and_saveexec_b64 s[8:9], vcc
	s_cbranch_execz .LBB42_30
; %bb.27:                               ;   in Loop: Header=BB42_3 Depth=1
	v_add_co_u32_e32 v2, vcc, v97, v2
	v_addc_co_u32_e32 v3, vcc, 0, v98, vcc
	v_add_co_u32_e32 v2, vcc, 0xffffffc1, v2
	v_addc_co_u32_e32 v3, vcc, -1, v3, vcc
	v_pk_mov_b32 v[56:57], 0, 0
	v_cmp_gt_i64_e32 vcc, s[36:37], v[2:3]
	v_pk_mov_b32 v[92:93], v[56:57], v[56:57] op_sel:[0,1]
	s_and_saveexec_b64 s[14:15], vcc
	s_cbranch_execz .LBB42_29
; %bb.28:                               ;   in Loop: Header=BB42_3 Depth=1
	v_lshlrev_b64 v[2:3], 3, v[2:3]
	v_mov_b32_e32 v5, s31
	v_add_co_u32_e32 v6, vcc, s30, v2
	v_addc_co_u32_e32 v7, vcc, v5, v3, vcc
	v_mov_b32_e32 v5, s29
	v_add_co_u32_e32 v2, vcc, s28, v2
	v_addc_co_u32_e32 v3, vcc, v5, v3, vcc
	global_load_dwordx2 v[56:57], v[2:3], off
	global_load_dwordx2 v[92:93], v[6:7], off
.LBB42_29:                              ;   in Loop: Header=BB42_3 Depth=1
	s_or_b64 exec, exec, s[14:15]
.LBB42_30:                              ;   in Loop: Header=BB42_3 Depth=1
	s_or_b64 exec, exec, s[8:9]
	s_mov_b32 s26, s12
	s_mov_b32 s27, s12
	;; [unrolled: 1-line block ×15, first 2 shown]
	v_pk_mov_b32 v[32:33], s[26:27], s[26:27] op_sel:[0,1]
	v_pk_mov_b32 v[30:31], s[24:25], s[24:25] op_sel:[0,1]
	;; [unrolled: 1-line block ×16, first 2 shown]
	s_and_saveexec_b64 s[8:9], s[2:3]
	s_cbranch_execnz .LBB42_42
; %bb.31:                               ;   in Loop: Header=BB42_3 Depth=1
	s_or_b64 exec, exec, s[8:9]
	s_and_saveexec_b64 s[8:9], s[2:3]
	s_cbranch_execnz .LBB42_43
.LBB42_32:                              ;   in Loop: Header=BB42_3 Depth=1
	s_or_b64 exec, exec, s[8:9]
	s_and_saveexec_b64 s[8:9], s[2:3]
	s_cbranch_execnz .LBB42_44
.LBB42_33:                              ;   in Loop: Header=BB42_3 Depth=1
	s_or_b64 exec, exec, s[8:9]
	s_and_saveexec_b64 s[8:9], s[2:3]
	s_cbranch_execnz .LBB42_45
.LBB42_34:                              ;   in Loop: Header=BB42_3 Depth=1
	s_or_b64 exec, exec, s[8:9]
	s_and_saveexec_b64 s[8:9], s[2:3]
	s_cbranch_execnz .LBB42_46
.LBB42_35:                              ;   in Loop: Header=BB42_3 Depth=1
	s_or_b64 exec, exec, s[8:9]
	s_and_saveexec_b64 s[8:9], s[2:3]
	s_cbranch_execnz .LBB42_47
.LBB42_36:                              ;   in Loop: Header=BB42_3 Depth=1
	s_or_b64 exec, exec, s[8:9]
	s_and_saveexec_b64 s[8:9], s[2:3]
	s_cbranch_execnz .LBB42_48
.LBB42_37:                              ;   in Loop: Header=BB42_3 Depth=1
	s_or_b64 exec, exec, s[8:9]
	s_and_saveexec_b64 s[8:9], s[2:3]
	s_cbranch_execz .LBB42_39
.LBB42_38:                              ;   in Loop: Header=BB42_3 Depth=1
	v_add_co_u32_e32 v2, vcc, v58, v54
	v_addc_co_u32_e32 v3, vcc, v1, v55, vcc
	global_load_dwordx2 v[48:49], v[2:3], off
	v_add_co_u32_e32 v2, vcc, v60, v54
	v_addc_co_u32_e32 v3, vcc, v53, v55, vcc
	global_load_dwordx2 v[32:33], v[2:3], off
.LBB42_39:                              ;   in Loop: Header=BB42_3 Depth=1
	s_or_b64 exec, exec, s[8:9]
	s_waitcnt vmcnt(1)
	ds_bpermute_b32 v2, v96, v56
	ds_bpermute_b32 v3, v96, v57
	s_waitcnt vmcnt(0)
	ds_bpermute_b32 v6, v96, v92
	ds_bpermute_b32 v7, v96, v93
	ds_bpermute_b32 v8, v96, v56 offset:4
	ds_bpermute_b32 v9, v96, v57 offset:4
	s_waitcnt lgkmcnt(4)
	v_add_f64 v[2:3], v[18:19], -v[2:3]
	v_mul_f64 v[2:3], v[34:35], v[2:3]
	s_waitcnt lgkmcnt(2)
	v_fmac_f64_e32 v[90:91], v[2:3], v[6:7]
	ds_bpermute_b32 v6, v96, v92 offset:4
	ds_bpermute_b32 v7, v96, v93 offset:4
	ds_bpermute_b32 v10, v96, v56 offset:8
	ds_bpermute_b32 v11, v96, v57 offset:8
	s_waitcnt lgkmcnt(4)
	v_add_f64 v[8:9], v[20:21], -v[8:9]
	v_mul_f64 v[8:9], v[36:37], v[8:9]
	s_waitcnt lgkmcnt(2)
	v_fmac_f64_e32 v[90:91], v[8:9], v[6:7]
	ds_bpermute_b32 v6, v96, v92 offset:8
	ds_bpermute_b32 v7, v96, v93 offset:8
	s_waitcnt lgkmcnt(2)
	v_add_f64 v[8:9], v[22:23], -v[10:11]
	ds_bpermute_b32 v10, v96, v56 offset:12
	ds_bpermute_b32 v11, v96, v57 offset:12
	v_mul_f64 v[8:9], v[38:39], v[8:9]
	s_waitcnt lgkmcnt(2)
	v_fmac_f64_e32 v[90:91], v[8:9], v[6:7]
	ds_bpermute_b32 v6, v96, v92 offset:12
	ds_bpermute_b32 v7, v96, v93 offset:12
	s_waitcnt lgkmcnt(2)
	v_add_f64 v[8:9], v[24:25], -v[10:11]
	ds_bpermute_b32 v10, v96, v56 offset:16
	ds_bpermute_b32 v11, v96, v57 offset:16
	;; [unrolled: 9-line block ×4, first 2 shown]
	v_add_f64 v[2:3], v[50:51], v[34:35]
	ds_bpermute_b32 v12, v96, v92 offset:24
	ds_bpermute_b32 v13, v96, v93 offset:24
	v_add_f64 v[2:3], v[36:37], v[2:3]
	v_add_f64 v[2:3], v[38:39], v[2:3]
	;; [unrolled: 1-line block ×3, first 2 shown]
	v_mul_f64 v[8:9], v[44:45], v[8:9]
	s_waitcnt lgkmcnt(2)
	v_add_f64 v[10:11], v[30:31], -v[10:11]
	v_add_f64 v[2:3], v[42:43], v[2:3]
	v_fmac_f64_e32 v[90:91], v[8:9], v[6:7]
	v_mul_f64 v[10:11], v[46:47], v[10:11]
	v_add_f64 v[8:9], v[44:45], v[2:3]
	s_waitcnt lgkmcnt(0)
	v_fmac_f64_e32 v[90:91], v[10:11], v[12:13]
	ds_bpermute_b32 v2, v96, v92 offset:28
	ds_bpermute_b32 v3, v96, v93 offset:28
	;; [unrolled: 1-line block ×4, first 2 shown]
	v_add_f64 v[8:9], v[46:47], v[8:9]
	v_pk_mov_b32 v[56:57], v[90:91], v[90:91] op_sel:[0,1]
.LBB42_40:                              ;   in Loop: Header=BB42_3 Depth=1
	s_waitcnt lgkmcnt(0)
	v_add_f64 v[6:7], v[32:33], -v[6:7]
	v_mul_f64 v[6:7], v[48:49], v[6:7]
	v_fmac_f64_e32 v[56:57], v[6:7], v[2:3]
	v_mov_b32_e32 v2, s47
	v_add_co_u32_e32 v58, vcc, s46, v58
	v_addc_co_u32_e32 v1, vcc, v1, v2, vcc
	v_add_co_u32_e32 v60, vcc, s46, v60
	v_addc_co_u32_e32 v53, vcc, v53, v2, vcc
	;; [unrolled: 2-line block ×15, first 2 shown]
	s_add_u32 s50, s50, s7
	v_add_co_u32_e32 v88, vcc, s46, v88
	s_addc_u32 s51, s51, 0
	v_addc_co_u32_e32 v85, vcc, v85, v2, vcc
	v_pk_mov_b32 v[2:3], s[36:37], s[36:37] op_sel:[0,1]
	s_add_u32 s48, s48, s7
	v_cmp_lt_i64_e32 vcc, s[50:51], v[2:3]
	v_add_f64 v[50:51], v[8:9], v[48:49]
	s_addc_u32 s49, s49, 0
	s_cbranch_vccz .LBB42_50
; %bb.41:                               ;   in Loop: Header=BB42_3 Depth=1
	v_pk_mov_b32 v[90:91], v[56:57], v[56:57] op_sel:[0,1]
	s_branch .LBB42_3
.LBB42_42:                              ;   in Loop: Header=BB42_3 Depth=1
	v_add_co_u32_e32 v2, vcc, v86, v54
	v_addc_co_u32_e32 v3, vcc, v83, v55, vcc
	v_add_co_u32_e32 v6, vcc, v88, v54
	global_load_dwordx2 v[2:3], v[2:3], off
	v_addc_co_u32_e32 v7, vcc, v85, v55, vcc
	global_load_dwordx2 v[18:19], v[6:7], off
	v_mov_b32_e32 v16, v4
	v_mov_b32_e32 v17, v4
	;; [unrolled: 1-line block ×13, first 2 shown]
	s_waitcnt vmcnt(1)
	v_pk_mov_b32 v[48:49], v[16:17], v[16:17] op_sel:[0,1]
	v_mov_b32_e32 v20, v4
	v_mov_b32_e32 v21, v4
	;; [unrolled: 1-line block ×14, first 2 shown]
	v_pk_mov_b32 v[46:47], v[14:15], v[14:15] op_sel:[0,1]
	v_pk_mov_b32 v[44:45], v[12:13], v[12:13] op_sel:[0,1]
	;; [unrolled: 1-line block ×7, first 2 shown]
	s_or_b64 exec, exec, s[8:9]
	s_and_saveexec_b64 s[8:9], s[2:3]
	s_cbranch_execz .LBB42_32
.LBB42_43:                              ;   in Loop: Header=BB42_3 Depth=1
	v_add_co_u32_e32 v2, vcc, v82, v54
	v_addc_co_u32_e32 v3, vcc, v79, v55, vcc
	global_load_dwordx2 v[36:37], v[2:3], off
	v_add_co_u32_e32 v2, vcc, v84, v54
	v_addc_co_u32_e32 v3, vcc, v81, v55, vcc
	global_load_dwordx2 v[20:21], v[2:3], off
	s_or_b64 exec, exec, s[8:9]
	s_and_saveexec_b64 s[8:9], s[2:3]
	s_cbranch_execz .LBB42_33
.LBB42_44:                              ;   in Loop: Header=BB42_3 Depth=1
	v_add_co_u32_e32 v2, vcc, v78, v54
	v_addc_co_u32_e32 v3, vcc, v75, v55, vcc
	global_load_dwordx2 v[38:39], v[2:3], off
	v_add_co_u32_e32 v2, vcc, v80, v54
	v_addc_co_u32_e32 v3, vcc, v77, v55, vcc
	global_load_dwordx2 v[22:23], v[2:3], off
	s_or_b64 exec, exec, s[8:9]
	s_and_saveexec_b64 s[8:9], s[2:3]
	s_cbranch_execz .LBB42_34
.LBB42_45:                              ;   in Loop: Header=BB42_3 Depth=1
	v_add_co_u32_e32 v2, vcc, v74, v54
	v_addc_co_u32_e32 v3, vcc, v71, v55, vcc
	global_load_dwordx2 v[40:41], v[2:3], off
	v_add_co_u32_e32 v2, vcc, v76, v54
	v_addc_co_u32_e32 v3, vcc, v73, v55, vcc
	global_load_dwordx2 v[24:25], v[2:3], off
	s_or_b64 exec, exec, s[8:9]
	s_and_saveexec_b64 s[8:9], s[2:3]
	s_cbranch_execz .LBB42_35
.LBB42_46:                              ;   in Loop: Header=BB42_3 Depth=1
	v_add_co_u32_e32 v2, vcc, v70, v54
	v_addc_co_u32_e32 v3, vcc, v67, v55, vcc
	global_load_dwordx2 v[42:43], v[2:3], off
	v_add_co_u32_e32 v2, vcc, v72, v54
	v_addc_co_u32_e32 v3, vcc, v69, v55, vcc
	global_load_dwordx2 v[26:27], v[2:3], off
	s_or_b64 exec, exec, s[8:9]
	s_and_saveexec_b64 s[8:9], s[2:3]
	s_cbranch_execz .LBB42_36
.LBB42_47:                              ;   in Loop: Header=BB42_3 Depth=1
	v_add_co_u32_e32 v2, vcc, v66, v54
	v_addc_co_u32_e32 v3, vcc, v63, v55, vcc
	global_load_dwordx2 v[44:45], v[2:3], off
	v_add_co_u32_e32 v2, vcc, v68, v54
	v_addc_co_u32_e32 v3, vcc, v65, v55, vcc
	global_load_dwordx2 v[28:29], v[2:3], off
	s_or_b64 exec, exec, s[8:9]
	s_and_saveexec_b64 s[8:9], s[2:3]
	s_cbranch_execz .LBB42_37
.LBB42_48:                              ;   in Loop: Header=BB42_3 Depth=1
	v_add_co_u32_e32 v2, vcc, v62, v54
	v_addc_co_u32_e32 v3, vcc, v59, v55, vcc
	global_load_dwordx2 v[46:47], v[2:3], off
	v_add_co_u32_e32 v2, vcc, v64, v54
	v_addc_co_u32_e32 v3, vcc, v61, v55, vcc
	global_load_dwordx2 v[30:31], v[2:3], off
	s_or_b64 exec, exec, s[8:9]
	s_and_saveexec_b64 s[8:9], s[2:3]
	s_cbranch_execnz .LBB42_38
	s_branch .LBB42_39
.LBB42_49:
	s_mov_b64 s[10:11], -1
                                        ; implicit-def: $vgpr50_vgpr51
                                        ; implicit-def: $vgpr56_vgpr57
.LBB42_50:
	s_andn2_b64 vcc, exec, s[10:11]
	s_cbranch_vccnz .LBB42_82
; %bb.51:
	v_pk_mov_b32 v[50:51], 0, 0
	s_and_b64 vcc, exec, s[0:1]
	v_pk_mov_b32 v[56:57], v[50:51], v[50:51] op_sel:[0,1]
	s_cbranch_vccnz .LBB42_82
; %bb.52:
	s_load_dword s0, s[4:5], 0x44
	s_add_u32 s2, s4, 64
	s_addc_u32 s3, s5, 0
	v_bfe_u32 v101, v0, 10, 10
	v_lshlrev_b32_e32 v1, 6, v101
	s_waitcnt lgkmcnt(0)
	s_lshl_b32 s7, s0, 6
	s_add_u32 s24, s34, 63
	s_addc_u32 s25, 0, 0
	s_lshl_b64 s[0:1], s[34:35], 3
	v_mov_b32_e32 v2, s1
	v_add_co_u32_e32 v1, vcc, s0, v1
	v_addc_co_u32_e32 v4, vcc, 0, v2, vcc
	v_add_co_u32_e32 v6, vcc, 8, v1
	v_addc_co_u32_e32 v5, vcc, 0, v4, vcc
	v_add_co_u32_e32 v9, vcc, 16, v1
	v_mul_lo_u32 v7, s38, v5
	v_addc_co_u32_e32 v5, vcc, 0, v4, vcc
	v_add_co_u32_e32 v12, vcc, 24, v1
	v_mul_lo_u32 v10, s38, v5
	;; [unrolled: 3-line block ×5, first 2 shown]
	v_addc_co_u32_e32 v5, vcc, 0, v4, vcc
	v_add_co_u32_e32 v24, vcc, 56, v1
	v_lshlrev_b32_e32 v38, 3, v101
	v_addc_co_u32_e32 v1, vcc, 0, v4, vcc
	v_mul_lo_u32 v25, s38, v1
	v_mov_b32_e32 v1, s35
	v_add_co_u32_e32 v27, vcc, s34, v38
	v_pk_mov_b32 v[2:3], s[40:41], s[40:41] op_sel:[0,1]
	v_addc_co_u32_e32 v28, vcc, 0, v1, vcc
	v_mad_u64_u32 v[40:41], s[0:1], s38, v6, v[2:3]
	v_mad_u64_u32 v[42:43], s[0:1], s38, v9, v[2:3]
	;; [unrolled: 1-line block ×7, first 2 shown]
	v_mul_lo_u32 v29, s39, v27
	v_mul_lo_u32 v30, s38, v28
	v_mad_u64_u32 v[2:3], s[0:1], s38, v27, 0
	v_add3_u32 v3, v3, v30, v29
	v_lshlrev_b64 v[2:3], 3, v[2:3]
	v_mul_lo_u32 v22, s38, v5
	v_mov_b32_e32 v31, s41
	v_add_co_u32_e32 v58, vcc, s40, v2
	v_pk_mov_b32 v[4:5], s[42:43], s[42:43] op_sel:[0,1]
	v_mul_lo_u32 v17, s39, v15
	v_addc_co_u32_e32 v1, vcc, v31, v3, vcc
	v_mad_u64_u32 v[66:67], s[0:1], s38, v15, v[4:5]
	v_add3_u32 v47, v17, v47, v16
	v_add3_u32 v67, v17, v67, v16
	v_mov_b32_e32 v16, s43
	v_add_co_u32_e32 v74, vcc, s42, v2
	v_addc_co_u32_e32 v39, vcc, v16, v3, vcc
	v_add_co_u32_e32 v2, vcc, 7, v27
	v_addc_co_u32_e32 v3, vcc, 0, v28, vcc
	v_mad_u64_u32 v[60:61], s[0:1], s38, v6, v[4:5]
	v_mad_u64_u32 v[62:63], s[0:1], s38, v9, v[4:5]
	;; [unrolled: 1-line block ×6, first 2 shown]
	v_mul_lo_u32 v4, s39, v2
	v_mul_lo_u32 v5, s38, v3
	v_mad_u64_u32 v[2:3], s[0:1], s38, v2, 0
	v_add3_u32 v3, v3, v5, v4
	v_add_co_u32_e32 v4, vcc, 6, v27
	v_mul_lo_u32 v8, s39, v6
	v_addc_co_u32_e32 v5, vcc, 0, v28, vcc
	v_add3_u32 v41, v8, v41, v7
	v_add3_u32 v61, v8, v61, v7
	v_mul_lo_u32 v6, s39, v4
	v_mul_lo_u32 v7, s38, v5
	v_mad_u64_u32 v[4:5], s[0:1], s38, v4, 0
	v_add3_u32 v5, v5, v7, v6
	v_add_co_u32_e32 v6, vcc, 5, v27
	v_addc_co_u32_e32 v7, vcc, 0, v28, vcc
	v_mul_lo_u32 v11, s39, v9
	v_mul_lo_u32 v8, s39, v6
	;; [unrolled: 1-line block ×3, first 2 shown]
	v_mad_u64_u32 v[6:7], s[0:1], s38, v6, 0
	v_add3_u32 v7, v7, v9, v8
	v_add_co_u32_e32 v8, vcc, 4, v27
	v_addc_co_u32_e32 v9, vcc, 0, v28, vcc
	v_add3_u32 v43, v11, v43, v10
	v_add3_u32 v63, v11, v63, v10
	v_mul_lo_u32 v10, s39, v8
	v_mul_lo_u32 v11, s38, v9
	v_mad_u64_u32 v[8:9], s[0:1], s38, v8, 0
	v_add3_u32 v9, v9, v11, v10
	v_add_co_u32_e32 v10, vcc, 3, v27
	v_mul_lo_u32 v14, s39, v12
	v_addc_co_u32_e32 v11, vcc, 0, v28, vcc
	v_add3_u32 v45, v14, v45, v13
	v_add3_u32 v65, v14, v65, v13
	v_mul_lo_u32 v12, s39, v10
	v_mul_lo_u32 v13, s38, v11
	v_mad_u64_u32 v[10:11], s[0:1], s38, v10, 0
	v_add3_u32 v11, v11, v13, v12
	v_add_co_u32_e32 v12, vcc, 2, v27
	v_lshlrev_b64 v[2:3], 3, v[2:3]
	v_addc_co_u32_e32 v13, vcc, 0, v28, vcc
	v_add_co_u32_e32 v76, vcc, s40, v2
	v_addc_co_u32_e32 v59, vcc, v31, v3, vcc
	v_add_co_u32_e32 v78, vcc, s42, v2
	v_addc_co_u32_e32 v75, vcc, v16, v3, vcc
	v_lshlrev_b64 v[2:3], 3, v[4:5]
	v_add_co_u32_e32 v80, vcc, s40, v2
	v_addc_co_u32_e32 v77, vcc, v31, v3, vcc
	v_add_co_u32_e32 v82, vcc, s42, v2
	v_addc_co_u32_e32 v79, vcc, v16, v3, vcc
	v_lshlrev_b64 v[2:3], 3, v[6:7]
	;; [unrolled: 5-line block ×4, first 2 shown]
	v_add_co_u32_e32 v92, vcc, s40, v2
	v_mul_lo_u32 v14, s39, v12
	v_mul_lo_u32 v15, s38, v13
	v_mad_u64_u32 v[12:13], s[0:1], s38, v12, 0
	v_addc_co_u32_e32 v89, vcc, v31, v3, vcc
	v_add3_u32 v13, v13, v15, v14
	v_add_co_u32_e32 v94, vcc, s42, v2
	v_addc_co_u32_e32 v91, vcc, v16, v3, vcc
	v_lshlrev_b64 v[2:3], 3, v[12:13]
	v_pk_mov_b32 v[14:15], s[38:39], s[38:39] op_sel:[0,1]
	v_add_co_u32_e32 v96, vcc, s40, v2
	v_mad_u64_u32 v[14:15], s[0:1], s38, v27, v[14:15]
	v_addc_co_u32_e32 v93, vcc, v31, v3, vcc
	v_add3_u32 v15, v29, v15, v30
	v_add_co_u32_e32 v98, vcc, s42, v2
	v_addc_co_u32_e32 v95, vcc, v16, v3, vcc
	v_lshlrev_b64 v[2:3], 3, v[14:15]
	v_add_co_u32_e32 v100, vcc, s40, v2
	v_addc_co_u32_e32 v97, vcc, v31, v3, vcc
	v_add_co_u32_e32 v102, vcc, s42, v2
	v_and_b32_e32 v103, 0x3ff, v0
	v_mov_b32_e32 v4, 0
	v_addc_co_u32_e32 v99, vcc, v16, v3, vcc
	v_add_u32_e32 v2, s33, v103
	v_mov_b32_e32 v3, v4
	v_lshlrev_b64 v[104:105], 3, v[2:3]
	v_mbcnt_lo_u32_b32 v2, -1, 0
	s_mul_i32 s0, s39, s7
	s_mul_hi_u32 s1, s38, s7
	v_mbcnt_hi_u32_b32 v2, -1, v2
	v_mul_lo_u32 v20, s39, v18
	v_mul_lo_u32 v23, s39, v21
	;; [unrolled: 1-line block ×3, first 2 shown]
	s_add_i32 s1, s1, s0
	s_mul_i32 s0, s38, s7
	v_lshlrev_b32_e32 v2, 2, v2
	v_pk_mov_b32 v[56:57], 0, 0
	v_add3_u32 v49, v20, v49, v19
	v_add3_u32 v53, v23, v53, v22
	;; [unrolled: 1-line block ×6, first 2 shown]
	s_mov_b32 s8, 0
	s_lshl_b64 s[26:27], s[0:1], 3
	v_and_b32_e32 v110, 0x100, v2
	v_pk_mov_b32 v[50:51], v[56:57], v[56:57] op_sel:[0,1]
	s_branch .LBB42_56
.LBB42_53:                              ;   in Loop: Header=BB42_56 Depth=1
	s_or_b64 exec, exec, s[10:11]
.LBB42_54:                              ;   in Loop: Header=BB42_56 Depth=1
	s_or_b64 exec, exec, s[0:1]
	v_add_co_u32_e32 v8, vcc, v58, v104
	v_addc_co_u32_e32 v9, vcc, v1, v105, vcc
	v_add_co_u32_e32 v10, vcc, v74, v104
	v_addc_co_u32_e32 v11, vcc, v39, v105, vcc
	global_load_dwordx2 v[10:11], v[10:11], off
	v_add_co_u32_e32 v12, vcc, v40, v104
	v_addc_co_u32_e32 v13, vcc, v41, v105, vcc
	global_load_dwordx2 v[8:9], v[8:9], off
	v_add_co_u32_e32 v14, vcc, v60, v104
	v_addc_co_u32_e32 v15, vcc, v61, v105, vcc
	global_load_dwordx2 v[16:17], v[14:15], off
	global_load_dwordx2 v[18:19], v[12:13], off
	v_add_co_u32_e32 v12, vcc, v42, v104
	v_addc_co_u32_e32 v13, vcc, v43, v105, vcc
	v_add_co_u32_e32 v14, vcc, v62, v104
	v_addc_co_u32_e32 v15, vcc, v63, v105, vcc
	global_load_dwordx2 v[22:23], v[14:15], off
	global_load_dwordx2 v[24:25], v[12:13], off
	v_add_co_u32_e32 v12, vcc, v44, v104
	v_addc_co_u32_e32 v13, vcc, v45, v105, vcc
	v_add_co_u32_e32 v14, vcc, v64, v104
	v_addc_co_u32_e32 v15, vcc, v65, v105, vcc
	global_load_dwordx2 v[14:15], v[14:15], off
	v_add_co_u32_e32 v20, vcc, v46, v104
	v_addc_co_u32_e32 v21, vcc, v47, v105, vcc
	global_load_dwordx2 v[26:27], v[20:21], off
	v_add_co_u32_e32 v20, vcc, v66, v104
	global_load_dwordx2 v[12:13], v[12:13], off
	v_addc_co_u32_e32 v21, vcc, v67, v105, vcc
	global_load_dwordx2 v[28:29], v[20:21], off
	v_add_co_u32_e32 v20, vcc, v48, v104
	v_addc_co_u32_e32 v21, vcc, v49, v105, vcc
	global_load_dwordx2 v[30:31], v[20:21], off
	v_add_co_u32_e32 v20, vcc, v68, v104
	;; [unrolled: 3-line block ×5, first 2 shown]
	v_addc_co_u32_e32 v107, vcc, v55, v105, vcc
	v_add_co_u32_e32 v108, vcc, v72, v104
	v_addc_co_u32_e32 v109, vcc, v73, v105, vcc
	global_load_dwordx2 v[112:113], v[108:109], off
	global_load_dwordx2 v[20:21], v[106:107], off
	s_waitcnt vmcnt(17)
	ds_bpermute_b32 v106, v110, v6
	ds_bpermute_b32 v107, v110, v7
	s_waitcnt vmcnt(16)
	ds_bpermute_b32 v108, v110, v2
	ds_bpermute_b32 v109, v110, v3
	ds_bpermute_b32 v114, v110, v2 offset:4
	ds_bpermute_b32 v115, v110, v3 offset:4
	s_waitcnt vmcnt(15) lgkmcnt(4)
	v_add_f64 v[10:11], v[10:11], -v[106:107]
	ds_bpermute_b32 v106, v110, v6 offset:4
	ds_bpermute_b32 v107, v110, v7 offset:4
	s_waitcnt vmcnt(14)
	v_mul_f64 v[10:11], v[8:9], v[10:11]
	s_waitcnt lgkmcnt(4)
	v_fmac_f64_e32 v[56:57], v[10:11], v[108:109]
	v_add_f64 v[8:9], v[50:51], v[8:9]
	s_waitcnt vmcnt(13) lgkmcnt(0)
	v_add_f64 v[10:11], v[16:17], -v[106:107]
	ds_bpermute_b32 v16, v110, v6 offset:8
	ds_bpermute_b32 v17, v110, v7 offset:8
	;; [unrolled: 1-line block ×4, first 2 shown]
	s_waitcnt vmcnt(12)
	v_mul_f64 v[10:11], v[18:19], v[10:11]
	v_fmac_f64_e32 v[56:57], v[10:11], v[114:115]
	v_add_f64 v[8:9], v[8:9], v[18:19]
	s_waitcnt vmcnt(11) lgkmcnt(2)
	v_add_f64 v[10:11], v[22:23], -v[16:17]
	s_waitcnt vmcnt(10)
	v_mul_f64 v[10:11], v[24:25], v[10:11]
	s_waitcnt lgkmcnt(0)
	v_fmac_f64_e32 v[56:57], v[10:11], v[106:107]
	ds_bpermute_b32 v10, v110, v6 offset:12
	ds_bpermute_b32 v11, v110, v7 offset:12
	;; [unrolled: 1-line block ×4, first 2 shown]
	v_add_f64 v[8:9], v[8:9], v[24:25]
	s_waitcnt vmcnt(9) lgkmcnt(2)
	v_add_f64 v[10:11], v[14:15], -v[10:11]
	ds_bpermute_b32 v14, v110, v6 offset:16
	ds_bpermute_b32 v15, v110, v7 offset:16
	s_waitcnt vmcnt(7)
	v_mul_f64 v[10:11], v[12:13], v[10:11]
	s_waitcnt lgkmcnt(2)
	v_fmac_f64_e32 v[56:57], v[10:11], v[16:17]
	v_add_f64 v[8:9], v[8:9], v[12:13]
	ds_bpermute_b32 v10, v110, v2 offset:16
	ds_bpermute_b32 v11, v110, v3 offset:16
	s_waitcnt vmcnt(6) lgkmcnt(2)
	v_add_f64 v[12:13], v[28:29], -v[14:15]
	ds_bpermute_b32 v14, v110, v6 offset:20
	ds_bpermute_b32 v15, v110, v7 offset:20
	v_mul_f64 v[12:13], v[26:27], v[12:13]
	s_waitcnt lgkmcnt(2)
	v_fmac_f64_e32 v[56:57], v[12:13], v[10:11]
	ds_bpermute_b32 v10, v110, v2 offset:20
	ds_bpermute_b32 v11, v110, v3 offset:20
	v_add_f64 v[8:9], v[8:9], v[26:27]
	s_waitcnt vmcnt(4) lgkmcnt(2)
	v_add_f64 v[12:13], v[32:33], -v[14:15]
	ds_bpermute_b32 v14, v110, v6 offset:24
	ds_bpermute_b32 v15, v110, v7 offset:24
	v_mul_f64 v[12:13], v[30:31], v[12:13]
	s_waitcnt lgkmcnt(2)
	v_fmac_f64_e32 v[56:57], v[12:13], v[10:11]
	ds_bpermute_b32 v10, v110, v2 offset:24
	ds_bpermute_b32 v11, v110, v3 offset:24
	;; [unrolled: 1-line block ×4, first 2 shown]
	v_add_f64 v[8:9], v[8:9], v[30:31]
	s_waitcnt vmcnt(2) lgkmcnt(4)
	v_add_f64 v[12:13], v[36:37], -v[14:15]
	ds_bpermute_b32 v14, v110, v6 offset:28
	ds_bpermute_b32 v15, v110, v7 offset:28
	v_mul_f64 v[12:13], v[34:35], v[12:13]
	v_add_f64 v[6:7], v[8:9], v[34:35]
	s_waitcnt lgkmcnt(4)
	v_fmac_f64_e32 v[56:57], v[12:13], v[10:11]
	s_waitcnt vmcnt(1) lgkmcnt(0)
	v_add_f64 v[8:9], v[112:113], -v[14:15]
	s_waitcnt vmcnt(0)
	v_mul_f64 v[8:9], v[20:21], v[8:9]
	v_mul_f64 v[8:9], v[8:9], v[2:3]
	v_pk_mov_b32 v[2:3], v[56:57], v[56:57] op_sel:[0,1]
.LBB42_55:                              ;   in Loop: Header=BB42_56 Depth=1
	v_add_f64 v[56:57], v[2:3], v[8:9]
	v_mov_b32_e32 v2, s27
	v_add_co_u32_e32 v40, vcc, s26, v40
	v_addc_co_u32_e32 v41, vcc, v41, v2, vcc
	v_add_co_u32_e32 v42, vcc, s26, v42
	v_addc_co_u32_e32 v43, vcc, v43, v2, vcc
	v_add_co_u32_e32 v44, vcc, s26, v44
	v_addc_co_u32_e32 v45, vcc, v45, v2, vcc
	v_add_co_u32_e32 v46, vcc, s26, v46
	v_addc_co_u32_e32 v47, vcc, v47, v2, vcc
	v_add_co_u32_e32 v48, vcc, s26, v48
	v_addc_co_u32_e32 v49, vcc, v49, v2, vcc
	v_add_co_u32_e32 v52, vcc, s26, v52
	v_addc_co_u32_e32 v53, vcc, v53, v2, vcc
	v_add_co_u32_e32 v54, vcc, s26, v54
	v_addc_co_u32_e32 v55, vcc, v55, v2, vcc
	v_add_co_u32_e32 v58, vcc, s26, v58
	v_addc_co_u32_e32 v1, vcc, v1, v2, vcc
	v_add_co_u32_e32 v60, vcc, s26, v60
	v_addc_co_u32_e32 v61, vcc, v61, v2, vcc
	v_add_co_u32_e32 v62, vcc, s26, v62
	v_addc_co_u32_e32 v63, vcc, v63, v2, vcc
	v_add_co_u32_e32 v64, vcc, s26, v64
	v_addc_co_u32_e32 v65, vcc, v65, v2, vcc
	v_add_co_u32_e32 v66, vcc, s26, v66
	v_addc_co_u32_e32 v67, vcc, v67, v2, vcc
	v_add_co_u32_e32 v68, vcc, s26, v68
	v_addc_co_u32_e32 v69, vcc, v69, v2, vcc
	v_add_co_u32_e32 v70, vcc, s26, v70
	v_addc_co_u32_e32 v71, vcc, v71, v2, vcc
	v_add_co_u32_e32 v72, vcc, s26, v72
	v_addc_co_u32_e32 v73, vcc, v73, v2, vcc
	v_add_co_u32_e32 v74, vcc, s26, v74
	v_addc_co_u32_e32 v39, vcc, v39, v2, vcc
	v_add_co_u32_e32 v76, vcc, s26, v76
	v_addc_co_u32_e32 v59, vcc, v59, v2, vcc
	v_add_co_u32_e32 v78, vcc, s26, v78
	v_addc_co_u32_e32 v75, vcc, v75, v2, vcc
	v_add_co_u32_e32 v80, vcc, s26, v80
	v_addc_co_u32_e32 v77, vcc, v77, v2, vcc
	v_add_co_u32_e32 v82, vcc, s26, v82
	v_addc_co_u32_e32 v79, vcc, v79, v2, vcc
	v_add_co_u32_e32 v84, vcc, s26, v84
	v_addc_co_u32_e32 v81, vcc, v81, v2, vcc
	v_add_co_u32_e32 v86, vcc, s26, v86
	v_addc_co_u32_e32 v83, vcc, v83, v2, vcc
	v_add_co_u32_e32 v88, vcc, s26, v88
	v_addc_co_u32_e32 v85, vcc, v85, v2, vcc
	v_add_co_u32_e32 v90, vcc, s26, v90
	v_addc_co_u32_e32 v87, vcc, v87, v2, vcc
	v_add_co_u32_e32 v92, vcc, s26, v92
	v_addc_co_u32_e32 v89, vcc, v89, v2, vcc
	v_add_co_u32_e32 v94, vcc, s26, v94
	v_addc_co_u32_e32 v91, vcc, v91, v2, vcc
	v_add_co_u32_e32 v96, vcc, s26, v96
	v_addc_co_u32_e32 v93, vcc, v93, v2, vcc
	v_add_co_u32_e32 v98, vcc, s26, v98
	v_addc_co_u32_e32 v95, vcc, v95, v2, vcc
	v_add_co_u32_e32 v100, vcc, s26, v100
	v_addc_co_u32_e32 v97, vcc, v97, v2, vcc
	s_add_u32 s34, s34, s7
	v_add_co_u32_e32 v102, vcc, s26, v102
	s_addc_u32 s35, s35, 0
	v_addc_co_u32_e32 v99, vcc, v99, v2, vcc
	v_pk_mov_b32 v[2:3], s[36:37], s[36:37] op_sel:[0,1]
	s_add_u32 s24, s24, s7
	v_cmp_ge_i64_e32 vcc, s[34:35], v[2:3]
	v_add_f64 v[50:51], v[6:7], v[20:21]
	s_addc_u32 s25, s25, 0
	s_cbranch_vccnz .LBB42_82
.LBB42_56:                              ; =>This Inner Loop Header: Depth=1
	v_pk_mov_b32 v[2:3], s[36:37], s[36:37] op_sel:[0,1]
	v_cmp_ge_i64_e32 vcc, s[24:25], v[2:3]
	v_mov_b32_e32 v2, s25
	v_add_co_u32_e64 v111, s[0:1], s24, v38
	v_addc_co_u32_e64 v112, s[0:1], 0, v2, s[0:1]
	s_cbranch_vccz .LBB42_78
; %bb.57:                               ;   in Loop: Header=BB42_56 Depth=1
	s_load_dword s0, s[2:3], 0xc
	v_pk_mov_b32 v[106:107], 0, 0
	v_pk_mov_b32 v[108:109], v[106:107], v[106:107] op_sel:[0,1]
	s_waitcnt lgkmcnt(0)
	s_and_b32 s0, s0, 0xffff
	v_mad_u32_u24 v2, v101, s0, v103
	v_and_b32_e32 v2, 63, v2
	v_cmp_gt_u32_e32 vcc, 8, v2
	s_and_saveexec_b64 s[0:1], vcc
	s_cbranch_execz .LBB42_61
; %bb.58:                               ;   in Loop: Header=BB42_56 Depth=1
	v_add_co_u32_e32 v2, vcc, v111, v2
	v_addc_co_u32_e32 v3, vcc, 0, v112, vcc
	v_add_co_u32_e32 v2, vcc, 0xffffffc1, v2
	v_addc_co_u32_e32 v3, vcc, -1, v3, vcc
	v_pk_mov_b32 v[108:109], 0, 0
	v_cmp_gt_i64_e32 vcc, s[36:37], v[2:3]
	v_pk_mov_b32 v[106:107], v[108:109], v[108:109] op_sel:[0,1]
	s_and_saveexec_b64 s[10:11], vcc
	s_cbranch_execz .LBB42_60
; %bb.59:                               ;   in Loop: Header=BB42_56 Depth=1
	v_lshlrev_b64 v[2:3], 3, v[2:3]
	v_mov_b32_e32 v5, s31
	v_add_co_u32_e32 v6, vcc, s30, v2
	v_addc_co_u32_e32 v7, vcc, v5, v3, vcc
	v_mov_b32_e32 v5, s29
	v_add_co_u32_e32 v2, vcc, s28, v2
	v_addc_co_u32_e32 v3, vcc, v5, v3, vcc
	global_load_dwordx2 v[108:109], v[2:3], off
	global_load_dwordx2 v[106:107], v[6:7], off
.LBB42_60:                              ;   in Loop: Header=BB42_56 Depth=1
	s_or_b64 exec, exec, s[10:11]
.LBB42_61:                              ;   in Loop: Header=BB42_56 Depth=1
	s_or_b64 exec, exec, s[0:1]
	s_mov_b32 s22, s8
	s_mov_b32 s23, s8
	;; [unrolled: 1-line block ×15, first 2 shown]
	v_pk_mov_b32 v[36:37], s[22:23], s[22:23] op_sel:[0,1]
	v_add_co_u32_e32 v2, vcc, 0xffffffc1, v111
	v_pk_mov_b32 v[22:23], s[8:9], s[8:9] op_sel:[0,1]
	v_addc_co_u32_e32 v3, vcc, -1, v112, vcc
	v_pk_mov_b32 v[34:35], s[20:21], s[20:21] op_sel:[0,1]
	v_pk_mov_b32 v[32:33], s[18:19], s[18:19] op_sel:[0,1]
	v_pk_mov_b32 v[30:31], s[16:17], s[16:17] op_sel:[0,1]
	v_pk_mov_b32 v[28:29], s[14:15], s[14:15] op_sel:[0,1]
	v_pk_mov_b32 v[26:27], s[12:13], s[12:13] op_sel:[0,1]
	v_pk_mov_b32 v[24:25], s[10:11], s[10:11] op_sel:[0,1]
	v_pk_mov_b32 v[6:7], v[22:23], v[22:23] op_sel:[0,1]
	v_cmp_gt_i64_e32 vcc, s[36:37], v[2:3]
	v_pk_mov_b32 v[8:9], v[24:25], v[24:25] op_sel:[0,1]
	v_pk_mov_b32 v[10:11], v[26:27], v[26:27] op_sel:[0,1]
	;; [unrolled: 1-line block ×7, first 2 shown]
	s_and_saveexec_b64 s[0:1], vcc
	s_cbranch_execz .LBB42_63
; %bb.62:                               ;   in Loop: Header=BB42_56 Depth=1
	v_add_co_u32_e32 v2, vcc, v58, v104
	v_addc_co_u32_e32 v3, vcc, v1, v105, vcc
	v_add_co_u32_e32 v6, vcc, v74, v104
	global_load_dwordx2 v[2:3], v[2:3], off
	v_addc_co_u32_e32 v7, vcc, v39, v105, vcc
	global_load_dwordx2 v[22:23], v[6:7], off
	v_mov_b32_e32 v6, v4
	v_mov_b32_e32 v7, v4
	;; [unrolled: 1-line block ×13, first 2 shown]
	s_waitcnt vmcnt(1)
	v_pk_mov_b32 v[20:21], v[16:17], v[16:17] op_sel:[0,1]
	v_mov_b32_e32 v24, v4
	v_mov_b32_e32 v25, v4
	;; [unrolled: 1-line block ×14, first 2 shown]
	v_pk_mov_b32 v[18:19], v[14:15], v[14:15] op_sel:[0,1]
	v_pk_mov_b32 v[16:17], v[12:13], v[12:13] op_sel:[0,1]
	v_pk_mov_b32 v[14:15], v[10:11], v[10:11] op_sel:[0,1]
	v_pk_mov_b32 v[12:13], v[8:9], v[8:9] op_sel:[0,1]
	v_pk_mov_b32 v[10:11], v[6:7], v[6:7] op_sel:[0,1]
	v_pk_mov_b32 v[8:9], v[4:5], v[4:5] op_sel:[0,1]
	v_pk_mov_b32 v[6:7], v[2:3], v[2:3] op_sel:[0,1]
.LBB42_63:                              ;   in Loop: Header=BB42_56 Depth=1
	s_or_b64 exec, exec, s[0:1]
	v_add_co_u32_e32 v2, vcc, 0xffffffc2, v111
	v_addc_co_u32_e32 v3, vcc, -1, v112, vcc
	v_cmp_gt_i64_e32 vcc, s[36:37], v[2:3]
	s_and_saveexec_b64 s[0:1], vcc
	s_cbranch_execz .LBB42_65
; %bb.64:                               ;   in Loop: Header=BB42_56 Depth=1
	v_add_co_u32_e32 v2, vcc, v100, v104
	v_addc_co_u32_e32 v3, vcc, v97, v105, vcc
	global_load_dwordx2 v[8:9], v[2:3], off
	v_add_co_u32_e32 v2, vcc, v102, v104
	v_addc_co_u32_e32 v3, vcc, v99, v105, vcc
	global_load_dwordx2 v[24:25], v[2:3], off
.LBB42_65:                              ;   in Loop: Header=BB42_56 Depth=1
	s_or_b64 exec, exec, s[0:1]
	v_add_co_u32_e32 v2, vcc, 0xffffffc3, v111
	v_addc_co_u32_e32 v3, vcc, -1, v112, vcc
	v_cmp_gt_i64_e32 vcc, s[36:37], v[2:3]
	s_and_saveexec_b64 s[0:1], vcc
	s_cbranch_execz .LBB42_67
; %bb.66:                               ;   in Loop: Header=BB42_56 Depth=1
	v_add_co_u32_e32 v2, vcc, v96, v104
	v_addc_co_u32_e32 v3, vcc, v93, v105, vcc
	global_load_dwordx2 v[10:11], v[2:3], off
	v_add_co_u32_e32 v2, vcc, v98, v104
	v_addc_co_u32_e32 v3, vcc, v95, v105, vcc
	global_load_dwordx2 v[26:27], v[2:3], off
.LBB42_67:                              ;   in Loop: Header=BB42_56 Depth=1
	;; [unrolled: 14-line block ×7, first 2 shown]
	s_or_b64 exec, exec, s[0:1]
	s_waitcnt vmcnt(1)
	ds_bpermute_b32 v2, v110, v108
	ds_bpermute_b32 v3, v110, v109
	s_waitcnt vmcnt(0)
	ds_bpermute_b32 v114, v110, v106
	ds_bpermute_b32 v115, v110, v107
	ds_bpermute_b32 v116, v110, v108 offset:4
	ds_bpermute_b32 v117, v110, v109 offset:4
	s_waitcnt lgkmcnt(4)
	v_add_f64 v[2:3], v[22:23], -v[2:3]
	v_mul_f64 v[2:3], v[6:7], v[2:3]
	s_waitcnt lgkmcnt(2)
	v_fma_f64 v[2:3], v[2:3], v[114:115], v[56:57]
	ds_bpermute_b32 v22, v110, v106 offset:4
	ds_bpermute_b32 v23, v110, v107 offset:4
	;; [unrolled: 1-line block ×4, first 2 shown]
	v_add_f64 v[6:7], v[50:51], v[6:7]
	s_waitcnt lgkmcnt(4)
	v_add_f64 v[24:25], v[24:25], -v[116:117]
	v_mul_f64 v[24:25], v[8:9], v[24:25]
	v_add_f64 v[6:7], v[8:9], v[6:7]
	ds_bpermute_b32 v8, v110, v106 offset:8
	ds_bpermute_b32 v9, v110, v107 offset:8
	s_waitcnt lgkmcnt(4)
	v_fmac_f64_e32 v[2:3], v[24:25], v[22:23]
	s_waitcnt lgkmcnt(2)
	v_add_f64 v[22:23], v[26:27], -v[114:115]
	ds_bpermute_b32 v24, v110, v108 offset:12
	ds_bpermute_b32 v25, v110, v109 offset:12
	v_mul_f64 v[22:23], v[10:11], v[22:23]
	s_waitcnt lgkmcnt(2)
	v_fmac_f64_e32 v[2:3], v[22:23], v[8:9]
	ds_bpermute_b32 v8, v110, v106 offset:12
	ds_bpermute_b32 v9, v110, v107 offset:12
	v_add_f64 v[6:7], v[10:11], v[6:7]
	s_waitcnt lgkmcnt(2)
	v_add_f64 v[10:11], v[28:29], -v[24:25]
	ds_bpermute_b32 v22, v110, v108 offset:16
	ds_bpermute_b32 v23, v110, v109 offset:16
	v_mul_f64 v[10:11], v[12:13], v[10:11]
	s_waitcnt lgkmcnt(2)
	v_fmac_f64_e32 v[2:3], v[10:11], v[8:9]
	v_add_f64 v[6:7], v[12:13], v[6:7]
	ds_bpermute_b32 v8, v110, v106 offset:16
	ds_bpermute_b32 v9, v110, v107 offset:16
	;; [unrolled: 1-line block ×4, first 2 shown]
	s_waitcnt lgkmcnt(4)
	v_add_f64 v[10:11], v[30:31], -v[22:23]
	v_mul_f64 v[10:11], v[14:15], v[10:11]
	s_waitcnt lgkmcnt(2)
	v_fmac_f64_e32 v[2:3], v[10:11], v[8:9]
	ds_bpermute_b32 v8, v110, v106 offset:20
	ds_bpermute_b32 v9, v110, v107 offset:20
	s_waitcnt lgkmcnt(2)
	v_add_f64 v[10:11], v[32:33], -v[12:13]
	ds_bpermute_b32 v12, v110, v108 offset:24
	ds_bpermute_b32 v13, v110, v109 offset:24
	v_mul_f64 v[10:11], v[16:17], v[10:11]
	s_waitcnt lgkmcnt(2)
	v_fmac_f64_e32 v[2:3], v[10:11], v[8:9]
	ds_bpermute_b32 v8, v110, v106 offset:24
	ds_bpermute_b32 v9, v110, v107 offset:24
	s_waitcnt lgkmcnt(2)
	v_add_f64 v[10:11], v[34:35], -v[12:13]
	ds_bpermute_b32 v12, v110, v108 offset:28
	ds_bpermute_b32 v13, v110, v109 offset:28
	v_add_f64 v[6:7], v[14:15], v[6:7]
	ds_bpermute_b32 v14, v110, v106 offset:28
	ds_bpermute_b32 v15, v110, v107 offset:28
	v_mul_f64 v[10:11], v[18:19], v[10:11]
	s_waitcnt lgkmcnt(4)
	v_fmac_f64_e32 v[2:3], v[10:11], v[8:9]
	s_waitcnt lgkmcnt(2)
	v_add_f64 v[8:9], v[36:37], -v[12:13]
	v_add_f64 v[6:7], v[16:17], v[6:7]
	v_mul_f64 v[8:9], v[20:21], v[8:9]
	v_add_f64 v[6:7], v[18:19], v[6:7]
	s_waitcnt lgkmcnt(0)
	v_mul_f64 v[8:9], v[8:9], v[14:15]
	s_branch .LBB42_55
.LBB42_78:                              ;   in Loop: Header=BB42_56 Depth=1
                                        ; implicit-def: $vgpr20_vgpr21
                                        ; implicit-def: $vgpr8_vgpr9
                                        ; implicit-def: $vgpr6_vgpr7
                                        ; implicit-def: $vgpr2_vgpr3
	s_cbranch_execz .LBB42_55
; %bb.79:                               ;   in Loop: Header=BB42_56 Depth=1
	s_load_dword s0, s[2:3], 0x0
	v_pk_mov_b32 v[2:3], 0, 0
	v_pk_mov_b32 v[6:7], v[2:3], v[2:3] op_sel:[0,1]
	s_waitcnt lgkmcnt(0)
	s_cmp_lt_u32 s6, s0
	s_cselect_b32 s0, 12, 18
	s_add_u32 s0, s2, s0
	s_addc_u32 s1, s3, 0
	global_load_ushort v5, v4, s[0:1]
	s_waitcnt vmcnt(0)
	v_mad_u32_u24 v5, v101, v5, v103
	v_and_b32_e32 v5, 63, v5
	v_cmp_gt_u32_e32 vcc, 8, v5
	s_and_saveexec_b64 s[0:1], vcc
	s_cbranch_execz .LBB42_54
; %bb.80:                               ;   in Loop: Header=BB42_56 Depth=1
	v_add_co_u32_e32 v2, vcc, v111, v5
	v_addc_co_u32_e32 v3, vcc, 0, v112, vcc
	v_add_co_u32_e32 v8, vcc, 0xffffffc1, v2
	v_addc_co_u32_e32 v9, vcc, -1, v3, vcc
	v_pk_mov_b32 v[6:7], 0, 0
	v_cmp_gt_i64_e32 vcc, s[36:37], v[8:9]
	v_pk_mov_b32 v[2:3], v[6:7], v[6:7] op_sel:[0,1]
	s_and_saveexec_b64 s[10:11], vcc
	s_cbranch_execz .LBB42_53
; %bb.81:                               ;   in Loop: Header=BB42_56 Depth=1
	v_lshlrev_b64 v[2:3], 3, v[8:9]
	v_mov_b32_e32 v5, s31
	v_add_co_u32_e32 v8, vcc, s30, v2
	v_addc_co_u32_e32 v9, vcc, v5, v3, vcc
	v_mov_b32_e32 v5, s29
	v_add_co_u32_e32 v10, vcc, s28, v2
	v_addc_co_u32_e32 v11, vcc, v5, v3, vcc
	global_load_dwordx2 v[6:7], v[10:11], off
	global_load_dwordx2 v[2:3], v[8:9], off
	s_branch .LBB42_53
.LBB42_82:
	v_and_b32_e32 v2, 0x3ff, v0
	v_bfe_u32 v0, v0, 10, 10
	v_mad_u32_u24 v1, v0, 33, v2
	v_lshl_add_u32 v3, v1, 3, 0
	v_sub_u32_e32 v1, v1, v0
	s_movk_i32 s0, 0x800
	s_mov_b32 s7, 0
	v_cmp_gt_u32_e32 vcc, s0, v1
	ds_write_b64 v3, v[56:57]
	ds_write_b64 v3, v[50:51] offset:2112
	s_waitcnt lgkmcnt(0)
	s_barrier
	s_and_saveexec_b64 s[0:1], vcc
	s_cbranch_execz .LBB42_92
; %bb.83:
	v_mbcnt_lo_u32_b32 v3, -1, 0
	v_mbcnt_hi_u32_b32 v3, -1, v3
	v_and_b32_e32 v4, 64, v3
	v_add_u32_e32 v4, 64, v4
	v_cmp_eq_u32_e64 s[2:3], 0, v2
	v_xor_b32_e32 v2, 4, v3
	v_cmp_lt_i32_e32 vcc, v2, v4
	s_load_dwordx4 s[8:11], s[4:5], 0x30
	v_cndmask_b32_e32 v2, v3, v2, vcc
	v_lshlrev_b32_e32 v10, 2, v2
	v_xor_b32_e32 v2, 2, v3
	v_cmp_lt_i32_e32 vcc, v2, v4
	v_cndmask_b32_e32 v2, v3, v2, vcc
	s_lshl_b64 s[4:5], s[6:7], 5
	v_lshlrev_b32_e32 v11, 2, v2
	v_xor_b32_e32 v2, 1, v3
	s_waitcnt lgkmcnt(0)
	s_cmp_lg_u64 s[8:9], 0
	v_cmp_lt_i32_e32 vcc, v2, v4
	v_lshrrev_b32_e32 v0, 6, v1
	s_cselect_b64 s[14:15], -1, 0
	s_cmp_lg_u64 s[10:11], 0
	v_cndmask_b32_e32 v2, v3, v2, vcc
	s_cselect_b64 s[16:17], -1, 0
	v_lshlrev_b32_e32 v12, 2, v2
	s_lshl_b64 s[6:7], s[6:7], 8
	v_lshlrev_b32_e32 v2, 3, v0
	v_mov_b32_e32 v3, s7
	v_add_co_u32_e32 v4, vcc, s6, v2
	v_addc_co_u32_e32 v5, vcc, 0, v3, vcc
	v_mov_b32_e32 v3, s11
	v_add_co_u32_e32 v2, vcc, s10, v4
	v_and_b32_e32 v6, 63, v1
	v_addc_co_u32_e32 v3, vcc, v3, v5, vcc
	v_cmp_gt_u32_e64 s[0:1], 8, v6
	v_mov_b32_e32 v7, s9
	v_add_co_u32_e32 v4, vcc, s8, v4
	v_mad_u32_u24 v6, v6, 33, v0
	v_mov_b32_e32 v1, 0
	s_mov_b64 s[12:13], 0
	v_addc_co_u32_e32 v5, vcc, v7, v5, vcc
	v_lshl_add_u32 v13, v6, 3, 0
	v_mov_b32_e32 v14, s5
                                        ; implicit-def: $vgpr6_vgpr7
                                        ; implicit-def: $vgpr8_vgpr9
	s_branch .LBB42_85
.LBB42_84:                              ;   in Loop: Header=BB42_85 Depth=1
	s_or_b64 exec, exec, s[6:7]
	v_add_co_u32_e32 v0, vcc, 4, v0
	v_addc_co_u32_e32 v1, vcc, 0, v1, vcc
	v_add_co_u32_e32 v2, vcc, 32, v2
	v_addc_co_u32_e32 v3, vcc, 0, v3, vcc
	v_add_co_u32_e32 v4, vcc, 32, v4
	v_add_u32_e32 v15, -4, v0
	v_addc_co_u32_e32 v5, vcc, 0, v5, vcc
	v_cmp_lt_u32_e32 vcc, 27, v15
	s_or_b64 s[12:13], vcc, s[12:13]
	v_add_u32_e32 v13, 32, v13
	s_andn2_b64 exec, exec, s[12:13]
	s_cbranch_execz .LBB42_92
.LBB42_85:                              ; =>This Inner Loop Header: Depth=1
	s_and_saveexec_b64 s[6:7], s[0:1]
	s_cbranch_execz .LBB42_87
; %bb.86:                               ;   in Loop: Header=BB42_85 Depth=1
	ds_read_b64 v[6:7], v13
	ds_read_b64 v[8:9], v13 offset:2112
.LBB42_87:                              ;   in Loop: Header=BB42_85 Depth=1
	s_or_b64 exec, exec, s[6:7]
	s_waitcnt lgkmcnt(1)
	ds_bpermute_b32 v16, v10, v6
	ds_bpermute_b32 v17, v10, v7
	s_waitcnt lgkmcnt(2)
	ds_bpermute_b32 v18, v10, v8
	ds_bpermute_b32 v19, v10, v9
	s_waitcnt lgkmcnt(2)
	v_add_f64 v[6:7], v[6:7], v[16:17]
	ds_bpermute_b32 v16, v11, v6
	ds_bpermute_b32 v17, v11, v7
	s_waitcnt lgkmcnt(2)
	v_add_f64 v[8:9], v[8:9], v[18:19]
	;; [unrolled: 4-line block ×5, first 2 shown]
	v_add_co_u32_e32 v16, vcc, s4, v0
	v_addc_co_u32_e32 v17, vcc, v14, v1, vcc
	v_cmp_gt_i64_e32 vcc, s[38:39], v[16:17]
	s_waitcnt lgkmcnt(0)
	v_add_f64 v[8:9], v[8:9], v[18:19]
	s_and_b64 s[8:9], s[2:3], vcc
	s_and_saveexec_b64 s[6:7], s[8:9]
	s_cbranch_execz .LBB42_84
; %bb.88:                               ;   in Loop: Header=BB42_85 Depth=1
	s_andn2_b64 vcc, exec, s[14:15]
	s_cbranch_vccnz .LBB42_90
; %bb.89:                               ;   in Loop: Header=BB42_85 Depth=1
	global_store_dwordx2 v[4:5], v[6:7], off
.LBB42_90:                              ;   in Loop: Header=BB42_85 Depth=1
	s_andn2_b64 vcc, exec, s[16:17]
	s_cbranch_vccnz .LBB42_84
; %bb.91:                               ;   in Loop: Header=BB42_85 Depth=1
	global_store_dwordx2 v[2:3], v[8:9], off
	s_branch .LBB42_84
.LBB42_92:
	s_endpgm
	.section	.rodata,"a",@progbits
	.p2align	6, 0x0
	.amdhsa_kernel _ZN2at6native12_GLOBAL__N_135GammaBetaBackwardCUDAKernelTemplateIddLj32ELj8ELj64ELb0ELb0ELb0EEEvllPKT_S5_PKT0_S8_PS3_S9_
		.amdhsa_group_segment_fixed_size 0
		.amdhsa_private_segment_fixed_size 0
		.amdhsa_kernarg_size 320
		.amdhsa_user_sgpr_count 6
		.amdhsa_user_sgpr_private_segment_buffer 1
		.amdhsa_user_sgpr_dispatch_ptr 0
		.amdhsa_user_sgpr_queue_ptr 0
		.amdhsa_user_sgpr_kernarg_segment_ptr 1
		.amdhsa_user_sgpr_dispatch_id 0
		.amdhsa_user_sgpr_flat_scratch_init 0
		.amdhsa_user_sgpr_kernarg_preload_length 0
		.amdhsa_user_sgpr_kernarg_preload_offset 0
		.amdhsa_user_sgpr_private_segment_size 0
		.amdhsa_uses_dynamic_stack 0
		.amdhsa_system_sgpr_private_segment_wavefront_offset 0
		.amdhsa_system_sgpr_workgroup_id_x 1
		.amdhsa_system_sgpr_workgroup_id_y 1
		.amdhsa_system_sgpr_workgroup_id_z 0
		.amdhsa_system_sgpr_workgroup_info 0
		.amdhsa_system_vgpr_workitem_id 1
		.amdhsa_next_free_vgpr 118
		.amdhsa_next_free_sgpr 54
		.amdhsa_accum_offset 120
		.amdhsa_reserve_vcc 1
		.amdhsa_reserve_flat_scratch 0
		.amdhsa_float_round_mode_32 0
		.amdhsa_float_round_mode_16_64 0
		.amdhsa_float_denorm_mode_32 3
		.amdhsa_float_denorm_mode_16_64 3
		.amdhsa_dx10_clamp 1
		.amdhsa_ieee_mode 1
		.amdhsa_fp16_overflow 0
		.amdhsa_tg_split 0
		.amdhsa_exception_fp_ieee_invalid_op 0
		.amdhsa_exception_fp_denorm_src 0
		.amdhsa_exception_fp_ieee_div_zero 0
		.amdhsa_exception_fp_ieee_overflow 0
		.amdhsa_exception_fp_ieee_underflow 0
		.amdhsa_exception_fp_ieee_inexact 0
		.amdhsa_exception_int_div_zero 0
	.end_amdhsa_kernel
	.section	.text._ZN2at6native12_GLOBAL__N_135GammaBetaBackwardCUDAKernelTemplateIddLj32ELj8ELj64ELb0ELb0ELb0EEEvllPKT_S5_PKT0_S8_PS3_S9_,"axG",@progbits,_ZN2at6native12_GLOBAL__N_135GammaBetaBackwardCUDAKernelTemplateIddLj32ELj8ELj64ELb0ELb0ELb0EEEvllPKT_S5_PKT0_S8_PS3_S9_,comdat
.Lfunc_end42:
	.size	_ZN2at6native12_GLOBAL__N_135GammaBetaBackwardCUDAKernelTemplateIddLj32ELj8ELj64ELb0ELb0ELb0EEEvllPKT_S5_PKT0_S8_PS3_S9_, .Lfunc_end42-_ZN2at6native12_GLOBAL__N_135GammaBetaBackwardCUDAKernelTemplateIddLj32ELj8ELj64ELb0ELb0ELb0EEEvllPKT_S5_PKT0_S8_PS3_S9_
                                        ; -- End function
	.section	.AMDGPU.csdata,"",@progbits
; Kernel info:
; codeLenInByte = 8720
; NumSgprs: 58
; NumVgprs: 118
; NumAgprs: 0
; TotalNumVgprs: 118
; ScratchSize: 0
; MemoryBound: 1
; FloatMode: 240
; IeeeMode: 1
; LDSByteSize: 0 bytes/workgroup (compile time only)
; SGPRBlocks: 7
; VGPRBlocks: 14
; NumSGPRsForWavesPerEU: 58
; NumVGPRsForWavesPerEU: 118
; AccumOffset: 120
; Occupancy: 4
; WaveLimiterHint : 0
; COMPUTE_PGM_RSRC2:SCRATCH_EN: 0
; COMPUTE_PGM_RSRC2:USER_SGPR: 6
; COMPUTE_PGM_RSRC2:TRAP_HANDLER: 0
; COMPUTE_PGM_RSRC2:TGID_X_EN: 1
; COMPUTE_PGM_RSRC2:TGID_Y_EN: 1
; COMPUTE_PGM_RSRC2:TGID_Z_EN: 0
; COMPUTE_PGM_RSRC2:TIDIG_COMP_CNT: 1
; COMPUTE_PGM_RSRC3_GFX90A:ACCUM_OFFSET: 29
; COMPUTE_PGM_RSRC3_GFX90A:TG_SPLIT: 0
	.section	.text._ZN2at6native12_GLOBAL__N_135GammaBetaBackwardCUDAKernelTemplateIddLj32ELj16ELj128ELb0ELb1ELb0EEEvllPKT_S5_PKT0_S8_PS3_S9_,"axG",@progbits,_ZN2at6native12_GLOBAL__N_135GammaBetaBackwardCUDAKernelTemplateIddLj32ELj16ELj128ELb0ELb1ELb0EEEvllPKT_S5_PKT0_S8_PS3_S9_,comdat
	.globl	_ZN2at6native12_GLOBAL__N_135GammaBetaBackwardCUDAKernelTemplateIddLj32ELj16ELj128ELb0ELb1ELb0EEEvllPKT_S5_PKT0_S8_PS3_S9_ ; -- Begin function _ZN2at6native12_GLOBAL__N_135GammaBetaBackwardCUDAKernelTemplateIddLj32ELj16ELj128ELb0ELb1ELb0EEEvllPKT_S5_PKT0_S8_PS3_S9_
	.p2align	8
	.type	_ZN2at6native12_GLOBAL__N_135GammaBetaBackwardCUDAKernelTemplateIddLj32ELj16ELj128ELb0ELb1ELb0EEEvllPKT_S5_PKT0_S8_PS3_S9_,@function
_ZN2at6native12_GLOBAL__N_135GammaBetaBackwardCUDAKernelTemplateIddLj32ELj16ELj128ELb0ELb1ELb0EEEvllPKT_S5_PKT0_S8_PS3_S9_: ; @_ZN2at6native12_GLOBAL__N_135GammaBetaBackwardCUDAKernelTemplateIddLj32ELj16ELj128ELb0ELb1ELb0EEEvllPKT_S5_PKT0_S8_PS3_S9_
; %bb.0:
	s_load_dwordx4 s[20:23], s[4:5], 0x0
	s_lshl_b32 s24, s7, 7
	s_mov_b32 s25, 0
	v_bfe_u32 v18, v0, 10, 10
	s_waitcnt lgkmcnt(0)
	v_pk_mov_b32 v[2:3], s[20:21], s[20:21] op_sel:[0,1]
	v_cmp_lt_i64_e32 vcc, s[24:25], v[2:3]
	s_cbranch_vccnz .LBB43_2
; %bb.1:
	s_mov_b64 s[0:1], 0
	s_mov_b64 s[2:3], 0
	v_bfe_u32 v1, v0, 10, 10
	s_branch .LBB43_3
.LBB43_2:
	s_mov_b64 s[0:1], -1
                                        ; implicit-def: $sgpr2_sgpr3
                                        ; implicit-def: $vgpr1
.LBB43_3:
	s_load_dwordx4 s[16:19], s[4:5], 0x30
	v_and_b32_e32 v16, 0x3ff, v0
	s_andn2_b64 vcc, exec, s[0:1]
	v_pk_mov_b32 v[10:11], s[2:3], s[2:3] op_sel:[0,1]
	v_mbcnt_lo_u32_b32 v17, -1, 0
	v_pk_mov_b32 v[6:7], s[2:3], s[2:3] op_sel:[0,1]
	s_cbranch_vccnz .LBB43_11
; %bb.4:
	s_load_dword s0, s[4:5], 0x4c
	s_load_dword s2, s[4:5], 0x44
	s_load_dwordx8 s[8:15], s[4:5], 0x10
	v_mbcnt_hi_u32_b32 v2, -1, v17
	v_lshlrev_b32_e32 v0, 3, v18
	s_waitcnt lgkmcnt(0)
	s_and_b32 s0, s0, 0xffff
	v_lshlrev_b32_e32 v2, 2, v2
	v_mad_u32_u24 v1, v18, s0, v16
	v_and_b32_e32 v19, 0x100, v2
	v_mov_b32_e32 v2, s25
	v_add_co_u32_e32 v6, vcc, s24, v0
	v_and_b32_e32 v1, 63, v1
	v_addc_co_u32_e32 v7, vcc, 0, v2, vcc
	v_add_co_u32_e32 v0, vcc, v6, v1
	v_cmp_gt_u32_e64 s[0:1], 8, v1
	s_lshl_b32 s4, s2, 7
	v_addc_co_u32_e32 v1, vcc, 0, v7, vcc
	v_mul_lo_u32 v8, s23, v6
	v_mul_lo_u32 v9, s22, v7
	v_mad_u64_u32 v[6:7], s[2:3], s22, v6, 0
	v_mov_b32_e32 v5, 0
	v_lshl_add_u32 v4, s6, 5, v16
	v_add3_u32 v7, v7, v9, v8
	s_mov_b32 s5, 0
	v_lshlrev_b64 v[6:7], 3, v[6:7]
	v_lshlrev_b64 v[4:5], 3, v[4:5]
	s_mul_i32 s2, s23, s4
	s_mul_hi_u32 s3, s22, s4
	s_lshl_b64 s[26:27], s[4:5], 3
	v_add_co_u32_e32 v4, vcc, v6, v4
	s_add_i32 s3, s3, s2
	s_mul_i32 s2, s22, s4
	s_lshl_b64 s[22:23], s[22:23], 3
	v_pk_mov_b32 v[8:9], 0, 0
	v_or_b32_e32 v20, 4, v19
	v_or_b32_e32 v21, 8, v19
	v_or_b32_e32 v22, 12, v19
	v_or_b32_e32 v23, 16, v19
	v_or_b32_e32 v24, 20, v19
	v_or_b32_e32 v25, 24, v19
	v_or_b32_e32 v26, 28, v19
	v_lshlrev_b64 v[2:3], 3, v[0:1]
	v_addc_co_u32_e32 v5, vcc, v7, v5, vcc
	s_lshl_b64 s[28:29], s[2:3], 3
	v_mov_b32_e32 v27, s9
	v_mov_b32_e32 v28, s11
	;; [unrolled: 1-line block ×4, first 2 shown]
	v_pk_mov_b32 v[6:7], v[8:9], v[8:9] op_sel:[0,1]
	v_pk_mov_b32 v[10:11], v[8:9], v[8:9] op_sel:[0,1]
	s_branch .LBB43_7
.LBB43_5:                               ;   in Loop: Header=BB43_7 Depth=1
	s_or_b64 exec, exec, s[30:31]
.LBB43_6:                               ;   in Loop: Header=BB43_7 Depth=1
	s_or_b64 exec, exec, s[2:3]
	v_add_co_u32_e32 v32, vcc, s10, v4
	v_addc_co_u32_e32 v33, vcc, v28, v5, vcc
	v_add_co_u32_e32 v36, vcc, s8, v4
	v_addc_co_u32_e32 v37, vcc, v27, v5, vcc
	global_load_dwordx2 v[34:35], v[32:33], off
	v_add_co_u32_e32 v32, vcc, s22, v32
	global_load_dwordx2 v[38:39], v[36:37], off
	v_addc_co_u32_e32 v33, vcc, v33, v29, vcc
	global_load_dwordx2 v[40:41], v[32:33], off
	v_add_co_u32_e32 v36, vcc, s22, v36
	v_addc_co_u32_e32 v37, vcc, v37, v29, vcc
	global_load_dwordx2 v[42:43], v[36:37], off
	v_add_co_u32_e64 v32, s[2:3], s22, v32
	v_add_co_u32_e32 v36, vcc, s22, v36
	v_addc_co_u32_e64 v33, s[2:3], v33, v29, s[2:3]
	global_load_dwordx2 v[44:45], v[32:33], off
	v_addc_co_u32_e32 v37, vcc, v37, v29, vcc
	global_load_dwordx2 v[46:47], v[36:37], off
	s_waitcnt vmcnt(7)
	ds_bpermute_b32 v50, v19, v14
	ds_bpermute_b32 v51, v19, v15
	s_waitcnt vmcnt(6)
	ds_bpermute_b32 v48, v19, v12
	ds_bpermute_b32 v49, v19, v13
	;; [unrolled: 1-line block ×4, first 2 shown]
	v_add_co_u32_e32 v36, vcc, s22, v36
	v_addc_co_u32_e32 v37, vcc, v37, v29, vcc
	v_add_co_u32_e32 v32, vcc, s22, v32
	v_addc_co_u32_e32 v33, vcc, v33, v29, vcc
	ds_bpermute_b32 v54, v20, v12
	ds_bpermute_b32 v55, v20, v13
	s_add_u32 s24, s24, s4
	s_addc_u32 s25, s25, 0
	s_waitcnt vmcnt(5) lgkmcnt(6)
	v_add_f64 v[34:35], v[34:35], -v[50:51]
	ds_bpermute_b32 v50, v21, v14
	ds_bpermute_b32 v51, v21, v15
	s_waitcnt vmcnt(4)
	v_mul_f64 v[34:35], v[38:39], v[34:35]
	s_waitcnt lgkmcnt(6)
	v_fmac_f64_e32 v[6:7], v[34:35], v[48:49]
	v_add_co_u32_e32 v48, vcc, s22, v36
	s_waitcnt vmcnt(3) lgkmcnt(4)
	v_add_f64 v[40:41], v[40:41], -v[52:53]
	v_add_co_u32_e64 v52, s[2:3], s22, v32
	v_addc_co_u32_e32 v49, vcc, v37, v29, vcc
	v_addc_co_u32_e64 v53, vcc, v33, v29, s[2:3]
	global_load_dwordx2 v[32:33], v[32:33], off
	s_waitcnt vmcnt(3)
	v_mul_f64 v[40:41], v[42:43], v[40:41]
	global_load_dwordx2 v[36:37], v[36:37], off
	s_waitcnt lgkmcnt(2)
	v_fmac_f64_e32 v[6:7], v[40:41], v[54:55]
	v_add_co_u32_e32 v40, vcc, s22, v48
	v_add_co_u32_e64 v54, s[2:3], s22, v52
	ds_bpermute_b32 v34, v21, v12
	ds_bpermute_b32 v35, v21, v13
	v_addc_co_u32_e32 v41, vcc, v49, v29, vcc
	v_addc_co_u32_e64 v55, vcc, v53, v29, s[2:3]
	global_load_dwordx2 v[52:53], v[52:53], off
	s_waitcnt vmcnt(4) lgkmcnt(2)
	v_add_f64 v[44:45], v[44:45], -v[50:51]
	global_load_dwordx2 v[48:49], v[48:49], off
	s_waitcnt vmcnt(4)
	v_mul_f64 v[44:45], v[46:47], v[44:45]
	v_add_co_u32_e32 v50, vcc, s22, v54
	s_waitcnt lgkmcnt(0)
	v_fmac_f64_e32 v[6:7], v[44:45], v[34:35]
	v_add_co_u32_e64 v34, s[2:3], s22, v40
	global_load_dwordx2 v[44:45], v[54:55], off
	v_addc_co_u32_e32 v51, vcc, v55, v29, vcc
	v_addc_co_u32_e64 v35, vcc, v41, v29, s[2:3]
	global_load_dwordx2 v[40:41], v[40:41], off
	v_add_co_u32_e32 v54, vcc, s22, v50
	v_addc_co_u32_e32 v55, vcc, v51, v29, vcc
	global_load_dwordx2 v[50:51], v[50:51], off
	v_add_f64 v[10:11], v[10:11], v[38:39]
	v_add_co_u32_e32 v38, vcc, s22, v34
	v_addc_co_u32_e32 v39, vcc, v35, v29, vcc
	global_load_dwordx2 v[56:57], v[34:35], off
	global_load_dwordx2 v[58:59], v[54:55], off
	;; [unrolled: 1-line block ×3, first 2 shown]
	ds_bpermute_b32 v34, v22, v14
	ds_bpermute_b32 v35, v22, v15
	;; [unrolled: 1-line block ×4, first 2 shown]
	v_add_f64 v[10:11], v[10:11], v[42:43]
	v_add_f64 v[10:11], v[10:11], v[46:47]
	v_add_co_u32_e32 v2, vcc, s26, v2
	v_addc_co_u32_e32 v3, vcc, v3, v30, vcc
	v_add_co_u32_e32 v0, vcc, s4, v0
	s_waitcnt vmcnt(9) lgkmcnt(2)
	v_add_f64 v[32:33], v[32:33], -v[34:35]
	ds_bpermute_b32 v34, v23, v14
	ds_bpermute_b32 v35, v23, v15
	s_waitcnt vmcnt(8)
	v_mul_f64 v[32:33], v[36:37], v[32:33]
	s_waitcnt lgkmcnt(2)
	v_fmac_f64_e32 v[6:7], v[32:33], v[38:39]
	ds_bpermute_b32 v32, v23, v12
	ds_bpermute_b32 v33, v23, v13
	v_add_f64 v[10:11], v[10:11], v[36:37]
	ds_bpermute_b32 v36, v24, v14
	ds_bpermute_b32 v37, v24, v15
	s_waitcnt vmcnt(7) lgkmcnt(4)
	v_add_f64 v[34:35], v[52:53], -v[34:35]
	s_waitcnt vmcnt(6)
	v_mul_f64 v[34:35], v[48:49], v[34:35]
	s_waitcnt lgkmcnt(2)
	v_fmac_f64_e32 v[6:7], v[34:35], v[32:33]
	ds_bpermute_b32 v32, v24, v12
	ds_bpermute_b32 v33, v24, v13
	v_add_f64 v[10:11], v[10:11], v[48:49]
	s_waitcnt vmcnt(5) lgkmcnt(2)
	v_add_f64 v[34:35], v[44:45], -v[36:37]
	ds_bpermute_b32 v36, v25, v14
	ds_bpermute_b32 v37, v25, v15
	;; [unrolled: 1-line block ×4, first 2 shown]
	s_waitcnt vmcnt(4)
	v_mul_f64 v[34:35], v[40:41], v[34:35]
	s_waitcnt lgkmcnt(4)
	v_fmac_f64_e32 v[6:7], v[34:35], v[32:33]
	ds_bpermute_b32 v32, v25, v12
	ds_bpermute_b32 v33, v25, v13
	;; [unrolled: 1-line block ×4, first 2 shown]
	s_waitcnt vmcnt(3) lgkmcnt(6)
	v_add_f64 v[34:35], v[50:51], -v[36:37]
	v_add_f64 v[10:11], v[10:11], v[40:41]
	s_waitcnt vmcnt(2)
	v_mul_f64 v[34:35], v[56:57], v[34:35]
	s_waitcnt vmcnt(1) lgkmcnt(4)
	v_add_f64 v[14:15], v[58:59], -v[14:15]
	s_waitcnt lgkmcnt(2)
	v_fmac_f64_e32 v[6:7], v[34:35], v[32:33]
	s_waitcnt vmcnt(0)
	v_mul_f64 v[14:15], v[60:61], v[14:15]
	s_waitcnt lgkmcnt(0)
	v_fmac_f64_e32 v[6:7], v[14:15], v[12:13]
	v_mov_b32_e32 v12, s5
	v_addc_co_u32_e32 v1, vcc, v1, v12, vcc
	v_mov_b32_e32 v12, s29
	v_add_co_u32_e32 v4, vcc, s28, v4
	v_addc_co_u32_e32 v5, vcc, v5, v12, vcc
	v_pk_mov_b32 v[12:13], s[20:21], s[20:21] op_sel:[0,1]
	v_add_f64 v[10:11], v[10:11], v[56:57]
	v_cmp_lt_i64_e32 vcc, s[24:25], v[12:13]
	v_add_f64 v[10:11], v[10:11], v[60:61]
	s_cbranch_vccz .LBB43_10
.LBB43_7:                               ; =>This Inner Loop Header: Depth=1
	v_pk_mov_b32 v[12:13], v[8:9], v[8:9] op_sel:[0,1]
	v_pk_mov_b32 v[14:15], v[8:9], v[8:9] op_sel:[0,1]
	s_and_saveexec_b64 s[2:3], s[0:1]
	s_cbranch_execz .LBB43_6
; %bb.8:                                ;   in Loop: Header=BB43_7 Depth=1
	v_pk_mov_b32 v[14:15], 0, 0
	v_cmp_gt_i64_e32 vcc, s[20:21], v[0:1]
	v_pk_mov_b32 v[12:13], v[14:15], v[14:15] op_sel:[0,1]
	s_and_saveexec_b64 s[30:31], vcc
	s_cbranch_execz .LBB43_5
; %bb.9:                                ;   in Loop: Header=BB43_7 Depth=1
	v_mov_b32_e32 v12, s15
	v_add_co_u32_e32 v32, vcc, s14, v2
	v_addc_co_u32_e32 v33, vcc, v12, v3, vcc
	v_mov_b32_e32 v12, s13
	v_add_co_u32_e32 v34, vcc, s12, v2
	v_addc_co_u32_e32 v35, vcc, v12, v3, vcc
	global_load_dwordx2 v[14:15], v[34:35], off
	global_load_dwordx2 v[12:13], v[32:33], off
	s_branch .LBB43_5
.LBB43_10:
	v_mov_b32_e32 v1, v18
.LBB43_11:
	v_mad_u32_u24 v0, v1, 33, v16
	v_lshl_add_u32 v2, v0, 3, 0
	v_sub_u32_e32 v0, v0, v1
	s_movk_i32 s0, 0x800
	s_mov_b32 s7, 0
	v_cmp_gt_u32_e32 vcc, s0, v0
	ds_write_b64 v2, v[6:7]
	ds_write_b64 v2, v[10:11] offset:4224
	s_waitcnt lgkmcnt(0)
	s_barrier
	s_and_saveexec_b64 s[0:1], vcc
	s_cbranch_execz .LBB43_21
; %bb.12:
	v_lshrrev_b32_e32 v4, 6, v0
	v_and_b32_e32 v5, 63, v0
	v_mbcnt_hi_u32_b32 v0, -1, v17
	v_and_b32_e32 v1, 64, v0
	v_add_u32_e32 v1, 64, v1
	v_xor_b32_e32 v2, 8, v0
	v_cmp_lt_i32_e32 vcc, v2, v1
	v_cndmask_b32_e32 v2, v0, v2, vcc
	v_lshlrev_b32_e32 v8, 2, v2
	v_xor_b32_e32 v2, 4, v0
	v_cmp_lt_i32_e32 vcc, v2, v1
	v_cndmask_b32_e32 v2, v0, v2, vcc
	v_lshlrev_b32_e32 v9, 2, v2
	;; [unrolled: 4-line block ×3, first 2 shown]
	v_xor_b32_e32 v2, 1, v0
	s_cmp_lg_u64 s[16:17], 0
	v_cmp_lt_i32_e32 vcc, v2, v1
	s_cselect_b64 s[8:9], -1, 0
	s_cmp_lg_u64 s[18:19], 0
	v_cndmask_b32_e32 v0, v0, v2, vcc
	s_cselect_b64 s[10:11], -1, 0
	v_lshlrev_b32_e32 v11, 2, v0
	s_lshl_b64 s[6:7], s[6:7], 8
	v_lshlrev_b32_e32 v0, 3, v4
	v_mov_b32_e32 v1, s7
	v_add_co_u32_e32 v2, vcc, s6, v0
	v_addc_co_u32_e32 v3, vcc, 0, v1, vcc
	v_mov_b32_e32 v1, s19
	v_add_co_u32_e32 v0, vcc, s18, v2
	v_addc_co_u32_e32 v1, vcc, v1, v3, vcc
	v_add_u32_e32 v12, -8, v4
	v_mov_b32_e32 v6, s17
	v_add_co_u32_e32 v2, vcc, s16, v2
	v_mad_u32_u24 v4, v5, 33, v4
	v_cmp_gt_u32_e64 s[0:1], 16, v5
	v_cmp_eq_u32_e64 s[2:3], 0, v16
	s_mov_b64 s[4:5], 0
	v_addc_co_u32_e32 v3, vcc, v6, v3, vcc
	v_lshl_add_u32 v13, v4, 3, 0
                                        ; implicit-def: $vgpr4_vgpr5
                                        ; implicit-def: $vgpr6_vgpr7
	s_branch .LBB43_14
.LBB43_13:                              ;   in Loop: Header=BB43_14 Depth=1
	s_or_b64 exec, exec, s[6:7]
	v_add_co_u32_e32 v0, vcc, 64, v0
	v_addc_co_u32_e32 v1, vcc, 0, v1, vcc
	v_add_co_u32_e32 v2, vcc, 64, v2
	v_add_u32_e32 v12, 8, v12
	v_addc_co_u32_e32 v3, vcc, 0, v3, vcc
	v_cmp_lt_u32_e32 vcc, 23, v12
	s_or_b64 s[4:5], vcc, s[4:5]
	v_add_u32_e32 v13, 64, v13
	s_andn2_b64 exec, exec, s[4:5]
	s_cbranch_execz .LBB43_21
.LBB43_14:                              ; =>This Inner Loop Header: Depth=1
	s_and_saveexec_b64 s[6:7], s[0:1]
	s_cbranch_execz .LBB43_16
; %bb.15:                               ;   in Loop: Header=BB43_14 Depth=1
	ds_read_b64 v[4:5], v13
	ds_read_b64 v[6:7], v13 offset:4224
.LBB43_16:                              ;   in Loop: Header=BB43_14 Depth=1
	s_or_b64 exec, exec, s[6:7]
	s_waitcnt lgkmcnt(1)
	ds_bpermute_b32 v14, v8, v4
	ds_bpermute_b32 v15, v8, v5
	s_waitcnt lgkmcnt(2)
	ds_bpermute_b32 v16, v8, v6
	ds_bpermute_b32 v17, v8, v7
	s_waitcnt lgkmcnt(2)
	v_add_f64 v[4:5], v[4:5], v[14:15]
	ds_bpermute_b32 v14, v9, v4
	s_waitcnt lgkmcnt(1)
	v_add_f64 v[6:7], v[6:7], v[16:17]
	ds_bpermute_b32 v15, v9, v5
	ds_bpermute_b32 v16, v9, v6
	ds_bpermute_b32 v17, v9, v7
	s_waitcnt lgkmcnt(2)
	v_add_f64 v[4:5], v[4:5], v[14:15]
	ds_bpermute_b32 v14, v10, v4
	s_waitcnt lgkmcnt(1)
	v_add_f64 v[6:7], v[6:7], v[16:17]
	ds_bpermute_b32 v15, v10, v5
	;; [unrolled: 8-line block ×3, first 2 shown]
	ds_bpermute_b32 v16, v11, v6
	ds_bpermute_b32 v17, v11, v7
	s_waitcnt lgkmcnt(2)
	v_add_f64 v[4:5], v[4:5], v[14:15]
	s_waitcnt lgkmcnt(0)
	v_add_f64 v[6:7], v[6:7], v[16:17]
	s_and_saveexec_b64 s[6:7], s[2:3]
	s_cbranch_execz .LBB43_13
; %bb.17:                               ;   in Loop: Header=BB43_14 Depth=1
	s_andn2_b64 vcc, exec, s[8:9]
	s_cbranch_vccnz .LBB43_19
; %bb.18:                               ;   in Loop: Header=BB43_14 Depth=1
	global_store_dwordx2 v[2:3], v[4:5], off
.LBB43_19:                              ;   in Loop: Header=BB43_14 Depth=1
	s_andn2_b64 vcc, exec, s[10:11]
	s_cbranch_vccnz .LBB43_13
; %bb.20:                               ;   in Loop: Header=BB43_14 Depth=1
	global_store_dwordx2 v[0:1], v[6:7], off
	s_branch .LBB43_13
.LBB43_21:
	s_endpgm
	.section	.rodata,"a",@progbits
	.p2align	6, 0x0
	.amdhsa_kernel _ZN2at6native12_GLOBAL__N_135GammaBetaBackwardCUDAKernelTemplateIddLj32ELj16ELj128ELb0ELb1ELb0EEEvllPKT_S5_PKT0_S8_PS3_S9_
		.amdhsa_group_segment_fixed_size 0
		.amdhsa_private_segment_fixed_size 0
		.amdhsa_kernarg_size 320
		.amdhsa_user_sgpr_count 6
		.amdhsa_user_sgpr_private_segment_buffer 1
		.amdhsa_user_sgpr_dispatch_ptr 0
		.amdhsa_user_sgpr_queue_ptr 0
		.amdhsa_user_sgpr_kernarg_segment_ptr 1
		.amdhsa_user_sgpr_dispatch_id 0
		.amdhsa_user_sgpr_flat_scratch_init 0
		.amdhsa_user_sgpr_kernarg_preload_length 0
		.amdhsa_user_sgpr_kernarg_preload_offset 0
		.amdhsa_user_sgpr_private_segment_size 0
		.amdhsa_uses_dynamic_stack 0
		.amdhsa_system_sgpr_private_segment_wavefront_offset 0
		.amdhsa_system_sgpr_workgroup_id_x 1
		.amdhsa_system_sgpr_workgroup_id_y 1
		.amdhsa_system_sgpr_workgroup_id_z 0
		.amdhsa_system_sgpr_workgroup_info 0
		.amdhsa_system_vgpr_workitem_id 1
		.amdhsa_next_free_vgpr 62
		.amdhsa_next_free_sgpr 32
		.amdhsa_accum_offset 64
		.amdhsa_reserve_vcc 1
		.amdhsa_reserve_flat_scratch 0
		.amdhsa_float_round_mode_32 0
		.amdhsa_float_round_mode_16_64 0
		.amdhsa_float_denorm_mode_32 3
		.amdhsa_float_denorm_mode_16_64 3
		.amdhsa_dx10_clamp 1
		.amdhsa_ieee_mode 1
		.amdhsa_fp16_overflow 0
		.amdhsa_tg_split 0
		.amdhsa_exception_fp_ieee_invalid_op 0
		.amdhsa_exception_fp_denorm_src 0
		.amdhsa_exception_fp_ieee_div_zero 0
		.amdhsa_exception_fp_ieee_overflow 0
		.amdhsa_exception_fp_ieee_underflow 0
		.amdhsa_exception_fp_ieee_inexact 0
		.amdhsa_exception_int_div_zero 0
	.end_amdhsa_kernel
	.section	.text._ZN2at6native12_GLOBAL__N_135GammaBetaBackwardCUDAKernelTemplateIddLj32ELj16ELj128ELb0ELb1ELb0EEEvllPKT_S5_PKT0_S8_PS3_S9_,"axG",@progbits,_ZN2at6native12_GLOBAL__N_135GammaBetaBackwardCUDAKernelTemplateIddLj32ELj16ELj128ELb0ELb1ELb0EEEvllPKT_S5_PKT0_S8_PS3_S9_,comdat
.Lfunc_end43:
	.size	_ZN2at6native12_GLOBAL__N_135GammaBetaBackwardCUDAKernelTemplateIddLj32ELj16ELj128ELb0ELb1ELb0EEEvllPKT_S5_PKT0_S8_PS3_S9_, .Lfunc_end43-_ZN2at6native12_GLOBAL__N_135GammaBetaBackwardCUDAKernelTemplateIddLj32ELj16ELj128ELb0ELb1ELb0EEEvllPKT_S5_PKT0_S8_PS3_S9_
                                        ; -- End function
	.section	.AMDGPU.csdata,"",@progbits
; Kernel info:
; codeLenInByte = 2044
; NumSgprs: 36
; NumVgprs: 62
; NumAgprs: 0
; TotalNumVgprs: 62
; ScratchSize: 0
; MemoryBound: 0
; FloatMode: 240
; IeeeMode: 1
; LDSByteSize: 0 bytes/workgroup (compile time only)
; SGPRBlocks: 4
; VGPRBlocks: 7
; NumSGPRsForWavesPerEU: 36
; NumVGPRsForWavesPerEU: 62
; AccumOffset: 64
; Occupancy: 8
; WaveLimiterHint : 0
; COMPUTE_PGM_RSRC2:SCRATCH_EN: 0
; COMPUTE_PGM_RSRC2:USER_SGPR: 6
; COMPUTE_PGM_RSRC2:TRAP_HANDLER: 0
; COMPUTE_PGM_RSRC2:TGID_X_EN: 1
; COMPUTE_PGM_RSRC2:TGID_Y_EN: 1
; COMPUTE_PGM_RSRC2:TGID_Z_EN: 0
; COMPUTE_PGM_RSRC2:TIDIG_COMP_CNT: 1
; COMPUTE_PGM_RSRC3_GFX90A:ACCUM_OFFSET: 15
; COMPUTE_PGM_RSRC3_GFX90A:TG_SPLIT: 0
	.section	.text._ZN2at6native12_GLOBAL__N_135GammaBetaBackwardCUDAKernelTemplateIddLj32ELj16ELj128ELb0ELb0ELb0EEEvllPKT_S5_PKT0_S8_PS3_S9_,"axG",@progbits,_ZN2at6native12_GLOBAL__N_135GammaBetaBackwardCUDAKernelTemplateIddLj32ELj16ELj128ELb0ELb0ELb0EEEvllPKT_S5_PKT0_S8_PS3_S9_,comdat
	.globl	_ZN2at6native12_GLOBAL__N_135GammaBetaBackwardCUDAKernelTemplateIddLj32ELj16ELj128ELb0ELb0ELb0EEEvllPKT_S5_PKT0_S8_PS3_S9_ ; -- Begin function _ZN2at6native12_GLOBAL__N_135GammaBetaBackwardCUDAKernelTemplateIddLj32ELj16ELj128ELb0ELb0ELb0EEEvllPKT_S5_PKT0_S8_PS3_S9_
	.p2align	8
	.type	_ZN2at6native12_GLOBAL__N_135GammaBetaBackwardCUDAKernelTemplateIddLj32ELj16ELj128ELb0ELb0ELb0EEEvllPKT_S5_PKT0_S8_PS3_S9_,@function
_ZN2at6native12_GLOBAL__N_135GammaBetaBackwardCUDAKernelTemplateIddLj32ELj16ELj128ELb0ELb0ELb0EEEvllPKT_S5_PKT0_S8_PS3_S9_: ; @_ZN2at6native12_GLOBAL__N_135GammaBetaBackwardCUDAKernelTemplateIddLj32ELj16ELj128ELb0ELb0ELb0EEEvllPKT_S5_PKT0_S8_PS3_S9_
; %bb.0:
	s_load_dwordx8 s[36:43], s[4:5], 0x0
	s_load_dwordx4 s[28:31], s[4:5], 0x20
	s_lshl_b32 s33, s6, 5
	s_or_b32 s34, s33, 31
	s_mov_b32 s35, 0
	s_waitcnt lgkmcnt(0)
	v_pk_mov_b32 v[2:3], s[38:39], s[38:39] op_sel:[0,1]
	v_cmp_ge_i64_e32 vcc, s[34:35], v[2:3]
	s_lshl_b32 s34, s7, 7
	v_pk_mov_b32 v[2:3], s[36:37], s[36:37] op_sel:[0,1]
	v_cmp_lt_i64_e64 s[0:1], s[34:35], v[2:3]
	v_cndmask_b32_e64 v1, 0, 1, s[0:1]
	v_cmp_ne_u32_e64 s[0:1], 1, v1
	s_cbranch_vccz .LBB44_49
; %bb.1:
	v_pk_mov_b32 v[50:51], 0, 0
	s_mov_b64 s[10:11], 0
	s_and_b64 vcc, exec, s[0:1]
	v_pk_mov_b32 v[56:57], v[50:51], v[50:51] op_sel:[0,1]
	s_cbranch_vccnz .LBB44_50
; %bb.2:
	v_bfe_u32 v89, v0, 10, 10
	v_lshlrev_b32_e32 v52, 3, v89
	v_mov_b32_e32 v1, s35
	v_add_co_u32_e32 v5, vcc, s34, v52
	v_and_b32_e32 v87, 0x3ff, v0
	v_mov_b32_e32 v4, 0
	v_addc_co_u32_e32 v6, vcc, 0, v1, vcc
	v_add_u32_e32 v2, s33, v87
	v_mov_b32_e32 v3, v4
	v_add_co_u32_e32 v1, vcc, 7, v5
	v_cmp_gt_i64_e64 s[2:3], s[38:39], v[2:3]
	v_lshlrev_b64 v[54:55], 3, v[2:3]
	v_addc_co_u32_e32 v2, vcc, 0, v6, vcc
	v_mul_lo_u32 v7, s39, v1
	v_mul_lo_u32 v8, s38, v2
	v_mad_u64_u32 v[2:3], s[8:9], s38, v1, 0
	s_load_dword s7, s[4:5], 0x44
	v_add3_u32 v3, v3, v8, v7
	v_lshlrev_b64 v[2:3], 3, v[2:3]
	v_mov_b32_e32 v7, s41
	v_add_co_u32_e32 v58, vcc, s40, v2
	v_addc_co_u32_e32 v1, vcc, v7, v3, vcc
	s_add_u32 s44, s4, 64
	v_mov_b32_e32 v8, s43
	v_add_co_u32_e32 v60, vcc, s42, v2
	s_addc_u32 s45, s5, 0
	s_waitcnt lgkmcnt(0)
	s_lshl_b32 s7, s7, 7
	v_addc_co_u32_e32 v53, vcc, v8, v3, vcc
	s_mul_i32 s8, s39, s7
	s_mul_hi_u32 s9, s38, s7
	v_add_co_u32_e32 v2, vcc, 6, v5
	s_add_i32 s9, s9, s8
	s_mul_i32 s8, s38, s7
	v_addc_co_u32_e32 v3, vcc, 0, v6, vcc
	s_lshl_b64 s[46:47], s[8:9], 3
	v_mul_lo_u32 v9, s39, v2
	v_mul_lo_u32 v10, s38, v3
	v_mad_u64_u32 v[2:3], s[8:9], s38, v2, 0
	v_add3_u32 v3, v3, v10, v9
	v_lshlrev_b64 v[2:3], 3, v[2:3]
	v_add_co_u32_e32 v62, vcc, s40, v2
	v_addc_co_u32_e32 v59, vcc, v7, v3, vcc
	v_add_co_u32_e32 v64, vcc, s42, v2
	v_addc_co_u32_e32 v61, vcc, v8, v3, vcc
	v_add_co_u32_e32 v2, vcc, 5, v5
	v_addc_co_u32_e32 v3, vcc, 0, v6, vcc
	v_mul_lo_u32 v9, s39, v2
	v_mul_lo_u32 v10, s38, v3
	v_mad_u64_u32 v[2:3], s[8:9], s38, v2, 0
	v_add3_u32 v3, v3, v10, v9
	v_lshlrev_b64 v[2:3], 3, v[2:3]
	v_add_co_u32_e32 v66, vcc, s40, v2
	v_addc_co_u32_e32 v63, vcc, v7, v3, vcc
	v_add_co_u32_e32 v68, vcc, s42, v2
	v_addc_co_u32_e32 v65, vcc, v8, v3, vcc
	v_add_co_u32_e32 v2, vcc, 4, v5
	v_addc_co_u32_e32 v3, vcc, 0, v6, vcc
	;; [unrolled: 11-line block ×4, first 2 shown]
	v_mul_lo_u32 v9, s39, v2
	v_mul_lo_u32 v10, s38, v3
	v_mad_u64_u32 v[2:3], s[8:9], s38, v2, 0
	v_add3_u32 v3, v3, v10, v9
	v_lshlrev_b64 v[2:3], 3, v[2:3]
	v_add_co_u32_e32 v78, vcc, s40, v2
	v_addc_co_u32_e32 v75, vcc, v7, v3, vcc
	v_add_co_u32_e32 v80, vcc, s42, v2
	v_addc_co_u32_e32 v77, vcc, v8, v3, vcc
	v_pk_mov_b32 v[2:3], s[38:39], s[38:39] op_sel:[0,1]
	v_mad_u64_u32 v[2:3], s[8:9], s38, v5, v[2:3]
	v_mul_lo_u32 v6, s38, v6
	v_mul_lo_u32 v9, s39, v5
	v_add3_u32 v3, v9, v3, v6
	v_lshlrev_b64 v[2:3], 3, v[2:3]
	v_add_co_u32_e32 v82, vcc, s40, v2
	v_addc_co_u32_e32 v79, vcc, v7, v3, vcc
	v_add_co_u32_e32 v84, vcc, s42, v2
	v_addc_co_u32_e32 v81, vcc, v8, v3, vcc
	v_mad_u64_u32 v[2:3], s[8:9], s38, v5, 0
	v_add3_u32 v3, v3, v6, v9
	v_lshlrev_b64 v[2:3], 3, v[2:3]
	v_add_co_u32_e32 v86, vcc, s40, v2
	v_addc_co_u32_e32 v83, vcc, v7, v3, vcc
	v_add_co_u32_e32 v88, vcc, s42, v2
	v_mbcnt_lo_u32_b32 v2, -1, 0
	v_mbcnt_hi_u32_b32 v2, -1, v2
	s_add_u32 s48, s34, 0x7f
	v_pk_mov_b32 v[90:91], 0, 0
	v_lshlrev_b32_e32 v2, 2, v2
	s_mov_b32 s12, 0
	s_addc_u32 s49, 0, 0
	v_addc_co_u32_e32 v85, vcc, v8, v3, vcc
	v_and_b32_e32 v96, 0x100, v2
	v_pk_mov_b32 v[50:51], v[90:91], v[90:91] op_sel:[0,1]
	s_mov_b64 s[50:51], s[34:35]
.LBB44_3:                               ; =>This Inner Loop Header: Depth=1
	v_pk_mov_b32 v[2:3], s[36:37], s[36:37] op_sel:[0,1]
	v_cmp_ge_i64_e32 vcc, s[48:49], v[2:3]
	v_mov_b32_e32 v2, s49
	v_add_co_u32_e64 v97, s[8:9], s48, v52
	v_addc_co_u32_e64 v98, s[8:9], 0, v2, s[8:9]
	s_cbranch_vccz .LBB44_25
; %bb.4:                                ;   in Loop: Header=BB44_3 Depth=1
	s_load_dword s8, s[44:45], 0xc
	v_pk_mov_b32 v[94:95], 0, 0
	v_pk_mov_b32 v[92:93], v[94:95], v[94:95] op_sel:[0,1]
	s_waitcnt lgkmcnt(0)
	s_and_b32 s8, s8, 0xffff
	v_mad_u32_u24 v2, v89, s8, v87
	v_and_b32_e32 v2, 63, v2
	v_cmp_gt_u32_e32 vcc, 8, v2
	s_and_saveexec_b64 s[8:9], vcc
	s_cbranch_execz .LBB44_8
; %bb.5:                                ;   in Loop: Header=BB44_3 Depth=1
	v_add_co_u32_e32 v2, vcc, v97, v2
	v_addc_co_u32_e32 v3, vcc, 0, v98, vcc
	v_add_co_u32_e32 v2, vcc, 0xffffff81, v2
	v_addc_co_u32_e32 v3, vcc, -1, v3, vcc
	v_pk_mov_b32 v[92:93], 0, 0
	v_cmp_gt_i64_e32 vcc, s[36:37], v[2:3]
	v_pk_mov_b32 v[94:95], v[92:93], v[92:93] op_sel:[0,1]
	s_and_saveexec_b64 s[14:15], vcc
	s_cbranch_execz .LBB44_7
; %bb.6:                                ;   in Loop: Header=BB44_3 Depth=1
	v_lshlrev_b64 v[2:3], 3, v[2:3]
	v_mov_b32_e32 v5, s31
	v_add_co_u32_e32 v6, vcc, s30, v2
	v_addc_co_u32_e32 v7, vcc, v5, v3, vcc
	v_mov_b32_e32 v5, s29
	v_add_co_u32_e32 v2, vcc, s28, v2
	v_addc_co_u32_e32 v3, vcc, v5, v3, vcc
	global_load_dwordx2 v[92:93], v[2:3], off
	global_load_dwordx2 v[94:95], v[6:7], off
.LBB44_7:                               ;   in Loop: Header=BB44_3 Depth=1
	s_or_b64 exec, exec, s[14:15]
.LBB44_8:                               ;   in Loop: Header=BB44_3 Depth=1
	s_or_b64 exec, exec, s[8:9]
	v_add_co_u32_e32 v2, vcc, 0xffffff81, v97
	s_mov_b32 s26, s12
	s_mov_b32 s27, s12
	v_addc_co_u32_e32 v3, vcc, -1, v98, vcc
	s_mov_b32 s13, s12
	s_mov_b32 s14, s12
	;; [unrolled: 1-line block ×13, first 2 shown]
	v_pk_mov_b32 v[32:33], s[26:27], s[26:27] op_sel:[0,1]
	v_cmp_gt_i64_e32 vcc, s[36:37], v[2:3]
	v_pk_mov_b32 v[30:31], s[24:25], s[24:25] op_sel:[0,1]
	v_pk_mov_b32 v[28:29], s[22:23], s[22:23] op_sel:[0,1]
	v_pk_mov_b32 v[26:27], s[20:21], s[20:21] op_sel:[0,1]
	v_pk_mov_b32 v[24:25], s[18:19], s[18:19] op_sel:[0,1]
	v_pk_mov_b32 v[22:23], s[16:17], s[16:17] op_sel:[0,1]
	v_pk_mov_b32 v[20:21], s[14:15], s[14:15] op_sel:[0,1]
	v_pk_mov_b32 v[18:19], s[12:13], s[12:13] op_sel:[0,1]
	v_pk_mov_b32 v[48:49], v[32:33], v[32:33] op_sel:[0,1]
	s_and_b64 s[52:53], s[2:3], vcc
	v_pk_mov_b32 v[46:47], v[30:31], v[30:31] op_sel:[0,1]
	v_pk_mov_b32 v[44:45], v[28:29], v[28:29] op_sel:[0,1]
	v_pk_mov_b32 v[42:43], v[26:27], v[26:27] op_sel:[0,1]
	v_pk_mov_b32 v[40:41], v[24:25], v[24:25] op_sel:[0,1]
	v_pk_mov_b32 v[38:39], v[22:23], v[22:23] op_sel:[0,1]
	v_pk_mov_b32 v[36:37], v[20:21], v[20:21] op_sel:[0,1]
	v_pk_mov_b32 v[34:35], v[18:19], v[18:19] op_sel:[0,1]
	s_and_saveexec_b64 s[8:9], s[52:53]
	s_cbranch_execz .LBB44_10
; %bb.9:                                ;   in Loop: Header=BB44_3 Depth=1
	v_add_co_u32_e32 v2, vcc, v86, v54
	v_addc_co_u32_e32 v3, vcc, v83, v55, vcc
	v_add_co_u32_e32 v6, vcc, v88, v54
	global_load_dwordx2 v[2:3], v[2:3], off
	v_addc_co_u32_e32 v7, vcc, v85, v55, vcc
	global_load_dwordx2 v[18:19], v[6:7], off
	v_mov_b32_e32 v16, v4
	v_mov_b32_e32 v17, v4
	;; [unrolled: 1-line block ×13, first 2 shown]
	s_waitcnt vmcnt(1)
	v_pk_mov_b32 v[48:49], v[16:17], v[16:17] op_sel:[0,1]
	v_mov_b32_e32 v20, v4
	v_mov_b32_e32 v21, v4
	;; [unrolled: 1-line block ×14, first 2 shown]
	v_pk_mov_b32 v[46:47], v[14:15], v[14:15] op_sel:[0,1]
	v_pk_mov_b32 v[44:45], v[12:13], v[12:13] op_sel:[0,1]
	;; [unrolled: 1-line block ×7, first 2 shown]
.LBB44_10:                              ;   in Loop: Header=BB44_3 Depth=1
	s_or_b64 exec, exec, s[8:9]
	v_add_co_u32_e32 v2, vcc, 0xffffff82, v97
	v_addc_co_u32_e32 v3, vcc, -1, v98, vcc
	v_cmp_gt_i64_e32 vcc, s[36:37], v[2:3]
	s_and_b64 s[14:15], s[2:3], vcc
	s_and_saveexec_b64 s[8:9], s[14:15]
	s_cbranch_execz .LBB44_12
; %bb.11:                               ;   in Loop: Header=BB44_3 Depth=1
	v_add_co_u32_e32 v2, vcc, v82, v54
	v_addc_co_u32_e32 v3, vcc, v79, v55, vcc
	global_load_dwordx2 v[36:37], v[2:3], off
	v_add_co_u32_e32 v2, vcc, v84, v54
	v_addc_co_u32_e32 v3, vcc, v81, v55, vcc
	global_load_dwordx2 v[20:21], v[2:3], off
.LBB44_12:                              ;   in Loop: Header=BB44_3 Depth=1
	s_or_b64 exec, exec, s[8:9]
	v_add_co_u32_e32 v2, vcc, 0xffffff83, v97
	v_addc_co_u32_e32 v3, vcc, -1, v98, vcc
	v_cmp_gt_i64_e32 vcc, s[36:37], v[2:3]
	s_and_b64 s[14:15], s[2:3], vcc
	s_and_saveexec_b64 s[8:9], s[14:15]
	s_cbranch_execz .LBB44_14
; %bb.13:                               ;   in Loop: Header=BB44_3 Depth=1
	v_add_co_u32_e32 v2, vcc, v78, v54
	v_addc_co_u32_e32 v3, vcc, v75, v55, vcc
	global_load_dwordx2 v[38:39], v[2:3], off
	v_add_co_u32_e32 v2, vcc, v80, v54
	v_addc_co_u32_e32 v3, vcc, v77, v55, vcc
	global_load_dwordx2 v[22:23], v[2:3], off
.LBB44_14:                              ;   in Loop: Header=BB44_3 Depth=1
	;; [unrolled: 15-line block ×7, first 2 shown]
	s_or_b64 exec, exec, s[8:9]
	s_waitcnt vmcnt(1)
	ds_bpermute_b32 v2, v96, v92
	ds_bpermute_b32 v3, v96, v93
	s_waitcnt vmcnt(0)
	ds_bpermute_b32 v6, v96, v94
	ds_bpermute_b32 v7, v96, v95
	ds_bpermute_b32 v8, v96, v92 offset:4
	ds_bpermute_b32 v9, v96, v93 offset:4
	s_waitcnt lgkmcnt(4)
	v_add_f64 v[2:3], v[18:19], -v[2:3]
	v_mul_f64 v[2:3], v[34:35], v[2:3]
	s_waitcnt lgkmcnt(2)
	v_fma_f64 v[56:57], v[2:3], v[6:7], v[90:91]
	ds_bpermute_b32 v6, v96, v94 offset:4
	ds_bpermute_b32 v7, v96, v95 offset:4
	;; [unrolled: 1-line block ×4, first 2 shown]
	s_waitcnt lgkmcnt(4)
	v_add_f64 v[8:9], v[20:21], -v[8:9]
	v_mul_f64 v[8:9], v[36:37], v[8:9]
	s_waitcnt lgkmcnt(2)
	v_fmac_f64_e32 v[56:57], v[8:9], v[6:7]
	ds_bpermute_b32 v6, v96, v94 offset:8
	ds_bpermute_b32 v7, v96, v95 offset:8
	s_waitcnt lgkmcnt(2)
	v_add_f64 v[8:9], v[22:23], -v[10:11]
	ds_bpermute_b32 v10, v96, v92 offset:12
	ds_bpermute_b32 v11, v96, v93 offset:12
	v_mul_f64 v[8:9], v[38:39], v[8:9]
	s_waitcnt lgkmcnt(2)
	v_fmac_f64_e32 v[56:57], v[8:9], v[6:7]
	ds_bpermute_b32 v6, v96, v94 offset:12
	ds_bpermute_b32 v7, v96, v95 offset:12
	s_waitcnt lgkmcnt(2)
	v_add_f64 v[8:9], v[24:25], -v[10:11]
	ds_bpermute_b32 v10, v96, v92 offset:16
	ds_bpermute_b32 v11, v96, v93 offset:16
	;; [unrolled: 9-line block ×3, first 2 shown]
	v_mul_f64 v[8:9], v[42:43], v[8:9]
	v_add_f64 v[2:3], v[50:51], v[34:35]
	s_waitcnt lgkmcnt(2)
	v_fmac_f64_e32 v[56:57], v[8:9], v[6:7]
	ds_bpermute_b32 v6, v96, v94 offset:20
	ds_bpermute_b32 v7, v96, v95 offset:20
	v_add_f64 v[2:3], v[36:37], v[2:3]
	v_add_f64 v[2:3], v[38:39], v[2:3]
	s_waitcnt lgkmcnt(2)
	v_add_f64 v[8:9], v[28:29], -v[10:11]
	ds_bpermute_b32 v10, v96, v92 offset:24
	ds_bpermute_b32 v11, v96, v93 offset:24
	v_add_f64 v[2:3], v[40:41], v[2:3]
	v_add_f64 v[2:3], v[42:43], v[2:3]
	v_mul_f64 v[8:9], v[44:45], v[8:9]
	ds_bpermute_b32 v12, v96, v94 offset:24
	ds_bpermute_b32 v13, v96, v95 offset:24
	s_waitcnt lgkmcnt(4)
	v_fmac_f64_e32 v[56:57], v[8:9], v[6:7]
	v_add_f64 v[8:9], v[44:45], v[2:3]
	ds_bpermute_b32 v2, v96, v94 offset:28
	ds_bpermute_b32 v3, v96, v95 offset:28
	;; [unrolled: 1-line block ×4, first 2 shown]
	s_waitcnt lgkmcnt(6)
	v_add_f64 v[10:11], v[30:31], -v[10:11]
	v_mul_f64 v[10:11], v[46:47], v[10:11]
	s_waitcnt lgkmcnt(4)
	v_fmac_f64_e32 v[56:57], v[10:11], v[12:13]
	v_add_f64 v[8:9], v[46:47], v[8:9]
	s_branch .LBB44_40
.LBB44_25:                              ;   in Loop: Header=BB44_3 Depth=1
                                        ; implicit-def: $vgpr2_vgpr3
                                        ; implicit-def: $vgpr18_vgpr19_vgpr20_vgpr21_vgpr22_vgpr23_vgpr24_vgpr25_vgpr26_vgpr27_vgpr28_vgpr29_vgpr30_vgpr31_vgpr32_vgpr33
                                        ; implicit-def: $vgpr34_vgpr35_vgpr36_vgpr37_vgpr38_vgpr39_vgpr40_vgpr41_vgpr42_vgpr43_vgpr44_vgpr45_vgpr46_vgpr47_vgpr48_vgpr49
                                        ; implicit-def: $vgpr6
                                        ; implicit-def: $vgpr8_vgpr9
                                        ; implicit-def: $vgpr56_vgpr57
	s_cbranch_execz .LBB44_40
; %bb.26:                               ;   in Loop: Header=BB44_3 Depth=1
	s_load_dword s8, s[44:45], 0x0
	v_pk_mov_b32 v[92:93], 0, 0
	v_pk_mov_b32 v[56:57], v[92:93], v[92:93] op_sel:[0,1]
	s_waitcnt lgkmcnt(0)
	s_cmp_lt_u32 s6, s8
	s_cselect_b32 s8, 12, 18
	s_add_u32 s8, s44, s8
	s_addc_u32 s9, s45, 0
	global_load_ushort v2, v4, s[8:9]
	s_waitcnt vmcnt(0)
	v_mad_u32_u24 v2, v89, v2, v87
	v_and_b32_e32 v2, 63, v2
	v_cmp_gt_u32_e32 vcc, 8, v2
	s_and_saveexec_b64 s[8:9], vcc
	s_cbranch_execz .LBB44_30
; %bb.27:                               ;   in Loop: Header=BB44_3 Depth=1
	v_add_co_u32_e32 v2, vcc, v97, v2
	v_addc_co_u32_e32 v3, vcc, 0, v98, vcc
	v_add_co_u32_e32 v2, vcc, 0xffffff81, v2
	v_addc_co_u32_e32 v3, vcc, -1, v3, vcc
	v_pk_mov_b32 v[56:57], 0, 0
	v_cmp_gt_i64_e32 vcc, s[36:37], v[2:3]
	v_pk_mov_b32 v[92:93], v[56:57], v[56:57] op_sel:[0,1]
	s_and_saveexec_b64 s[14:15], vcc
	s_cbranch_execz .LBB44_29
; %bb.28:                               ;   in Loop: Header=BB44_3 Depth=1
	v_lshlrev_b64 v[2:3], 3, v[2:3]
	v_mov_b32_e32 v5, s31
	v_add_co_u32_e32 v6, vcc, s30, v2
	v_addc_co_u32_e32 v7, vcc, v5, v3, vcc
	v_mov_b32_e32 v5, s29
	v_add_co_u32_e32 v2, vcc, s28, v2
	v_addc_co_u32_e32 v3, vcc, v5, v3, vcc
	global_load_dwordx2 v[56:57], v[2:3], off
	global_load_dwordx2 v[92:93], v[6:7], off
.LBB44_29:                              ;   in Loop: Header=BB44_3 Depth=1
	s_or_b64 exec, exec, s[14:15]
.LBB44_30:                              ;   in Loop: Header=BB44_3 Depth=1
	s_or_b64 exec, exec, s[8:9]
	s_mov_b32 s26, s12
	s_mov_b32 s27, s12
	;; [unrolled: 1-line block ×15, first 2 shown]
	v_pk_mov_b32 v[32:33], s[26:27], s[26:27] op_sel:[0,1]
	v_pk_mov_b32 v[30:31], s[24:25], s[24:25] op_sel:[0,1]
	;; [unrolled: 1-line block ×16, first 2 shown]
	s_and_saveexec_b64 s[8:9], s[2:3]
	s_cbranch_execnz .LBB44_42
; %bb.31:                               ;   in Loop: Header=BB44_3 Depth=1
	s_or_b64 exec, exec, s[8:9]
	s_and_saveexec_b64 s[8:9], s[2:3]
	s_cbranch_execnz .LBB44_43
.LBB44_32:                              ;   in Loop: Header=BB44_3 Depth=1
	s_or_b64 exec, exec, s[8:9]
	s_and_saveexec_b64 s[8:9], s[2:3]
	s_cbranch_execnz .LBB44_44
.LBB44_33:                              ;   in Loop: Header=BB44_3 Depth=1
	s_or_b64 exec, exec, s[8:9]
	s_and_saveexec_b64 s[8:9], s[2:3]
	s_cbranch_execnz .LBB44_45
.LBB44_34:                              ;   in Loop: Header=BB44_3 Depth=1
	s_or_b64 exec, exec, s[8:9]
	s_and_saveexec_b64 s[8:9], s[2:3]
	s_cbranch_execnz .LBB44_46
.LBB44_35:                              ;   in Loop: Header=BB44_3 Depth=1
	s_or_b64 exec, exec, s[8:9]
	s_and_saveexec_b64 s[8:9], s[2:3]
	s_cbranch_execnz .LBB44_47
.LBB44_36:                              ;   in Loop: Header=BB44_3 Depth=1
	s_or_b64 exec, exec, s[8:9]
	s_and_saveexec_b64 s[8:9], s[2:3]
	s_cbranch_execnz .LBB44_48
.LBB44_37:                              ;   in Loop: Header=BB44_3 Depth=1
	s_or_b64 exec, exec, s[8:9]
	s_and_saveexec_b64 s[8:9], s[2:3]
	s_cbranch_execz .LBB44_39
.LBB44_38:                              ;   in Loop: Header=BB44_3 Depth=1
	v_add_co_u32_e32 v2, vcc, v58, v54
	v_addc_co_u32_e32 v3, vcc, v1, v55, vcc
	global_load_dwordx2 v[48:49], v[2:3], off
	v_add_co_u32_e32 v2, vcc, v60, v54
	v_addc_co_u32_e32 v3, vcc, v53, v55, vcc
	global_load_dwordx2 v[32:33], v[2:3], off
.LBB44_39:                              ;   in Loop: Header=BB44_3 Depth=1
	s_or_b64 exec, exec, s[8:9]
	s_waitcnt vmcnt(1)
	ds_bpermute_b32 v2, v96, v56
	ds_bpermute_b32 v3, v96, v57
	s_waitcnt vmcnt(0)
	ds_bpermute_b32 v6, v96, v92
	ds_bpermute_b32 v7, v96, v93
	ds_bpermute_b32 v8, v96, v56 offset:4
	ds_bpermute_b32 v9, v96, v57 offset:4
	s_waitcnt lgkmcnt(4)
	v_add_f64 v[2:3], v[18:19], -v[2:3]
	v_mul_f64 v[2:3], v[34:35], v[2:3]
	s_waitcnt lgkmcnt(2)
	v_fmac_f64_e32 v[90:91], v[2:3], v[6:7]
	ds_bpermute_b32 v6, v96, v92 offset:4
	ds_bpermute_b32 v7, v96, v93 offset:4
	;; [unrolled: 1-line block ×4, first 2 shown]
	s_waitcnt lgkmcnt(4)
	v_add_f64 v[8:9], v[20:21], -v[8:9]
	v_mul_f64 v[8:9], v[36:37], v[8:9]
	s_waitcnt lgkmcnt(2)
	v_fmac_f64_e32 v[90:91], v[8:9], v[6:7]
	ds_bpermute_b32 v6, v96, v92 offset:8
	ds_bpermute_b32 v7, v96, v93 offset:8
	s_waitcnt lgkmcnt(2)
	v_add_f64 v[8:9], v[22:23], -v[10:11]
	ds_bpermute_b32 v10, v96, v56 offset:12
	ds_bpermute_b32 v11, v96, v57 offset:12
	v_mul_f64 v[8:9], v[38:39], v[8:9]
	s_waitcnt lgkmcnt(2)
	v_fmac_f64_e32 v[90:91], v[8:9], v[6:7]
	ds_bpermute_b32 v6, v96, v92 offset:12
	ds_bpermute_b32 v7, v96, v93 offset:12
	s_waitcnt lgkmcnt(2)
	v_add_f64 v[8:9], v[24:25], -v[10:11]
	ds_bpermute_b32 v10, v96, v56 offset:16
	ds_bpermute_b32 v11, v96, v57 offset:16
	;; [unrolled: 9-line block ×4, first 2 shown]
	v_add_f64 v[2:3], v[50:51], v[34:35]
	ds_bpermute_b32 v12, v96, v92 offset:24
	ds_bpermute_b32 v13, v96, v93 offset:24
	v_add_f64 v[2:3], v[36:37], v[2:3]
	v_add_f64 v[2:3], v[38:39], v[2:3]
	;; [unrolled: 1-line block ×3, first 2 shown]
	v_mul_f64 v[8:9], v[44:45], v[8:9]
	s_waitcnt lgkmcnt(2)
	v_add_f64 v[10:11], v[30:31], -v[10:11]
	v_add_f64 v[2:3], v[42:43], v[2:3]
	v_fmac_f64_e32 v[90:91], v[8:9], v[6:7]
	v_mul_f64 v[10:11], v[46:47], v[10:11]
	v_add_f64 v[8:9], v[44:45], v[2:3]
	s_waitcnt lgkmcnt(0)
	v_fmac_f64_e32 v[90:91], v[10:11], v[12:13]
	ds_bpermute_b32 v2, v96, v92 offset:28
	ds_bpermute_b32 v3, v96, v93 offset:28
	;; [unrolled: 1-line block ×4, first 2 shown]
	v_add_f64 v[8:9], v[46:47], v[8:9]
	v_pk_mov_b32 v[56:57], v[90:91], v[90:91] op_sel:[0,1]
.LBB44_40:                              ;   in Loop: Header=BB44_3 Depth=1
	s_waitcnt lgkmcnt(0)
	v_add_f64 v[6:7], v[32:33], -v[6:7]
	v_mul_f64 v[6:7], v[48:49], v[6:7]
	v_fmac_f64_e32 v[56:57], v[6:7], v[2:3]
	v_mov_b32_e32 v2, s47
	v_add_co_u32_e32 v58, vcc, s46, v58
	v_addc_co_u32_e32 v1, vcc, v1, v2, vcc
	v_add_co_u32_e32 v60, vcc, s46, v60
	v_addc_co_u32_e32 v53, vcc, v53, v2, vcc
	;; [unrolled: 2-line block ×15, first 2 shown]
	s_add_u32 s50, s50, s7
	v_add_co_u32_e32 v88, vcc, s46, v88
	s_addc_u32 s51, s51, 0
	v_addc_co_u32_e32 v85, vcc, v85, v2, vcc
	v_pk_mov_b32 v[2:3], s[36:37], s[36:37] op_sel:[0,1]
	s_add_u32 s48, s48, s7
	v_cmp_lt_i64_e32 vcc, s[50:51], v[2:3]
	v_add_f64 v[50:51], v[8:9], v[48:49]
	s_addc_u32 s49, s49, 0
	s_cbranch_vccz .LBB44_50
; %bb.41:                               ;   in Loop: Header=BB44_3 Depth=1
	v_pk_mov_b32 v[90:91], v[56:57], v[56:57] op_sel:[0,1]
	s_branch .LBB44_3
.LBB44_42:                              ;   in Loop: Header=BB44_3 Depth=1
	v_add_co_u32_e32 v2, vcc, v86, v54
	v_addc_co_u32_e32 v3, vcc, v83, v55, vcc
	v_add_co_u32_e32 v6, vcc, v88, v54
	global_load_dwordx2 v[2:3], v[2:3], off
	v_addc_co_u32_e32 v7, vcc, v85, v55, vcc
	global_load_dwordx2 v[18:19], v[6:7], off
	v_mov_b32_e32 v16, v4
	v_mov_b32_e32 v17, v4
	;; [unrolled: 1-line block ×13, first 2 shown]
	s_waitcnt vmcnt(1)
	v_pk_mov_b32 v[48:49], v[16:17], v[16:17] op_sel:[0,1]
	v_mov_b32_e32 v20, v4
	v_mov_b32_e32 v21, v4
	;; [unrolled: 1-line block ×14, first 2 shown]
	v_pk_mov_b32 v[46:47], v[14:15], v[14:15] op_sel:[0,1]
	v_pk_mov_b32 v[44:45], v[12:13], v[12:13] op_sel:[0,1]
	;; [unrolled: 1-line block ×7, first 2 shown]
	s_or_b64 exec, exec, s[8:9]
	s_and_saveexec_b64 s[8:9], s[2:3]
	s_cbranch_execz .LBB44_32
.LBB44_43:                              ;   in Loop: Header=BB44_3 Depth=1
	v_add_co_u32_e32 v2, vcc, v82, v54
	v_addc_co_u32_e32 v3, vcc, v79, v55, vcc
	global_load_dwordx2 v[36:37], v[2:3], off
	v_add_co_u32_e32 v2, vcc, v84, v54
	v_addc_co_u32_e32 v3, vcc, v81, v55, vcc
	global_load_dwordx2 v[20:21], v[2:3], off
	s_or_b64 exec, exec, s[8:9]
	s_and_saveexec_b64 s[8:9], s[2:3]
	s_cbranch_execz .LBB44_33
.LBB44_44:                              ;   in Loop: Header=BB44_3 Depth=1
	v_add_co_u32_e32 v2, vcc, v78, v54
	v_addc_co_u32_e32 v3, vcc, v75, v55, vcc
	global_load_dwordx2 v[38:39], v[2:3], off
	v_add_co_u32_e32 v2, vcc, v80, v54
	v_addc_co_u32_e32 v3, vcc, v77, v55, vcc
	global_load_dwordx2 v[22:23], v[2:3], off
	s_or_b64 exec, exec, s[8:9]
	s_and_saveexec_b64 s[8:9], s[2:3]
	s_cbranch_execz .LBB44_34
.LBB44_45:                              ;   in Loop: Header=BB44_3 Depth=1
	v_add_co_u32_e32 v2, vcc, v74, v54
	v_addc_co_u32_e32 v3, vcc, v71, v55, vcc
	global_load_dwordx2 v[40:41], v[2:3], off
	v_add_co_u32_e32 v2, vcc, v76, v54
	v_addc_co_u32_e32 v3, vcc, v73, v55, vcc
	global_load_dwordx2 v[24:25], v[2:3], off
	s_or_b64 exec, exec, s[8:9]
	s_and_saveexec_b64 s[8:9], s[2:3]
	s_cbranch_execz .LBB44_35
.LBB44_46:                              ;   in Loop: Header=BB44_3 Depth=1
	v_add_co_u32_e32 v2, vcc, v70, v54
	v_addc_co_u32_e32 v3, vcc, v67, v55, vcc
	global_load_dwordx2 v[42:43], v[2:3], off
	v_add_co_u32_e32 v2, vcc, v72, v54
	v_addc_co_u32_e32 v3, vcc, v69, v55, vcc
	global_load_dwordx2 v[26:27], v[2:3], off
	s_or_b64 exec, exec, s[8:9]
	s_and_saveexec_b64 s[8:9], s[2:3]
	s_cbranch_execz .LBB44_36
.LBB44_47:                              ;   in Loop: Header=BB44_3 Depth=1
	v_add_co_u32_e32 v2, vcc, v66, v54
	v_addc_co_u32_e32 v3, vcc, v63, v55, vcc
	global_load_dwordx2 v[44:45], v[2:3], off
	v_add_co_u32_e32 v2, vcc, v68, v54
	v_addc_co_u32_e32 v3, vcc, v65, v55, vcc
	global_load_dwordx2 v[28:29], v[2:3], off
	s_or_b64 exec, exec, s[8:9]
	s_and_saveexec_b64 s[8:9], s[2:3]
	s_cbranch_execz .LBB44_37
.LBB44_48:                              ;   in Loop: Header=BB44_3 Depth=1
	v_add_co_u32_e32 v2, vcc, v62, v54
	v_addc_co_u32_e32 v3, vcc, v59, v55, vcc
	global_load_dwordx2 v[46:47], v[2:3], off
	v_add_co_u32_e32 v2, vcc, v64, v54
	v_addc_co_u32_e32 v3, vcc, v61, v55, vcc
	global_load_dwordx2 v[30:31], v[2:3], off
	s_or_b64 exec, exec, s[8:9]
	s_and_saveexec_b64 s[8:9], s[2:3]
	s_cbranch_execnz .LBB44_38
	s_branch .LBB44_39
.LBB44_49:
	s_mov_b64 s[10:11], -1
                                        ; implicit-def: $vgpr50_vgpr51
                                        ; implicit-def: $vgpr56_vgpr57
.LBB44_50:
	s_andn2_b64 vcc, exec, s[10:11]
	s_cbranch_vccnz .LBB44_82
; %bb.51:
	v_pk_mov_b32 v[50:51], 0, 0
	s_and_b64 vcc, exec, s[0:1]
	v_pk_mov_b32 v[56:57], v[50:51], v[50:51] op_sel:[0,1]
	s_cbranch_vccnz .LBB44_82
; %bb.52:
	s_load_dword s0, s[4:5], 0x44
	s_add_u32 s2, s4, 64
	s_addc_u32 s3, s5, 0
	v_bfe_u32 v101, v0, 10, 10
	v_lshlrev_b32_e32 v1, 6, v101
	s_waitcnt lgkmcnt(0)
	s_lshl_b32 s7, s0, 7
	s_add_u32 s24, s34, 0x7f
	s_addc_u32 s25, 0, 0
	s_lshl_b64 s[0:1], s[34:35], 3
	v_mov_b32_e32 v2, s1
	v_add_co_u32_e32 v1, vcc, s0, v1
	v_addc_co_u32_e32 v4, vcc, 0, v2, vcc
	v_add_co_u32_e32 v6, vcc, 8, v1
	v_addc_co_u32_e32 v5, vcc, 0, v4, vcc
	v_add_co_u32_e32 v9, vcc, 16, v1
	v_mul_lo_u32 v7, s38, v5
	v_addc_co_u32_e32 v5, vcc, 0, v4, vcc
	v_add_co_u32_e32 v12, vcc, 24, v1
	v_mul_lo_u32 v10, s38, v5
	;; [unrolled: 3-line block ×5, first 2 shown]
	v_addc_co_u32_e32 v5, vcc, 0, v4, vcc
	v_add_co_u32_e32 v24, vcc, 56, v1
	v_lshlrev_b32_e32 v38, 3, v101
	v_addc_co_u32_e32 v1, vcc, 0, v4, vcc
	v_mul_lo_u32 v25, s38, v1
	v_mov_b32_e32 v1, s35
	v_add_co_u32_e32 v27, vcc, s34, v38
	v_pk_mov_b32 v[2:3], s[40:41], s[40:41] op_sel:[0,1]
	v_addc_co_u32_e32 v28, vcc, 0, v1, vcc
	v_mad_u64_u32 v[40:41], s[0:1], s38, v6, v[2:3]
	v_mad_u64_u32 v[42:43], s[0:1], s38, v9, v[2:3]
	;; [unrolled: 1-line block ×7, first 2 shown]
	v_mul_lo_u32 v29, s39, v27
	v_mul_lo_u32 v30, s38, v28
	v_mad_u64_u32 v[2:3], s[0:1], s38, v27, 0
	v_add3_u32 v3, v3, v30, v29
	v_lshlrev_b64 v[2:3], 3, v[2:3]
	v_mul_lo_u32 v22, s38, v5
	v_mov_b32_e32 v31, s41
	v_add_co_u32_e32 v58, vcc, s40, v2
	v_pk_mov_b32 v[4:5], s[42:43], s[42:43] op_sel:[0,1]
	v_mul_lo_u32 v17, s39, v15
	v_addc_co_u32_e32 v1, vcc, v31, v3, vcc
	v_mad_u64_u32 v[66:67], s[0:1], s38, v15, v[4:5]
	v_add3_u32 v47, v17, v47, v16
	v_add3_u32 v67, v17, v67, v16
	v_mov_b32_e32 v16, s43
	v_add_co_u32_e32 v74, vcc, s42, v2
	v_addc_co_u32_e32 v39, vcc, v16, v3, vcc
	v_add_co_u32_e32 v2, vcc, 7, v27
	v_addc_co_u32_e32 v3, vcc, 0, v28, vcc
	v_mad_u64_u32 v[60:61], s[0:1], s38, v6, v[4:5]
	v_mad_u64_u32 v[62:63], s[0:1], s38, v9, v[4:5]
	;; [unrolled: 1-line block ×6, first 2 shown]
	v_mul_lo_u32 v4, s39, v2
	v_mul_lo_u32 v5, s38, v3
	v_mad_u64_u32 v[2:3], s[0:1], s38, v2, 0
	v_add3_u32 v3, v3, v5, v4
	v_add_co_u32_e32 v4, vcc, 6, v27
	v_mul_lo_u32 v8, s39, v6
	v_addc_co_u32_e32 v5, vcc, 0, v28, vcc
	v_add3_u32 v41, v8, v41, v7
	v_add3_u32 v61, v8, v61, v7
	v_mul_lo_u32 v6, s39, v4
	v_mul_lo_u32 v7, s38, v5
	v_mad_u64_u32 v[4:5], s[0:1], s38, v4, 0
	v_add3_u32 v5, v5, v7, v6
	v_add_co_u32_e32 v6, vcc, 5, v27
	v_addc_co_u32_e32 v7, vcc, 0, v28, vcc
	v_mul_lo_u32 v11, s39, v9
	v_mul_lo_u32 v8, s39, v6
	;; [unrolled: 1-line block ×3, first 2 shown]
	v_mad_u64_u32 v[6:7], s[0:1], s38, v6, 0
	v_add3_u32 v7, v7, v9, v8
	v_add_co_u32_e32 v8, vcc, 4, v27
	v_addc_co_u32_e32 v9, vcc, 0, v28, vcc
	v_add3_u32 v43, v11, v43, v10
	v_add3_u32 v63, v11, v63, v10
	v_mul_lo_u32 v10, s39, v8
	v_mul_lo_u32 v11, s38, v9
	v_mad_u64_u32 v[8:9], s[0:1], s38, v8, 0
	v_add3_u32 v9, v9, v11, v10
	v_add_co_u32_e32 v10, vcc, 3, v27
	v_mul_lo_u32 v14, s39, v12
	v_addc_co_u32_e32 v11, vcc, 0, v28, vcc
	v_add3_u32 v45, v14, v45, v13
	v_add3_u32 v65, v14, v65, v13
	v_mul_lo_u32 v12, s39, v10
	v_mul_lo_u32 v13, s38, v11
	v_mad_u64_u32 v[10:11], s[0:1], s38, v10, 0
	v_add3_u32 v11, v11, v13, v12
	v_add_co_u32_e32 v12, vcc, 2, v27
	v_lshlrev_b64 v[2:3], 3, v[2:3]
	v_addc_co_u32_e32 v13, vcc, 0, v28, vcc
	v_add_co_u32_e32 v76, vcc, s40, v2
	v_addc_co_u32_e32 v59, vcc, v31, v3, vcc
	v_add_co_u32_e32 v78, vcc, s42, v2
	v_addc_co_u32_e32 v75, vcc, v16, v3, vcc
	v_lshlrev_b64 v[2:3], 3, v[4:5]
	v_add_co_u32_e32 v80, vcc, s40, v2
	v_addc_co_u32_e32 v77, vcc, v31, v3, vcc
	v_add_co_u32_e32 v82, vcc, s42, v2
	v_addc_co_u32_e32 v79, vcc, v16, v3, vcc
	v_lshlrev_b64 v[2:3], 3, v[6:7]
	;; [unrolled: 5-line block ×4, first 2 shown]
	v_add_co_u32_e32 v92, vcc, s40, v2
	v_mul_lo_u32 v14, s39, v12
	v_mul_lo_u32 v15, s38, v13
	v_mad_u64_u32 v[12:13], s[0:1], s38, v12, 0
	v_addc_co_u32_e32 v89, vcc, v31, v3, vcc
	v_add3_u32 v13, v13, v15, v14
	v_add_co_u32_e32 v94, vcc, s42, v2
	v_addc_co_u32_e32 v91, vcc, v16, v3, vcc
	v_lshlrev_b64 v[2:3], 3, v[12:13]
	v_pk_mov_b32 v[14:15], s[38:39], s[38:39] op_sel:[0,1]
	v_add_co_u32_e32 v96, vcc, s40, v2
	v_mad_u64_u32 v[14:15], s[0:1], s38, v27, v[14:15]
	v_addc_co_u32_e32 v93, vcc, v31, v3, vcc
	v_add3_u32 v15, v29, v15, v30
	v_add_co_u32_e32 v98, vcc, s42, v2
	v_addc_co_u32_e32 v95, vcc, v16, v3, vcc
	v_lshlrev_b64 v[2:3], 3, v[14:15]
	v_add_co_u32_e32 v100, vcc, s40, v2
	v_addc_co_u32_e32 v97, vcc, v31, v3, vcc
	v_add_co_u32_e32 v102, vcc, s42, v2
	v_and_b32_e32 v103, 0x3ff, v0
	v_mov_b32_e32 v4, 0
	v_addc_co_u32_e32 v99, vcc, v16, v3, vcc
	v_add_u32_e32 v2, s33, v103
	v_mov_b32_e32 v3, v4
	v_lshlrev_b64 v[104:105], 3, v[2:3]
	v_mbcnt_lo_u32_b32 v2, -1, 0
	s_mul_i32 s0, s39, s7
	s_mul_hi_u32 s1, s38, s7
	v_mbcnt_hi_u32_b32 v2, -1, v2
	v_mul_lo_u32 v20, s39, v18
	v_mul_lo_u32 v23, s39, v21
	;; [unrolled: 1-line block ×3, first 2 shown]
	s_add_i32 s1, s1, s0
	s_mul_i32 s0, s38, s7
	v_lshlrev_b32_e32 v2, 2, v2
	v_pk_mov_b32 v[56:57], 0, 0
	v_add3_u32 v49, v20, v49, v19
	v_add3_u32 v53, v23, v53, v22
	;; [unrolled: 1-line block ×6, first 2 shown]
	s_mov_b32 s8, 0
	s_lshl_b64 s[26:27], s[0:1], 3
	v_and_b32_e32 v110, 0x100, v2
	v_pk_mov_b32 v[50:51], v[56:57], v[56:57] op_sel:[0,1]
	s_branch .LBB44_56
.LBB44_53:                              ;   in Loop: Header=BB44_56 Depth=1
	s_or_b64 exec, exec, s[10:11]
.LBB44_54:                              ;   in Loop: Header=BB44_56 Depth=1
	s_or_b64 exec, exec, s[0:1]
	v_add_co_u32_e32 v8, vcc, v58, v104
	v_addc_co_u32_e32 v9, vcc, v1, v105, vcc
	v_add_co_u32_e32 v10, vcc, v74, v104
	v_addc_co_u32_e32 v11, vcc, v39, v105, vcc
	global_load_dwordx2 v[10:11], v[10:11], off
	v_add_co_u32_e32 v12, vcc, v40, v104
	v_addc_co_u32_e32 v13, vcc, v41, v105, vcc
	global_load_dwordx2 v[8:9], v[8:9], off
	;; [unrolled: 3-line block ×3, first 2 shown]
	global_load_dwordx2 v[18:19], v[12:13], off
	v_add_co_u32_e32 v12, vcc, v42, v104
	v_addc_co_u32_e32 v13, vcc, v43, v105, vcc
	v_add_co_u32_e32 v14, vcc, v62, v104
	v_addc_co_u32_e32 v15, vcc, v63, v105, vcc
	global_load_dwordx2 v[22:23], v[14:15], off
	global_load_dwordx2 v[24:25], v[12:13], off
	v_add_co_u32_e32 v12, vcc, v44, v104
	v_addc_co_u32_e32 v13, vcc, v45, v105, vcc
	v_add_co_u32_e32 v14, vcc, v64, v104
	v_addc_co_u32_e32 v15, vcc, v65, v105, vcc
	global_load_dwordx2 v[14:15], v[14:15], off
	v_add_co_u32_e32 v20, vcc, v46, v104
	v_addc_co_u32_e32 v21, vcc, v47, v105, vcc
	global_load_dwordx2 v[26:27], v[20:21], off
	v_add_co_u32_e32 v20, vcc, v66, v104
	global_load_dwordx2 v[12:13], v[12:13], off
	v_addc_co_u32_e32 v21, vcc, v67, v105, vcc
	global_load_dwordx2 v[28:29], v[20:21], off
	v_add_co_u32_e32 v20, vcc, v48, v104
	v_addc_co_u32_e32 v21, vcc, v49, v105, vcc
	global_load_dwordx2 v[30:31], v[20:21], off
	v_add_co_u32_e32 v20, vcc, v68, v104
	;; [unrolled: 3-line block ×5, first 2 shown]
	v_addc_co_u32_e32 v107, vcc, v55, v105, vcc
	v_add_co_u32_e32 v108, vcc, v72, v104
	v_addc_co_u32_e32 v109, vcc, v73, v105, vcc
	global_load_dwordx2 v[112:113], v[108:109], off
	global_load_dwordx2 v[20:21], v[106:107], off
	s_waitcnt vmcnt(17)
	ds_bpermute_b32 v106, v110, v6
	ds_bpermute_b32 v107, v110, v7
	s_waitcnt vmcnt(16)
	ds_bpermute_b32 v108, v110, v2
	ds_bpermute_b32 v109, v110, v3
	ds_bpermute_b32 v114, v110, v2 offset:4
	ds_bpermute_b32 v115, v110, v3 offset:4
	s_waitcnt vmcnt(15) lgkmcnt(4)
	v_add_f64 v[10:11], v[10:11], -v[106:107]
	ds_bpermute_b32 v106, v110, v6 offset:4
	ds_bpermute_b32 v107, v110, v7 offset:4
	s_waitcnt vmcnt(14)
	v_mul_f64 v[10:11], v[8:9], v[10:11]
	s_waitcnt lgkmcnt(4)
	v_fmac_f64_e32 v[56:57], v[10:11], v[108:109]
	v_add_f64 v[8:9], v[50:51], v[8:9]
	s_waitcnt vmcnt(13) lgkmcnt(0)
	v_add_f64 v[10:11], v[16:17], -v[106:107]
	ds_bpermute_b32 v16, v110, v6 offset:8
	ds_bpermute_b32 v17, v110, v7 offset:8
	;; [unrolled: 1-line block ×4, first 2 shown]
	s_waitcnt vmcnt(12)
	v_mul_f64 v[10:11], v[18:19], v[10:11]
	v_fmac_f64_e32 v[56:57], v[10:11], v[114:115]
	v_add_f64 v[8:9], v[8:9], v[18:19]
	s_waitcnt vmcnt(11) lgkmcnt(2)
	v_add_f64 v[10:11], v[22:23], -v[16:17]
	s_waitcnt vmcnt(10)
	v_mul_f64 v[10:11], v[24:25], v[10:11]
	s_waitcnt lgkmcnt(0)
	v_fmac_f64_e32 v[56:57], v[10:11], v[106:107]
	ds_bpermute_b32 v10, v110, v6 offset:12
	ds_bpermute_b32 v11, v110, v7 offset:12
	ds_bpermute_b32 v16, v110, v2 offset:12
	ds_bpermute_b32 v17, v110, v3 offset:12
	v_add_f64 v[8:9], v[8:9], v[24:25]
	s_waitcnt vmcnt(9) lgkmcnt(2)
	v_add_f64 v[10:11], v[14:15], -v[10:11]
	ds_bpermute_b32 v14, v110, v6 offset:16
	ds_bpermute_b32 v15, v110, v7 offset:16
	s_waitcnt vmcnt(7)
	v_mul_f64 v[10:11], v[12:13], v[10:11]
	s_waitcnt lgkmcnt(2)
	v_fmac_f64_e32 v[56:57], v[10:11], v[16:17]
	v_add_f64 v[8:9], v[8:9], v[12:13]
	ds_bpermute_b32 v10, v110, v2 offset:16
	ds_bpermute_b32 v11, v110, v3 offset:16
	s_waitcnt vmcnt(6) lgkmcnt(2)
	v_add_f64 v[12:13], v[28:29], -v[14:15]
	ds_bpermute_b32 v14, v110, v6 offset:20
	ds_bpermute_b32 v15, v110, v7 offset:20
	v_mul_f64 v[12:13], v[26:27], v[12:13]
	s_waitcnt lgkmcnt(2)
	v_fmac_f64_e32 v[56:57], v[12:13], v[10:11]
	ds_bpermute_b32 v10, v110, v2 offset:20
	ds_bpermute_b32 v11, v110, v3 offset:20
	v_add_f64 v[8:9], v[8:9], v[26:27]
	s_waitcnt vmcnt(4) lgkmcnt(2)
	v_add_f64 v[12:13], v[32:33], -v[14:15]
	ds_bpermute_b32 v14, v110, v6 offset:24
	ds_bpermute_b32 v15, v110, v7 offset:24
	v_mul_f64 v[12:13], v[30:31], v[12:13]
	s_waitcnt lgkmcnt(2)
	v_fmac_f64_e32 v[56:57], v[12:13], v[10:11]
	ds_bpermute_b32 v10, v110, v2 offset:24
	ds_bpermute_b32 v11, v110, v3 offset:24
	;; [unrolled: 1-line block ×4, first 2 shown]
	v_add_f64 v[8:9], v[8:9], v[30:31]
	s_waitcnt vmcnt(2) lgkmcnt(4)
	v_add_f64 v[12:13], v[36:37], -v[14:15]
	ds_bpermute_b32 v14, v110, v6 offset:28
	ds_bpermute_b32 v15, v110, v7 offset:28
	v_mul_f64 v[12:13], v[34:35], v[12:13]
	v_add_f64 v[6:7], v[8:9], v[34:35]
	s_waitcnt lgkmcnt(4)
	v_fmac_f64_e32 v[56:57], v[12:13], v[10:11]
	s_waitcnt vmcnt(1) lgkmcnt(0)
	v_add_f64 v[8:9], v[112:113], -v[14:15]
	s_waitcnt vmcnt(0)
	v_mul_f64 v[8:9], v[20:21], v[8:9]
	v_mul_f64 v[8:9], v[8:9], v[2:3]
	v_pk_mov_b32 v[2:3], v[56:57], v[56:57] op_sel:[0,1]
.LBB44_55:                              ;   in Loop: Header=BB44_56 Depth=1
	v_add_f64 v[56:57], v[2:3], v[8:9]
	v_mov_b32_e32 v2, s27
	v_add_co_u32_e32 v40, vcc, s26, v40
	v_addc_co_u32_e32 v41, vcc, v41, v2, vcc
	v_add_co_u32_e32 v42, vcc, s26, v42
	v_addc_co_u32_e32 v43, vcc, v43, v2, vcc
	;; [unrolled: 2-line block ×29, first 2 shown]
	s_add_u32 s34, s34, s7
	v_add_co_u32_e32 v102, vcc, s26, v102
	s_addc_u32 s35, s35, 0
	v_addc_co_u32_e32 v99, vcc, v99, v2, vcc
	v_pk_mov_b32 v[2:3], s[36:37], s[36:37] op_sel:[0,1]
	s_add_u32 s24, s24, s7
	v_cmp_ge_i64_e32 vcc, s[34:35], v[2:3]
	v_add_f64 v[50:51], v[6:7], v[20:21]
	s_addc_u32 s25, s25, 0
	s_cbranch_vccnz .LBB44_82
.LBB44_56:                              ; =>This Inner Loop Header: Depth=1
	v_pk_mov_b32 v[2:3], s[36:37], s[36:37] op_sel:[0,1]
	v_cmp_ge_i64_e32 vcc, s[24:25], v[2:3]
	v_mov_b32_e32 v2, s25
	v_add_co_u32_e64 v111, s[0:1], s24, v38
	v_addc_co_u32_e64 v112, s[0:1], 0, v2, s[0:1]
	s_cbranch_vccz .LBB44_78
; %bb.57:                               ;   in Loop: Header=BB44_56 Depth=1
	s_load_dword s0, s[2:3], 0xc
	v_pk_mov_b32 v[106:107], 0, 0
	v_pk_mov_b32 v[108:109], v[106:107], v[106:107] op_sel:[0,1]
	s_waitcnt lgkmcnt(0)
	s_and_b32 s0, s0, 0xffff
	v_mad_u32_u24 v2, v101, s0, v103
	v_and_b32_e32 v2, 63, v2
	v_cmp_gt_u32_e32 vcc, 8, v2
	s_and_saveexec_b64 s[0:1], vcc
	s_cbranch_execz .LBB44_61
; %bb.58:                               ;   in Loop: Header=BB44_56 Depth=1
	v_add_co_u32_e32 v2, vcc, v111, v2
	v_addc_co_u32_e32 v3, vcc, 0, v112, vcc
	v_add_co_u32_e32 v2, vcc, 0xffffff81, v2
	v_addc_co_u32_e32 v3, vcc, -1, v3, vcc
	v_pk_mov_b32 v[108:109], 0, 0
	v_cmp_gt_i64_e32 vcc, s[36:37], v[2:3]
	v_pk_mov_b32 v[106:107], v[108:109], v[108:109] op_sel:[0,1]
	s_and_saveexec_b64 s[10:11], vcc
	s_cbranch_execz .LBB44_60
; %bb.59:                               ;   in Loop: Header=BB44_56 Depth=1
	v_lshlrev_b64 v[2:3], 3, v[2:3]
	v_mov_b32_e32 v5, s31
	v_add_co_u32_e32 v6, vcc, s30, v2
	v_addc_co_u32_e32 v7, vcc, v5, v3, vcc
	v_mov_b32_e32 v5, s29
	v_add_co_u32_e32 v2, vcc, s28, v2
	v_addc_co_u32_e32 v3, vcc, v5, v3, vcc
	global_load_dwordx2 v[108:109], v[2:3], off
	global_load_dwordx2 v[106:107], v[6:7], off
.LBB44_60:                              ;   in Loop: Header=BB44_56 Depth=1
	s_or_b64 exec, exec, s[10:11]
.LBB44_61:                              ;   in Loop: Header=BB44_56 Depth=1
	s_or_b64 exec, exec, s[0:1]
	s_mov_b32 s22, s8
	s_mov_b32 s23, s8
	;; [unrolled: 1-line block ×15, first 2 shown]
	v_pk_mov_b32 v[36:37], s[22:23], s[22:23] op_sel:[0,1]
	v_add_co_u32_e32 v2, vcc, 0xffffff81, v111
	v_pk_mov_b32 v[22:23], s[8:9], s[8:9] op_sel:[0,1]
	v_addc_co_u32_e32 v3, vcc, -1, v112, vcc
	v_pk_mov_b32 v[34:35], s[20:21], s[20:21] op_sel:[0,1]
	v_pk_mov_b32 v[32:33], s[18:19], s[18:19] op_sel:[0,1]
	;; [unrolled: 1-line block ×7, first 2 shown]
	v_cmp_gt_i64_e32 vcc, s[36:37], v[2:3]
	v_pk_mov_b32 v[8:9], v[24:25], v[24:25] op_sel:[0,1]
	v_pk_mov_b32 v[10:11], v[26:27], v[26:27] op_sel:[0,1]
	;; [unrolled: 1-line block ×7, first 2 shown]
	s_and_saveexec_b64 s[0:1], vcc
	s_cbranch_execz .LBB44_63
; %bb.62:                               ;   in Loop: Header=BB44_56 Depth=1
	v_add_co_u32_e32 v2, vcc, v58, v104
	v_addc_co_u32_e32 v3, vcc, v1, v105, vcc
	v_add_co_u32_e32 v6, vcc, v74, v104
	global_load_dwordx2 v[2:3], v[2:3], off
	v_addc_co_u32_e32 v7, vcc, v39, v105, vcc
	global_load_dwordx2 v[22:23], v[6:7], off
	v_mov_b32_e32 v6, v4
	v_mov_b32_e32 v7, v4
	;; [unrolled: 1-line block ×13, first 2 shown]
	s_waitcnt vmcnt(1)
	v_pk_mov_b32 v[20:21], v[16:17], v[16:17] op_sel:[0,1]
	v_mov_b32_e32 v24, v4
	v_mov_b32_e32 v25, v4
	;; [unrolled: 1-line block ×14, first 2 shown]
	v_pk_mov_b32 v[18:19], v[14:15], v[14:15] op_sel:[0,1]
	v_pk_mov_b32 v[16:17], v[12:13], v[12:13] op_sel:[0,1]
	;; [unrolled: 1-line block ×7, first 2 shown]
.LBB44_63:                              ;   in Loop: Header=BB44_56 Depth=1
	s_or_b64 exec, exec, s[0:1]
	v_add_co_u32_e32 v2, vcc, 0xffffff82, v111
	v_addc_co_u32_e32 v3, vcc, -1, v112, vcc
	v_cmp_gt_i64_e32 vcc, s[36:37], v[2:3]
	s_and_saveexec_b64 s[0:1], vcc
	s_cbranch_execz .LBB44_65
; %bb.64:                               ;   in Loop: Header=BB44_56 Depth=1
	v_add_co_u32_e32 v2, vcc, v100, v104
	v_addc_co_u32_e32 v3, vcc, v97, v105, vcc
	global_load_dwordx2 v[8:9], v[2:3], off
	v_add_co_u32_e32 v2, vcc, v102, v104
	v_addc_co_u32_e32 v3, vcc, v99, v105, vcc
	global_load_dwordx2 v[24:25], v[2:3], off
.LBB44_65:                              ;   in Loop: Header=BB44_56 Depth=1
	s_or_b64 exec, exec, s[0:1]
	v_add_co_u32_e32 v2, vcc, 0xffffff83, v111
	v_addc_co_u32_e32 v3, vcc, -1, v112, vcc
	v_cmp_gt_i64_e32 vcc, s[36:37], v[2:3]
	s_and_saveexec_b64 s[0:1], vcc
	s_cbranch_execz .LBB44_67
; %bb.66:                               ;   in Loop: Header=BB44_56 Depth=1
	v_add_co_u32_e32 v2, vcc, v96, v104
	v_addc_co_u32_e32 v3, vcc, v93, v105, vcc
	global_load_dwordx2 v[10:11], v[2:3], off
	v_add_co_u32_e32 v2, vcc, v98, v104
	v_addc_co_u32_e32 v3, vcc, v95, v105, vcc
	global_load_dwordx2 v[26:27], v[2:3], off
.LBB44_67:                              ;   in Loop: Header=BB44_56 Depth=1
	;; [unrolled: 14-line block ×7, first 2 shown]
	s_or_b64 exec, exec, s[0:1]
	s_waitcnt vmcnt(1)
	ds_bpermute_b32 v2, v110, v108
	ds_bpermute_b32 v3, v110, v109
	s_waitcnt vmcnt(0)
	ds_bpermute_b32 v114, v110, v106
	ds_bpermute_b32 v115, v110, v107
	ds_bpermute_b32 v116, v110, v108 offset:4
	ds_bpermute_b32 v117, v110, v109 offset:4
	s_waitcnt lgkmcnt(4)
	v_add_f64 v[2:3], v[22:23], -v[2:3]
	v_mul_f64 v[2:3], v[6:7], v[2:3]
	s_waitcnt lgkmcnt(2)
	v_fma_f64 v[2:3], v[2:3], v[114:115], v[56:57]
	ds_bpermute_b32 v22, v110, v106 offset:4
	ds_bpermute_b32 v23, v110, v107 offset:4
	;; [unrolled: 1-line block ×4, first 2 shown]
	v_add_f64 v[6:7], v[50:51], v[6:7]
	s_waitcnt lgkmcnt(4)
	v_add_f64 v[24:25], v[24:25], -v[116:117]
	v_mul_f64 v[24:25], v[8:9], v[24:25]
	v_add_f64 v[6:7], v[8:9], v[6:7]
	ds_bpermute_b32 v8, v110, v106 offset:8
	ds_bpermute_b32 v9, v110, v107 offset:8
	s_waitcnt lgkmcnt(4)
	v_fmac_f64_e32 v[2:3], v[24:25], v[22:23]
	s_waitcnt lgkmcnt(2)
	v_add_f64 v[22:23], v[26:27], -v[114:115]
	ds_bpermute_b32 v24, v110, v108 offset:12
	ds_bpermute_b32 v25, v110, v109 offset:12
	v_mul_f64 v[22:23], v[10:11], v[22:23]
	s_waitcnt lgkmcnt(2)
	v_fmac_f64_e32 v[2:3], v[22:23], v[8:9]
	ds_bpermute_b32 v8, v110, v106 offset:12
	ds_bpermute_b32 v9, v110, v107 offset:12
	v_add_f64 v[6:7], v[10:11], v[6:7]
	s_waitcnt lgkmcnt(2)
	v_add_f64 v[10:11], v[28:29], -v[24:25]
	ds_bpermute_b32 v22, v110, v108 offset:16
	ds_bpermute_b32 v23, v110, v109 offset:16
	v_mul_f64 v[10:11], v[12:13], v[10:11]
	s_waitcnt lgkmcnt(2)
	v_fmac_f64_e32 v[2:3], v[10:11], v[8:9]
	v_add_f64 v[6:7], v[12:13], v[6:7]
	ds_bpermute_b32 v8, v110, v106 offset:16
	ds_bpermute_b32 v9, v110, v107 offset:16
	;; [unrolled: 1-line block ×4, first 2 shown]
	s_waitcnt lgkmcnt(4)
	v_add_f64 v[10:11], v[30:31], -v[22:23]
	v_mul_f64 v[10:11], v[14:15], v[10:11]
	s_waitcnt lgkmcnt(2)
	v_fmac_f64_e32 v[2:3], v[10:11], v[8:9]
	ds_bpermute_b32 v8, v110, v106 offset:20
	ds_bpermute_b32 v9, v110, v107 offset:20
	s_waitcnt lgkmcnt(2)
	v_add_f64 v[10:11], v[32:33], -v[12:13]
	ds_bpermute_b32 v12, v110, v108 offset:24
	ds_bpermute_b32 v13, v110, v109 offset:24
	v_mul_f64 v[10:11], v[16:17], v[10:11]
	s_waitcnt lgkmcnt(2)
	v_fmac_f64_e32 v[2:3], v[10:11], v[8:9]
	ds_bpermute_b32 v8, v110, v106 offset:24
	ds_bpermute_b32 v9, v110, v107 offset:24
	s_waitcnt lgkmcnt(2)
	v_add_f64 v[10:11], v[34:35], -v[12:13]
	ds_bpermute_b32 v12, v110, v108 offset:28
	ds_bpermute_b32 v13, v110, v109 offset:28
	v_add_f64 v[6:7], v[14:15], v[6:7]
	ds_bpermute_b32 v14, v110, v106 offset:28
	ds_bpermute_b32 v15, v110, v107 offset:28
	v_mul_f64 v[10:11], v[18:19], v[10:11]
	s_waitcnt lgkmcnt(4)
	v_fmac_f64_e32 v[2:3], v[10:11], v[8:9]
	s_waitcnt lgkmcnt(2)
	v_add_f64 v[8:9], v[36:37], -v[12:13]
	v_add_f64 v[6:7], v[16:17], v[6:7]
	v_mul_f64 v[8:9], v[20:21], v[8:9]
	v_add_f64 v[6:7], v[18:19], v[6:7]
	s_waitcnt lgkmcnt(0)
	v_mul_f64 v[8:9], v[8:9], v[14:15]
	s_branch .LBB44_55
.LBB44_78:                              ;   in Loop: Header=BB44_56 Depth=1
                                        ; implicit-def: $vgpr20_vgpr21
                                        ; implicit-def: $vgpr8_vgpr9
                                        ; implicit-def: $vgpr6_vgpr7
                                        ; implicit-def: $vgpr2_vgpr3
	s_cbranch_execz .LBB44_55
; %bb.79:                               ;   in Loop: Header=BB44_56 Depth=1
	s_load_dword s0, s[2:3], 0x0
	v_pk_mov_b32 v[2:3], 0, 0
	v_pk_mov_b32 v[6:7], v[2:3], v[2:3] op_sel:[0,1]
	s_waitcnt lgkmcnt(0)
	s_cmp_lt_u32 s6, s0
	s_cselect_b32 s0, 12, 18
	s_add_u32 s0, s2, s0
	s_addc_u32 s1, s3, 0
	global_load_ushort v5, v4, s[0:1]
	s_waitcnt vmcnt(0)
	v_mad_u32_u24 v5, v101, v5, v103
	v_and_b32_e32 v5, 63, v5
	v_cmp_gt_u32_e32 vcc, 8, v5
	s_and_saveexec_b64 s[0:1], vcc
	s_cbranch_execz .LBB44_54
; %bb.80:                               ;   in Loop: Header=BB44_56 Depth=1
	v_add_co_u32_e32 v2, vcc, v111, v5
	v_addc_co_u32_e32 v3, vcc, 0, v112, vcc
	v_add_co_u32_e32 v8, vcc, 0xffffff81, v2
	v_addc_co_u32_e32 v9, vcc, -1, v3, vcc
	v_pk_mov_b32 v[6:7], 0, 0
	v_cmp_gt_i64_e32 vcc, s[36:37], v[8:9]
	v_pk_mov_b32 v[2:3], v[6:7], v[6:7] op_sel:[0,1]
	s_and_saveexec_b64 s[10:11], vcc
	s_cbranch_execz .LBB44_53
; %bb.81:                               ;   in Loop: Header=BB44_56 Depth=1
	v_lshlrev_b64 v[2:3], 3, v[8:9]
	v_mov_b32_e32 v5, s31
	v_add_co_u32_e32 v8, vcc, s30, v2
	v_addc_co_u32_e32 v9, vcc, v5, v3, vcc
	v_mov_b32_e32 v5, s29
	v_add_co_u32_e32 v10, vcc, s28, v2
	v_addc_co_u32_e32 v11, vcc, v5, v3, vcc
	global_load_dwordx2 v[6:7], v[10:11], off
	global_load_dwordx2 v[2:3], v[8:9], off
	s_branch .LBB44_53
.LBB44_82:
	v_and_b32_e32 v2, 0x3ff, v0
	v_bfe_u32 v0, v0, 10, 10
	v_mad_u32_u24 v1, v0, 33, v2
	v_lshl_add_u32 v3, v1, 3, 0
	v_sub_u32_e32 v1, v1, v0
	s_movk_i32 s0, 0x800
	s_mov_b32 s7, 0
	v_cmp_gt_u32_e32 vcc, s0, v1
	ds_write_b64 v3, v[56:57]
	ds_write_b64 v3, v[50:51] offset:4224
	s_waitcnt lgkmcnt(0)
	s_barrier
	s_and_saveexec_b64 s[0:1], vcc
	s_cbranch_execz .LBB44_92
; %bb.83:
	v_mbcnt_lo_u32_b32 v3, -1, 0
	v_mbcnt_hi_u32_b32 v3, -1, v3
	v_and_b32_e32 v4, 64, v3
	v_add_u32_e32 v4, 64, v4
	v_cmp_eq_u32_e64 s[2:3], 0, v2
	v_xor_b32_e32 v2, 8, v3
	v_cmp_lt_i32_e32 vcc, v2, v4
	v_cndmask_b32_e32 v2, v3, v2, vcc
	v_lshlrev_b32_e32 v10, 2, v2
	v_xor_b32_e32 v2, 4, v3
	v_cmp_lt_i32_e32 vcc, v2, v4
	s_load_dwordx4 s[8:11], s[4:5], 0x30
	v_cndmask_b32_e32 v2, v3, v2, vcc
	v_lshlrev_b32_e32 v11, 2, v2
	v_xor_b32_e32 v2, 2, v3
	v_cmp_lt_i32_e32 vcc, v2, v4
	v_cndmask_b32_e32 v2, v3, v2, vcc
	s_lshl_b64 s[4:5], s[6:7], 5
	v_lshlrev_b32_e32 v12, 2, v2
	v_xor_b32_e32 v2, 1, v3
	s_waitcnt lgkmcnt(0)
	s_cmp_lg_u64 s[8:9], 0
	v_cmp_lt_i32_e32 vcc, v2, v4
	v_lshrrev_b32_e32 v0, 6, v1
	s_cselect_b64 s[14:15], -1, 0
	s_cmp_lg_u64 s[10:11], 0
	v_cndmask_b32_e32 v2, v3, v2, vcc
	s_cselect_b64 s[16:17], -1, 0
	v_lshlrev_b32_e32 v13, 2, v2
	s_lshl_b64 s[6:7], s[6:7], 8
	v_lshlrev_b32_e32 v2, 3, v0
	v_mov_b32_e32 v3, s7
	v_add_co_u32_e32 v4, vcc, s6, v2
	v_addc_co_u32_e32 v5, vcc, 0, v3, vcc
	v_mov_b32_e32 v3, s11
	v_add_co_u32_e32 v2, vcc, s10, v4
	v_and_b32_e32 v6, 63, v1
	v_addc_co_u32_e32 v3, vcc, v3, v5, vcc
	v_cmp_gt_u32_e64 s[0:1], 16, v6
	v_mov_b32_e32 v7, s9
	v_add_co_u32_e32 v4, vcc, s8, v4
	v_mad_u32_u24 v6, v6, 33, v0
	v_mov_b32_e32 v1, 0
	s_mov_b64 s[12:13], 0
	v_addc_co_u32_e32 v5, vcc, v7, v5, vcc
	v_lshl_add_u32 v14, v6, 3, 0
	v_mov_b32_e32 v15, s5
                                        ; implicit-def: $vgpr6_vgpr7
                                        ; implicit-def: $vgpr8_vgpr9
	s_branch .LBB44_85
.LBB44_84:                              ;   in Loop: Header=BB44_85 Depth=1
	s_or_b64 exec, exec, s[6:7]
	v_add_co_u32_e32 v0, vcc, 8, v0
	v_addc_co_u32_e32 v1, vcc, 0, v1, vcc
	v_add_co_u32_e32 v2, vcc, 64, v2
	v_addc_co_u32_e32 v3, vcc, 0, v3, vcc
	v_add_co_u32_e32 v4, vcc, 64, v4
	v_add_u32_e32 v16, -8, v0
	v_addc_co_u32_e32 v5, vcc, 0, v5, vcc
	v_cmp_lt_u32_e32 vcc, 23, v16
	s_or_b64 s[12:13], vcc, s[12:13]
	v_add_u32_e32 v14, 64, v14
	s_andn2_b64 exec, exec, s[12:13]
	s_cbranch_execz .LBB44_92
.LBB44_85:                              ; =>This Inner Loop Header: Depth=1
	s_and_saveexec_b64 s[6:7], s[0:1]
	s_cbranch_execz .LBB44_87
; %bb.86:                               ;   in Loop: Header=BB44_85 Depth=1
	ds_read_b64 v[6:7], v14
	ds_read_b64 v[8:9], v14 offset:4224
.LBB44_87:                              ;   in Loop: Header=BB44_85 Depth=1
	s_or_b64 exec, exec, s[6:7]
	s_waitcnt lgkmcnt(1)
	ds_bpermute_b32 v16, v10, v6
	ds_bpermute_b32 v17, v10, v7
	s_waitcnt lgkmcnt(2)
	ds_bpermute_b32 v18, v10, v8
	ds_bpermute_b32 v19, v10, v9
	s_waitcnt lgkmcnt(2)
	v_add_f64 v[6:7], v[6:7], v[16:17]
	ds_bpermute_b32 v16, v11, v6
	ds_bpermute_b32 v17, v11, v7
	s_waitcnt lgkmcnt(2)
	v_add_f64 v[8:9], v[8:9], v[18:19]
	;; [unrolled: 4-line block ×7, first 2 shown]
	v_add_co_u32_e32 v16, vcc, s4, v0
	v_addc_co_u32_e32 v17, vcc, v15, v1, vcc
	v_cmp_gt_i64_e32 vcc, s[38:39], v[16:17]
	s_waitcnt lgkmcnt(0)
	v_add_f64 v[8:9], v[8:9], v[18:19]
	s_and_b64 s[8:9], s[2:3], vcc
	s_and_saveexec_b64 s[6:7], s[8:9]
	s_cbranch_execz .LBB44_84
; %bb.88:                               ;   in Loop: Header=BB44_85 Depth=1
	s_andn2_b64 vcc, exec, s[14:15]
	s_cbranch_vccnz .LBB44_90
; %bb.89:                               ;   in Loop: Header=BB44_85 Depth=1
	global_store_dwordx2 v[4:5], v[6:7], off
.LBB44_90:                              ;   in Loop: Header=BB44_85 Depth=1
	s_andn2_b64 vcc, exec, s[16:17]
	s_cbranch_vccnz .LBB44_84
; %bb.91:                               ;   in Loop: Header=BB44_85 Depth=1
	global_store_dwordx2 v[2:3], v[8:9], off
	s_branch .LBB44_84
.LBB44_92:
	s_endpgm
	.section	.rodata,"a",@progbits
	.p2align	6, 0x0
	.amdhsa_kernel _ZN2at6native12_GLOBAL__N_135GammaBetaBackwardCUDAKernelTemplateIddLj32ELj16ELj128ELb0ELb0ELb0EEEvllPKT_S5_PKT0_S8_PS3_S9_
		.amdhsa_group_segment_fixed_size 0
		.amdhsa_private_segment_fixed_size 0
		.amdhsa_kernarg_size 320
		.amdhsa_user_sgpr_count 6
		.amdhsa_user_sgpr_private_segment_buffer 1
		.amdhsa_user_sgpr_dispatch_ptr 0
		.amdhsa_user_sgpr_queue_ptr 0
		.amdhsa_user_sgpr_kernarg_segment_ptr 1
		.amdhsa_user_sgpr_dispatch_id 0
		.amdhsa_user_sgpr_flat_scratch_init 0
		.amdhsa_user_sgpr_kernarg_preload_length 0
		.amdhsa_user_sgpr_kernarg_preload_offset 0
		.amdhsa_user_sgpr_private_segment_size 0
		.amdhsa_uses_dynamic_stack 0
		.amdhsa_system_sgpr_private_segment_wavefront_offset 0
		.amdhsa_system_sgpr_workgroup_id_x 1
		.amdhsa_system_sgpr_workgroup_id_y 1
		.amdhsa_system_sgpr_workgroup_id_z 0
		.amdhsa_system_sgpr_workgroup_info 0
		.amdhsa_system_vgpr_workitem_id 1
		.amdhsa_next_free_vgpr 118
		.amdhsa_next_free_sgpr 54
		.amdhsa_accum_offset 120
		.amdhsa_reserve_vcc 1
		.amdhsa_reserve_flat_scratch 0
		.amdhsa_float_round_mode_32 0
		.amdhsa_float_round_mode_16_64 0
		.amdhsa_float_denorm_mode_32 3
		.amdhsa_float_denorm_mode_16_64 3
		.amdhsa_dx10_clamp 1
		.amdhsa_ieee_mode 1
		.amdhsa_fp16_overflow 0
		.amdhsa_tg_split 0
		.amdhsa_exception_fp_ieee_invalid_op 0
		.amdhsa_exception_fp_denorm_src 0
		.amdhsa_exception_fp_ieee_div_zero 0
		.amdhsa_exception_fp_ieee_overflow 0
		.amdhsa_exception_fp_ieee_underflow 0
		.amdhsa_exception_fp_ieee_inexact 0
		.amdhsa_exception_int_div_zero 0
	.end_amdhsa_kernel
	.section	.text._ZN2at6native12_GLOBAL__N_135GammaBetaBackwardCUDAKernelTemplateIddLj32ELj16ELj128ELb0ELb0ELb0EEEvllPKT_S5_PKT0_S8_PS3_S9_,"axG",@progbits,_ZN2at6native12_GLOBAL__N_135GammaBetaBackwardCUDAKernelTemplateIddLj32ELj16ELj128ELb0ELb0ELb0EEEvllPKT_S5_PKT0_S8_PS3_S9_,comdat
.Lfunc_end44:
	.size	_ZN2at6native12_GLOBAL__N_135GammaBetaBackwardCUDAKernelTemplateIddLj32ELj16ELj128ELb0ELb0ELb0EEEvllPKT_S5_PKT0_S8_PS3_S9_, .Lfunc_end44-_ZN2at6native12_GLOBAL__N_135GammaBetaBackwardCUDAKernelTemplateIddLj32ELj16ELj128ELb0ELb0ELb0EEEvllPKT_S5_PKT0_S8_PS3_S9_
                                        ; -- End function
	.section	.AMDGPU.csdata,"",@progbits
; Kernel info:
; codeLenInByte = 8800
; NumSgprs: 58
; NumVgprs: 118
; NumAgprs: 0
; TotalNumVgprs: 118
; ScratchSize: 0
; MemoryBound: 1
; FloatMode: 240
; IeeeMode: 1
; LDSByteSize: 0 bytes/workgroup (compile time only)
; SGPRBlocks: 7
; VGPRBlocks: 14
; NumSGPRsForWavesPerEU: 58
; NumVGPRsForWavesPerEU: 118
; AccumOffset: 120
; Occupancy: 4
; WaveLimiterHint : 0
; COMPUTE_PGM_RSRC2:SCRATCH_EN: 0
; COMPUTE_PGM_RSRC2:USER_SGPR: 6
; COMPUTE_PGM_RSRC2:TRAP_HANDLER: 0
; COMPUTE_PGM_RSRC2:TGID_X_EN: 1
; COMPUTE_PGM_RSRC2:TGID_Y_EN: 1
; COMPUTE_PGM_RSRC2:TGID_Z_EN: 0
; COMPUTE_PGM_RSRC2:TIDIG_COMP_CNT: 1
; COMPUTE_PGM_RSRC3_GFX90A:ACCUM_OFFSET: 29
; COMPUTE_PGM_RSRC3_GFX90A:TG_SPLIT: 0
	.section	.text._ZN2at6native12_GLOBAL__N_135GammaBetaBackwardCUDAKernelTemplateIddLj32ELj32ELj256ELb0ELb1ELb0EEEvllPKT_S5_PKT0_S8_PS3_S9_,"axG",@progbits,_ZN2at6native12_GLOBAL__N_135GammaBetaBackwardCUDAKernelTemplateIddLj32ELj32ELj256ELb0ELb1ELb0EEEvllPKT_S5_PKT0_S8_PS3_S9_,comdat
	.globl	_ZN2at6native12_GLOBAL__N_135GammaBetaBackwardCUDAKernelTemplateIddLj32ELj32ELj256ELb0ELb1ELb0EEEvllPKT_S5_PKT0_S8_PS3_S9_ ; -- Begin function _ZN2at6native12_GLOBAL__N_135GammaBetaBackwardCUDAKernelTemplateIddLj32ELj32ELj256ELb0ELb1ELb0EEEvllPKT_S5_PKT0_S8_PS3_S9_
	.p2align	8
	.type	_ZN2at6native12_GLOBAL__N_135GammaBetaBackwardCUDAKernelTemplateIddLj32ELj32ELj256ELb0ELb1ELb0EEEvllPKT_S5_PKT0_S8_PS3_S9_,@function
_ZN2at6native12_GLOBAL__N_135GammaBetaBackwardCUDAKernelTemplateIddLj32ELj32ELj256ELb0ELb1ELb0EEEvllPKT_S5_PKT0_S8_PS3_S9_: ; @_ZN2at6native12_GLOBAL__N_135GammaBetaBackwardCUDAKernelTemplateIddLj32ELj32ELj256ELb0ELb1ELb0EEEvllPKT_S5_PKT0_S8_PS3_S9_
; %bb.0:
	s_load_dwordx4 s[20:23], s[4:5], 0x0
	s_lshl_b32 s24, s7, 8
	s_mov_b32 s25, 0
	v_bfe_u32 v24, v0, 10, 10
	s_waitcnt lgkmcnt(0)
	v_pk_mov_b32 v[2:3], s[20:21], s[20:21] op_sel:[0,1]
	v_cmp_lt_i64_e32 vcc, s[24:25], v[2:3]
	s_cbranch_vccnz .LBB45_2
; %bb.1:
	s_mov_b64 s[0:1], 0
	s_mov_b64 s[2:3], 0
	v_bfe_u32 v1, v0, 10, 10
	s_branch .LBB45_3
.LBB45_2:
	s_mov_b64 s[0:1], -1
                                        ; implicit-def: $sgpr2_sgpr3
                                        ; implicit-def: $vgpr1
.LBB45_3:
	s_load_dwordx4 s[16:19], s[4:5], 0x30
	v_and_b32_e32 v22, 0x3ff, v0
	s_andn2_b64 vcc, exec, s[0:1]
	v_pk_mov_b32 v[10:11], s[2:3], s[2:3] op_sel:[0,1]
	v_mbcnt_lo_u32_b32 v23, -1, 0
	v_pk_mov_b32 v[6:7], s[2:3], s[2:3] op_sel:[0,1]
	s_cbranch_vccnz .LBB45_11
; %bb.4:
	s_load_dword s0, s[4:5], 0x4c
	s_load_dword s2, s[4:5], 0x44
	s_load_dwordx8 s[8:15], s[4:5], 0x10
	v_mbcnt_hi_u32_b32 v2, -1, v23
	v_lshlrev_b32_e32 v0, 3, v24
	s_waitcnt lgkmcnt(0)
	s_and_b32 s0, s0, 0xffff
	v_lshlrev_b32_e32 v2, 2, v2
	v_mad_u32_u24 v1, v24, s0, v22
	v_and_b32_e32 v25, 0x100, v2
	v_mov_b32_e32 v2, s25
	v_add_co_u32_e32 v6, vcc, s24, v0
	v_and_b32_e32 v1, 63, v1
	v_addc_co_u32_e32 v7, vcc, 0, v2, vcc
	v_add_co_u32_e32 v0, vcc, v6, v1
	v_cmp_gt_u32_e64 s[0:1], 8, v1
	s_lshl_b32 s4, s2, 8
	v_addc_co_u32_e32 v1, vcc, 0, v7, vcc
	v_mul_lo_u32 v8, s23, v6
	v_mul_lo_u32 v9, s22, v7
	v_mad_u64_u32 v[6:7], s[2:3], s22, v6, 0
	v_mov_b32_e32 v5, 0
	v_lshl_add_u32 v4, s6, 5, v22
	v_add3_u32 v7, v7, v9, v8
	s_mov_b32 s5, 0
	v_lshlrev_b64 v[6:7], 3, v[6:7]
	v_lshlrev_b64 v[4:5], 3, v[4:5]
	s_mul_i32 s2, s23, s4
	s_mul_hi_u32 s3, s22, s4
	s_lshl_b64 s[26:27], s[4:5], 3
	v_add_co_u32_e32 v4, vcc, v6, v4
	s_add_i32 s3, s3, s2
	s_mul_i32 s2, s22, s4
	s_lshl_b64 s[22:23], s[22:23], 3
	v_pk_mov_b32 v[8:9], 0, 0
	v_or_b32_e32 v26, 4, v25
	v_or_b32_e32 v27, 8, v25
	;; [unrolled: 1-line block ×7, first 2 shown]
	v_lshlrev_b64 v[2:3], 3, v[0:1]
	v_addc_co_u32_e32 v5, vcc, v7, v5, vcc
	s_lshl_b64 s[28:29], s[2:3], 3
	v_mov_b32_e32 v33, s9
	v_mov_b32_e32 v34, s11
	;; [unrolled: 1-line block ×4, first 2 shown]
	v_pk_mov_b32 v[6:7], v[8:9], v[8:9] op_sel:[0,1]
	v_pk_mov_b32 v[10:11], v[8:9], v[8:9] op_sel:[0,1]
	s_branch .LBB45_7
.LBB45_5:                               ;   in Loop: Header=BB45_7 Depth=1
	s_or_b64 exec, exec, s[30:31]
.LBB45_6:                               ;   in Loop: Header=BB45_7 Depth=1
	s_or_b64 exec, exec, s[2:3]
	v_add_co_u32_e32 v20, vcc, s10, v4
	v_addc_co_u32_e32 v21, vcc, v34, v5, vcc
	v_add_co_u32_e32 v38, vcc, s8, v4
	v_addc_co_u32_e32 v39, vcc, v33, v5, vcc
	global_load_dwordx2 v[18:19], v[20:21], off
	v_add_co_u32_e32 v40, vcc, s22, v20
	global_load_dwordx2 v[16:17], v[38:39], off
	v_addc_co_u32_e32 v41, vcc, v21, v35, vcc
	global_load_dwordx2 v[42:43], v[40:41], off
	v_add_co_u32_e32 v38, vcc, s22, v38
	v_addc_co_u32_e32 v39, vcc, v39, v35, vcc
	global_load_dwordx2 v[20:21], v[38:39], off
	v_add_co_u32_e64 v40, s[2:3], s22, v40
	v_add_co_u32_e32 v38, vcc, s22, v38
	v_addc_co_u32_e64 v41, s[2:3], v41, v35, s[2:3]
	global_load_dwordx2 v[44:45], v[40:41], off
	v_addc_co_u32_e32 v39, vcc, v39, v35, vcc
	global_load_dwordx2 v[46:47], v[38:39], off
	s_waitcnt vmcnt(7)
	ds_bpermute_b32 v50, v25, v14
	ds_bpermute_b32 v51, v25, v15
	s_waitcnt vmcnt(6)
	ds_bpermute_b32 v48, v25, v12
	ds_bpermute_b32 v49, v25, v13
	;; [unrolled: 1-line block ×4, first 2 shown]
	v_add_co_u32_e32 v38, vcc, s22, v38
	v_addc_co_u32_e32 v39, vcc, v39, v35, vcc
	v_add_co_u32_e32 v40, vcc, s22, v40
	v_addc_co_u32_e32 v41, vcc, v41, v35, vcc
	ds_bpermute_b32 v54, v26, v12
	ds_bpermute_b32 v55, v26, v13
	s_add_u32 s24, s24, s4
	s_addc_u32 s25, s25, 0
	s_waitcnt vmcnt(5) lgkmcnt(6)
	v_add_f64 v[18:19], v[18:19], -v[50:51]
	ds_bpermute_b32 v50, v27, v14
	ds_bpermute_b32 v51, v27, v15
	s_waitcnt vmcnt(4)
	v_mul_f64 v[18:19], v[16:17], v[18:19]
	s_waitcnt lgkmcnt(6)
	v_fmac_f64_e32 v[6:7], v[18:19], v[48:49]
	v_add_co_u32_e32 v48, vcc, s22, v38
	s_waitcnt vmcnt(3) lgkmcnt(4)
	v_add_f64 v[42:43], v[42:43], -v[52:53]
	v_add_co_u32_e64 v52, s[2:3], s22, v40
	v_addc_co_u32_e32 v49, vcc, v39, v35, vcc
	v_addc_co_u32_e64 v53, vcc, v41, v35, s[2:3]
	global_load_dwordx2 v[40:41], v[40:41], off
	s_waitcnt vmcnt(3)
	v_mul_f64 v[42:43], v[20:21], v[42:43]
	global_load_dwordx2 v[38:39], v[38:39], off
	s_waitcnt lgkmcnt(2)
	v_fmac_f64_e32 v[6:7], v[42:43], v[54:55]
	v_add_co_u32_e32 v42, vcc, s22, v48
	v_add_co_u32_e64 v54, s[2:3], s22, v52
	ds_bpermute_b32 v18, v27, v12
	ds_bpermute_b32 v19, v27, v13
	v_addc_co_u32_e32 v43, vcc, v49, v35, vcc
	v_addc_co_u32_e64 v55, vcc, v53, v35, s[2:3]
	global_load_dwordx2 v[52:53], v[52:53], off
	s_waitcnt vmcnt(4) lgkmcnt(2)
	v_add_f64 v[44:45], v[44:45], -v[50:51]
	global_load_dwordx2 v[48:49], v[48:49], off
	s_waitcnt vmcnt(4)
	v_mul_f64 v[44:45], v[46:47], v[44:45]
	v_add_co_u32_e32 v50, vcc, s22, v54
	s_waitcnt lgkmcnt(0)
	v_fmac_f64_e32 v[6:7], v[44:45], v[18:19]
	v_add_co_u32_e64 v18, s[2:3], s22, v42
	global_load_dwordx2 v[44:45], v[54:55], off
	v_addc_co_u32_e32 v51, vcc, v55, v35, vcc
	v_addc_co_u32_e64 v19, vcc, v43, v35, s[2:3]
	global_load_dwordx2 v[42:43], v[42:43], off
	v_add_co_u32_e32 v54, vcc, s22, v50
	v_addc_co_u32_e32 v55, vcc, v51, v35, vcc
	global_load_dwordx2 v[50:51], v[50:51], off
	v_add_f64 v[10:11], v[10:11], v[16:17]
	v_add_co_u32_e32 v16, vcc, s22, v18
	v_addc_co_u32_e32 v17, vcc, v19, v35, vcc
	global_load_dwordx2 v[56:57], v[18:19], off
	global_load_dwordx2 v[58:59], v[54:55], off
	;; [unrolled: 1-line block ×3, first 2 shown]
	ds_bpermute_b32 v16, v28, v14
	ds_bpermute_b32 v17, v28, v15
	;; [unrolled: 1-line block ×4, first 2 shown]
	v_add_f64 v[10:11], v[10:11], v[20:21]
	ds_bpermute_b32 v20, v29, v14
	ds_bpermute_b32 v21, v29, v15
	v_add_co_u32_e32 v2, vcc, s26, v2
	v_addc_co_u32_e32 v3, vcc, v3, v36, vcc
	v_add_f64 v[10:11], v[10:11], v[46:47]
	v_add_co_u32_e32 v0, vcc, s4, v0
	s_waitcnt vmcnt(9) lgkmcnt(4)
	v_add_f64 v[16:17], v[40:41], -v[16:17]
	s_waitcnt vmcnt(8)
	v_mul_f64 v[16:17], v[38:39], v[16:17]
	s_waitcnt lgkmcnt(2)
	v_fmac_f64_e32 v[6:7], v[16:17], v[18:19]
	ds_bpermute_b32 v16, v29, v12
	ds_bpermute_b32 v17, v29, v13
	v_add_f64 v[10:11], v[10:11], v[38:39]
	s_waitcnt vmcnt(7) lgkmcnt(2)
	v_add_f64 v[18:19], v[52:53], -v[20:21]
	ds_bpermute_b32 v20, v30, v14
	ds_bpermute_b32 v21, v30, v15
	s_waitcnt vmcnt(6)
	v_mul_f64 v[18:19], v[48:49], v[18:19]
	s_waitcnt lgkmcnt(2)
	v_fmac_f64_e32 v[6:7], v[18:19], v[16:17]
	ds_bpermute_b32 v16, v30, v12
	ds_bpermute_b32 v17, v30, v13
	v_add_f64 v[10:11], v[10:11], v[48:49]
	s_waitcnt vmcnt(5) lgkmcnt(2)
	v_add_f64 v[18:19], v[44:45], -v[20:21]
	ds_bpermute_b32 v20, v31, v14
	ds_bpermute_b32 v21, v31, v15
	;; [unrolled: 1-line block ×4, first 2 shown]
	s_waitcnt vmcnt(4)
	v_mul_f64 v[18:19], v[42:43], v[18:19]
	s_waitcnt lgkmcnt(4)
	v_fmac_f64_e32 v[6:7], v[18:19], v[16:17]
	ds_bpermute_b32 v16, v31, v12
	ds_bpermute_b32 v17, v31, v13
	;; [unrolled: 1-line block ×4, first 2 shown]
	s_waitcnt vmcnt(3) lgkmcnt(6)
	v_add_f64 v[18:19], v[50:51], -v[20:21]
	v_add_f64 v[10:11], v[10:11], v[42:43]
	s_waitcnt vmcnt(2)
	v_mul_f64 v[18:19], v[56:57], v[18:19]
	s_waitcnt vmcnt(1) lgkmcnt(4)
	v_add_f64 v[14:15], v[58:59], -v[14:15]
	s_waitcnt lgkmcnt(2)
	v_fmac_f64_e32 v[6:7], v[18:19], v[16:17]
	s_waitcnt vmcnt(0)
	v_mul_f64 v[14:15], v[60:61], v[14:15]
	s_waitcnt lgkmcnt(0)
	v_fmac_f64_e32 v[6:7], v[14:15], v[12:13]
	v_mov_b32_e32 v12, s5
	v_addc_co_u32_e32 v1, vcc, v1, v12, vcc
	v_mov_b32_e32 v12, s29
	v_add_co_u32_e32 v4, vcc, s28, v4
	v_addc_co_u32_e32 v5, vcc, v5, v12, vcc
	v_pk_mov_b32 v[12:13], s[20:21], s[20:21] op_sel:[0,1]
	v_add_f64 v[10:11], v[10:11], v[56:57]
	v_cmp_lt_i64_e32 vcc, s[24:25], v[12:13]
	v_add_f64 v[10:11], v[10:11], v[60:61]
	s_cbranch_vccz .LBB45_10
.LBB45_7:                               ; =>This Inner Loop Header: Depth=1
	v_pk_mov_b32 v[12:13], v[8:9], v[8:9] op_sel:[0,1]
	v_pk_mov_b32 v[14:15], v[8:9], v[8:9] op_sel:[0,1]
	s_and_saveexec_b64 s[2:3], s[0:1]
	s_cbranch_execz .LBB45_6
; %bb.8:                                ;   in Loop: Header=BB45_7 Depth=1
	v_pk_mov_b32 v[14:15], 0, 0
	v_cmp_gt_i64_e32 vcc, s[20:21], v[0:1]
	v_pk_mov_b32 v[12:13], v[14:15], v[14:15] op_sel:[0,1]
	s_and_saveexec_b64 s[30:31], vcc
	s_cbranch_execz .LBB45_5
; %bb.9:                                ;   in Loop: Header=BB45_7 Depth=1
	v_mov_b32_e32 v12, s15
	v_add_co_u32_e32 v16, vcc, s14, v2
	v_addc_co_u32_e32 v17, vcc, v12, v3, vcc
	v_mov_b32_e32 v12, s13
	v_add_co_u32_e32 v18, vcc, s12, v2
	v_addc_co_u32_e32 v19, vcc, v12, v3, vcc
	global_load_dwordx2 v[14:15], v[18:19], off
	global_load_dwordx2 v[12:13], v[16:17], off
	s_branch .LBB45_5
.LBB45_10:
	v_mov_b32_e32 v1, v24
.LBB45_11:
	v_mad_u32_u24 v0, v1, 33, v22
	v_lshl_add_u32 v2, v0, 3, 0
	v_sub_u32_e32 v0, v0, v1
	s_movk_i32 s0, 0x800
	s_mov_b32 s7, 0
	v_cmp_gt_u32_e32 vcc, s0, v0
	ds_write_b64 v2, v[6:7]
	ds_write_b64 v2, v[10:11] offset:8448
	s_waitcnt lgkmcnt(0)
	s_barrier
	s_and_saveexec_b64 s[0:1], vcc
	s_cbranch_execz .LBB45_21
; %bb.12:
	v_lshrrev_b32_e32 v4, 6, v0
	v_and_b32_e32 v5, 63, v0
	v_mbcnt_hi_u32_b32 v0, -1, v23
	v_and_b32_e32 v1, 64, v0
	v_add_u32_e32 v1, 64, v1
	v_xor_b32_e32 v2, 16, v0
	v_cmp_lt_i32_e32 vcc, v2, v1
	v_cndmask_b32_e32 v2, v0, v2, vcc
	v_lshlrev_b32_e32 v8, 2, v2
	v_xor_b32_e32 v2, 8, v0
	v_cmp_lt_i32_e32 vcc, v2, v1
	v_cndmask_b32_e32 v2, v0, v2, vcc
	v_lshlrev_b32_e32 v9, 2, v2
	;; [unrolled: 4-line block ×4, first 2 shown]
	v_xor_b32_e32 v2, 1, v0
	s_cmp_lg_u64 s[16:17], 0
	v_cmp_lt_i32_e32 vcc, v2, v1
	s_cselect_b64 s[8:9], -1, 0
	s_cmp_lg_u64 s[18:19], 0
	v_cndmask_b32_e32 v0, v0, v2, vcc
	s_cselect_b64 s[10:11], -1, 0
	v_lshlrev_b32_e32 v12, 2, v0
	s_lshl_b64 s[6:7], s[6:7], 8
	v_lshlrev_b32_e32 v0, 3, v4
	v_mov_b32_e32 v1, s7
	v_add_co_u32_e32 v2, vcc, s6, v0
	v_addc_co_u32_e32 v3, vcc, 0, v1, vcc
	v_mov_b32_e32 v1, s19
	v_add_co_u32_e32 v0, vcc, s18, v2
	v_addc_co_u32_e32 v1, vcc, v1, v3, vcc
	v_add_u32_e32 v13, -16, v4
	v_mov_b32_e32 v6, s17
	v_add_co_u32_e32 v2, vcc, s16, v2
	v_mad_u32_u24 v4, v5, 33, v4
	v_cmp_gt_u32_e64 s[0:1], 32, v5
	v_cmp_eq_u32_e64 s[2:3], 0, v22
	s_mov_b64 s[4:5], 0
	v_addc_co_u32_e32 v3, vcc, v6, v3, vcc
	v_lshl_add_u32 v14, v4, 3, 0
                                        ; implicit-def: $vgpr4_vgpr5
                                        ; implicit-def: $vgpr6_vgpr7
	s_branch .LBB45_14
.LBB45_13:                              ;   in Loop: Header=BB45_14 Depth=1
	s_or_b64 exec, exec, s[6:7]
	v_add_co_u32_e32 v13, vcc, 16, v13
	s_xor_b64 s[6:7], vcc, -1
	v_add_co_u32_e32 v0, vcc, 0x80, v0
	v_addc_co_u32_e32 v1, vcc, 0, v1, vcc
	v_add_co_u32_e32 v2, vcc, 0x80, v2
	s_and_b64 s[6:7], exec, s[6:7]
	v_addc_co_u32_e32 v3, vcc, 0, v3, vcc
	s_or_b64 s[4:5], s[6:7], s[4:5]
	v_add_u32_e32 v14, 0x80, v14
	s_andn2_b64 exec, exec, s[4:5]
	s_cbranch_execz .LBB45_21
.LBB45_14:                              ; =>This Inner Loop Header: Depth=1
	s_and_saveexec_b64 s[6:7], s[0:1]
	s_cbranch_execz .LBB45_16
; %bb.15:                               ;   in Loop: Header=BB45_14 Depth=1
	ds_read_b64 v[4:5], v14
	ds_read_b64 v[6:7], v14 offset:8448
.LBB45_16:                              ;   in Loop: Header=BB45_14 Depth=1
	s_or_b64 exec, exec, s[6:7]
	s_waitcnt lgkmcnt(1)
	ds_bpermute_b32 v16, v8, v4
	ds_bpermute_b32 v17, v8, v5
	s_waitcnt lgkmcnt(2)
	ds_bpermute_b32 v18, v8, v6
	ds_bpermute_b32 v19, v8, v7
	s_waitcnt lgkmcnt(2)
	v_add_f64 v[4:5], v[4:5], v[16:17]
	ds_bpermute_b32 v16, v9, v4
	s_waitcnt lgkmcnt(1)
	v_add_f64 v[6:7], v[6:7], v[18:19]
	ds_bpermute_b32 v17, v9, v5
	ds_bpermute_b32 v18, v9, v6
	ds_bpermute_b32 v19, v9, v7
	s_waitcnt lgkmcnt(2)
	v_add_f64 v[4:5], v[4:5], v[16:17]
	ds_bpermute_b32 v16, v10, v4
	s_waitcnt lgkmcnt(1)
	v_add_f64 v[6:7], v[6:7], v[18:19]
	ds_bpermute_b32 v17, v10, v5
	;; [unrolled: 8-line block ×4, first 2 shown]
	ds_bpermute_b32 v18, v12, v6
	ds_bpermute_b32 v19, v12, v7
	s_waitcnt lgkmcnt(2)
	v_add_f64 v[4:5], v[4:5], v[16:17]
	s_waitcnt lgkmcnt(0)
	v_add_f64 v[6:7], v[6:7], v[18:19]
	s_and_saveexec_b64 s[6:7], s[2:3]
	s_cbranch_execz .LBB45_13
; %bb.17:                               ;   in Loop: Header=BB45_14 Depth=1
	s_andn2_b64 vcc, exec, s[8:9]
	s_cbranch_vccnz .LBB45_19
; %bb.18:                               ;   in Loop: Header=BB45_14 Depth=1
	global_store_dwordx2 v[2:3], v[4:5], off
.LBB45_19:                              ;   in Loop: Header=BB45_14 Depth=1
	s_andn2_b64 vcc, exec, s[10:11]
	s_cbranch_vccnz .LBB45_13
; %bb.20:                               ;   in Loop: Header=BB45_14 Depth=1
	global_store_dwordx2 v[0:1], v[6:7], off
	s_branch .LBB45_13
.LBB45_21:
	s_endpgm
	.section	.rodata,"a",@progbits
	.p2align	6, 0x0
	.amdhsa_kernel _ZN2at6native12_GLOBAL__N_135GammaBetaBackwardCUDAKernelTemplateIddLj32ELj32ELj256ELb0ELb1ELb0EEEvllPKT_S5_PKT0_S8_PS3_S9_
		.amdhsa_group_segment_fixed_size 0
		.amdhsa_private_segment_fixed_size 0
		.amdhsa_kernarg_size 320
		.amdhsa_user_sgpr_count 6
		.amdhsa_user_sgpr_private_segment_buffer 1
		.amdhsa_user_sgpr_dispatch_ptr 0
		.amdhsa_user_sgpr_queue_ptr 0
		.amdhsa_user_sgpr_kernarg_segment_ptr 1
		.amdhsa_user_sgpr_dispatch_id 0
		.amdhsa_user_sgpr_flat_scratch_init 0
		.amdhsa_user_sgpr_kernarg_preload_length 0
		.amdhsa_user_sgpr_kernarg_preload_offset 0
		.amdhsa_user_sgpr_private_segment_size 0
		.amdhsa_uses_dynamic_stack 0
		.amdhsa_system_sgpr_private_segment_wavefront_offset 0
		.amdhsa_system_sgpr_workgroup_id_x 1
		.amdhsa_system_sgpr_workgroup_id_y 1
		.amdhsa_system_sgpr_workgroup_id_z 0
		.amdhsa_system_sgpr_workgroup_info 0
		.amdhsa_system_vgpr_workitem_id 1
		.amdhsa_next_free_vgpr 62
		.amdhsa_next_free_sgpr 32
		.amdhsa_accum_offset 64
		.amdhsa_reserve_vcc 1
		.amdhsa_reserve_flat_scratch 0
		.amdhsa_float_round_mode_32 0
		.amdhsa_float_round_mode_16_64 0
		.amdhsa_float_denorm_mode_32 3
		.amdhsa_float_denorm_mode_16_64 3
		.amdhsa_dx10_clamp 1
		.amdhsa_ieee_mode 1
		.amdhsa_fp16_overflow 0
		.amdhsa_tg_split 0
		.amdhsa_exception_fp_ieee_invalid_op 0
		.amdhsa_exception_fp_denorm_src 0
		.amdhsa_exception_fp_ieee_div_zero 0
		.amdhsa_exception_fp_ieee_overflow 0
		.amdhsa_exception_fp_ieee_underflow 0
		.amdhsa_exception_fp_ieee_inexact 0
		.amdhsa_exception_int_div_zero 0
	.end_amdhsa_kernel
	.section	.text._ZN2at6native12_GLOBAL__N_135GammaBetaBackwardCUDAKernelTemplateIddLj32ELj32ELj256ELb0ELb1ELb0EEEvllPKT_S5_PKT0_S8_PS3_S9_,"axG",@progbits,_ZN2at6native12_GLOBAL__N_135GammaBetaBackwardCUDAKernelTemplateIddLj32ELj32ELj256ELb0ELb1ELb0EEEvllPKT_S5_PKT0_S8_PS3_S9_,comdat
.Lfunc_end45:
	.size	_ZN2at6native12_GLOBAL__N_135GammaBetaBackwardCUDAKernelTemplateIddLj32ELj32ELj256ELb0ELb1ELb0EEEvllPKT_S5_PKT0_S8_PS3_S9_, .Lfunc_end45-_ZN2at6native12_GLOBAL__N_135GammaBetaBackwardCUDAKernelTemplateIddLj32ELj32ELj256ELb0ELb1ELb0EEEvllPKT_S5_PKT0_S8_PS3_S9_
                                        ; -- End function
	.section	.AMDGPU.csdata,"",@progbits
; Kernel info:
; codeLenInByte = 2132
; NumSgprs: 36
; NumVgprs: 62
; NumAgprs: 0
; TotalNumVgprs: 62
; ScratchSize: 0
; MemoryBound: 0
; FloatMode: 240
; IeeeMode: 1
; LDSByteSize: 0 bytes/workgroup (compile time only)
; SGPRBlocks: 4
; VGPRBlocks: 7
; NumSGPRsForWavesPerEU: 36
; NumVGPRsForWavesPerEU: 62
; AccumOffset: 64
; Occupancy: 8
; WaveLimiterHint : 0
; COMPUTE_PGM_RSRC2:SCRATCH_EN: 0
; COMPUTE_PGM_RSRC2:USER_SGPR: 6
; COMPUTE_PGM_RSRC2:TRAP_HANDLER: 0
; COMPUTE_PGM_RSRC2:TGID_X_EN: 1
; COMPUTE_PGM_RSRC2:TGID_Y_EN: 1
; COMPUTE_PGM_RSRC2:TGID_Z_EN: 0
; COMPUTE_PGM_RSRC2:TIDIG_COMP_CNT: 1
; COMPUTE_PGM_RSRC3_GFX90A:ACCUM_OFFSET: 15
; COMPUTE_PGM_RSRC3_GFX90A:TG_SPLIT: 0
	.section	.text._ZN2at6native12_GLOBAL__N_135GammaBetaBackwardCUDAKernelTemplateIddLj32ELj32ELj256ELb0ELb0ELb0EEEvllPKT_S5_PKT0_S8_PS3_S9_,"axG",@progbits,_ZN2at6native12_GLOBAL__N_135GammaBetaBackwardCUDAKernelTemplateIddLj32ELj32ELj256ELb0ELb0ELb0EEEvllPKT_S5_PKT0_S8_PS3_S9_,comdat
	.globl	_ZN2at6native12_GLOBAL__N_135GammaBetaBackwardCUDAKernelTemplateIddLj32ELj32ELj256ELb0ELb0ELb0EEEvllPKT_S5_PKT0_S8_PS3_S9_ ; -- Begin function _ZN2at6native12_GLOBAL__N_135GammaBetaBackwardCUDAKernelTemplateIddLj32ELj32ELj256ELb0ELb0ELb0EEEvllPKT_S5_PKT0_S8_PS3_S9_
	.p2align	8
	.type	_ZN2at6native12_GLOBAL__N_135GammaBetaBackwardCUDAKernelTemplateIddLj32ELj32ELj256ELb0ELb0ELb0EEEvllPKT_S5_PKT0_S8_PS3_S9_,@function
_ZN2at6native12_GLOBAL__N_135GammaBetaBackwardCUDAKernelTemplateIddLj32ELj32ELj256ELb0ELb0ELb0EEEvllPKT_S5_PKT0_S8_PS3_S9_: ; @_ZN2at6native12_GLOBAL__N_135GammaBetaBackwardCUDAKernelTemplateIddLj32ELj32ELj256ELb0ELb0ELb0EEEvllPKT_S5_PKT0_S8_PS3_S9_
; %bb.0:
	s_load_dwordx8 s[36:43], s[4:5], 0x0
	s_load_dwordx4 s[28:31], s[4:5], 0x20
	s_lshl_b32 s33, s6, 5
	s_or_b32 s34, s33, 31
	s_mov_b32 s35, 0
	s_waitcnt lgkmcnt(0)
	v_pk_mov_b32 v[2:3], s[38:39], s[38:39] op_sel:[0,1]
	v_cmp_ge_i64_e32 vcc, s[34:35], v[2:3]
	s_lshl_b32 s34, s7, 8
	v_pk_mov_b32 v[2:3], s[36:37], s[36:37] op_sel:[0,1]
	v_cmp_lt_i64_e64 s[0:1], s[34:35], v[2:3]
	v_cndmask_b32_e64 v1, 0, 1, s[0:1]
	v_cmp_ne_u32_e64 s[0:1], 1, v1
	s_cbranch_vccz .LBB46_49
; %bb.1:
	v_pk_mov_b32 v[50:51], 0, 0
	s_mov_b64 s[10:11], 0
	s_and_b64 vcc, exec, s[0:1]
	v_pk_mov_b32 v[58:59], v[50:51], v[50:51] op_sel:[0,1]
	s_cbranch_vccnz .LBB46_50
; %bb.2:
	v_bfe_u32 v89, v0, 10, 10
	v_lshlrev_b32_e32 v52, 3, v89
	v_mov_b32_e32 v1, s35
	v_add_co_u32_e32 v5, vcc, s34, v52
	v_and_b32_e32 v87, 0x3ff, v0
	v_mov_b32_e32 v4, 0
	v_addc_co_u32_e32 v6, vcc, 0, v1, vcc
	v_add_u32_e32 v2, s33, v87
	v_mov_b32_e32 v3, v4
	v_add_co_u32_e32 v1, vcc, 7, v5
	v_cmp_gt_i64_e64 s[2:3], s[38:39], v[2:3]
	v_lshlrev_b64 v[54:55], 3, v[2:3]
	v_addc_co_u32_e32 v2, vcc, 0, v6, vcc
	v_mul_lo_u32 v7, s39, v1
	v_mul_lo_u32 v8, s38, v2
	v_mad_u64_u32 v[2:3], s[8:9], s38, v1, 0
	s_load_dword s7, s[4:5], 0x44
	v_add3_u32 v3, v3, v8, v7
	v_lshlrev_b64 v[2:3], 3, v[2:3]
	v_mov_b32_e32 v7, s41
	v_add_co_u32_e32 v56, vcc, s40, v2
	v_addc_co_u32_e32 v1, vcc, v7, v3, vcc
	s_add_u32 s44, s4, 64
	v_mov_b32_e32 v8, s43
	v_add_co_u32_e32 v60, vcc, s42, v2
	s_addc_u32 s45, s5, 0
	s_waitcnt lgkmcnt(0)
	s_lshl_b32 s7, s7, 8
	v_addc_co_u32_e32 v53, vcc, v8, v3, vcc
	s_mul_i32 s8, s39, s7
	s_mul_hi_u32 s9, s38, s7
	v_add_co_u32_e32 v2, vcc, 6, v5
	s_add_i32 s9, s9, s8
	s_mul_i32 s8, s38, s7
	v_addc_co_u32_e32 v3, vcc, 0, v6, vcc
	s_lshl_b64 s[46:47], s[8:9], 3
	v_mul_lo_u32 v9, s39, v2
	v_mul_lo_u32 v10, s38, v3
	v_mad_u64_u32 v[2:3], s[8:9], s38, v2, 0
	v_add3_u32 v3, v3, v10, v9
	v_lshlrev_b64 v[2:3], 3, v[2:3]
	v_add_co_u32_e32 v62, vcc, s40, v2
	v_addc_co_u32_e32 v57, vcc, v7, v3, vcc
	v_add_co_u32_e32 v64, vcc, s42, v2
	v_addc_co_u32_e32 v61, vcc, v8, v3, vcc
	v_add_co_u32_e32 v2, vcc, 5, v5
	v_addc_co_u32_e32 v3, vcc, 0, v6, vcc
	v_mul_lo_u32 v9, s39, v2
	v_mul_lo_u32 v10, s38, v3
	v_mad_u64_u32 v[2:3], s[8:9], s38, v2, 0
	v_add3_u32 v3, v3, v10, v9
	v_lshlrev_b64 v[2:3], 3, v[2:3]
	v_add_co_u32_e32 v66, vcc, s40, v2
	v_addc_co_u32_e32 v63, vcc, v7, v3, vcc
	v_add_co_u32_e32 v68, vcc, s42, v2
	v_addc_co_u32_e32 v65, vcc, v8, v3, vcc
	v_add_co_u32_e32 v2, vcc, 4, v5
	v_addc_co_u32_e32 v3, vcc, 0, v6, vcc
	;; [unrolled: 11-line block ×4, first 2 shown]
	v_mul_lo_u32 v9, s39, v2
	v_mul_lo_u32 v10, s38, v3
	v_mad_u64_u32 v[2:3], s[8:9], s38, v2, 0
	v_add3_u32 v3, v3, v10, v9
	v_lshlrev_b64 v[2:3], 3, v[2:3]
	v_add_co_u32_e32 v78, vcc, s40, v2
	v_addc_co_u32_e32 v75, vcc, v7, v3, vcc
	v_add_co_u32_e32 v80, vcc, s42, v2
	v_addc_co_u32_e32 v77, vcc, v8, v3, vcc
	v_pk_mov_b32 v[2:3], s[38:39], s[38:39] op_sel:[0,1]
	v_mad_u64_u32 v[2:3], s[8:9], s38, v5, v[2:3]
	v_mul_lo_u32 v6, s38, v6
	v_mul_lo_u32 v9, s39, v5
	v_add3_u32 v3, v9, v3, v6
	v_lshlrev_b64 v[2:3], 3, v[2:3]
	v_add_co_u32_e32 v82, vcc, s40, v2
	v_addc_co_u32_e32 v79, vcc, v7, v3, vcc
	v_add_co_u32_e32 v84, vcc, s42, v2
	v_addc_co_u32_e32 v81, vcc, v8, v3, vcc
	v_mad_u64_u32 v[2:3], s[8:9], s38, v5, 0
	v_add3_u32 v3, v3, v6, v9
	v_lshlrev_b64 v[2:3], 3, v[2:3]
	v_add_co_u32_e32 v86, vcc, s40, v2
	v_addc_co_u32_e32 v83, vcc, v7, v3, vcc
	v_add_co_u32_e32 v88, vcc, s42, v2
	v_mbcnt_lo_u32_b32 v2, -1, 0
	v_mbcnt_hi_u32_b32 v2, -1, v2
	s_add_u32 s48, s34, 0xff
	v_pk_mov_b32 v[90:91], 0, 0
	v_lshlrev_b32_e32 v2, 2, v2
	s_mov_b32 s12, 0
	s_addc_u32 s49, 0, 0
	v_addc_co_u32_e32 v85, vcc, v8, v3, vcc
	v_and_b32_e32 v96, 0x100, v2
	v_pk_mov_b32 v[50:51], v[90:91], v[90:91] op_sel:[0,1]
	s_mov_b64 s[50:51], s[34:35]
.LBB46_3:                               ; =>This Inner Loop Header: Depth=1
	v_pk_mov_b32 v[2:3], s[36:37], s[36:37] op_sel:[0,1]
	v_cmp_ge_i64_e32 vcc, s[48:49], v[2:3]
	v_mov_b32_e32 v2, s49
	v_add_co_u32_e64 v97, s[8:9], s48, v52
	v_addc_co_u32_e64 v98, s[8:9], 0, v2, s[8:9]
	s_cbranch_vccz .LBB46_25
; %bb.4:                                ;   in Loop: Header=BB46_3 Depth=1
	s_load_dword s8, s[44:45], 0xc
	v_pk_mov_b32 v[94:95], 0, 0
	v_pk_mov_b32 v[92:93], v[94:95], v[94:95] op_sel:[0,1]
	s_waitcnt lgkmcnt(0)
	s_and_b32 s8, s8, 0xffff
	v_mad_u32_u24 v2, v89, s8, v87
	v_and_b32_e32 v2, 63, v2
	v_cmp_gt_u32_e32 vcc, 8, v2
	s_and_saveexec_b64 s[8:9], vcc
	s_cbranch_execz .LBB46_8
; %bb.5:                                ;   in Loop: Header=BB46_3 Depth=1
	v_add_co_u32_e32 v2, vcc, v97, v2
	v_addc_co_u32_e32 v3, vcc, 0, v98, vcc
	v_add_co_u32_e32 v2, vcc, 0xffffff01, v2
	v_addc_co_u32_e32 v3, vcc, -1, v3, vcc
	v_pk_mov_b32 v[92:93], 0, 0
	v_cmp_gt_i64_e32 vcc, s[36:37], v[2:3]
	v_pk_mov_b32 v[94:95], v[92:93], v[92:93] op_sel:[0,1]
	s_and_saveexec_b64 s[14:15], vcc
	s_cbranch_execz .LBB46_7
; %bb.6:                                ;   in Loop: Header=BB46_3 Depth=1
	v_lshlrev_b64 v[2:3], 3, v[2:3]
	v_mov_b32_e32 v5, s31
	v_add_co_u32_e32 v6, vcc, s30, v2
	v_addc_co_u32_e32 v7, vcc, v5, v3, vcc
	v_mov_b32_e32 v5, s29
	v_add_co_u32_e32 v2, vcc, s28, v2
	v_addc_co_u32_e32 v3, vcc, v5, v3, vcc
	global_load_dwordx2 v[92:93], v[2:3], off
	global_load_dwordx2 v[94:95], v[6:7], off
.LBB46_7:                               ;   in Loop: Header=BB46_3 Depth=1
	s_or_b64 exec, exec, s[14:15]
.LBB46_8:                               ;   in Loop: Header=BB46_3 Depth=1
	s_or_b64 exec, exec, s[8:9]
	v_add_co_u32_e32 v2, vcc, 0xffffff01, v97
	s_mov_b32 s26, s12
	s_mov_b32 s27, s12
	v_addc_co_u32_e32 v3, vcc, -1, v98, vcc
	s_mov_b32 s13, s12
	s_mov_b32 s14, s12
	;; [unrolled: 1-line block ×13, first 2 shown]
	v_pk_mov_b32 v[32:33], s[26:27], s[26:27] op_sel:[0,1]
	v_cmp_gt_i64_e32 vcc, s[36:37], v[2:3]
	v_pk_mov_b32 v[30:31], s[24:25], s[24:25] op_sel:[0,1]
	v_pk_mov_b32 v[28:29], s[22:23], s[22:23] op_sel:[0,1]
	;; [unrolled: 1-line block ×8, first 2 shown]
	s_and_b64 s[52:53], s[2:3], vcc
	v_pk_mov_b32 v[46:47], v[30:31], v[30:31] op_sel:[0,1]
	v_pk_mov_b32 v[44:45], v[28:29], v[28:29] op_sel:[0,1]
	;; [unrolled: 1-line block ×7, first 2 shown]
	s_and_saveexec_b64 s[8:9], s[52:53]
	s_cbranch_execz .LBB46_10
; %bb.9:                                ;   in Loop: Header=BB46_3 Depth=1
	v_add_co_u32_e32 v2, vcc, v86, v54
	v_addc_co_u32_e32 v3, vcc, v83, v55, vcc
	v_add_co_u32_e32 v6, vcc, v88, v54
	global_load_dwordx2 v[2:3], v[2:3], off
	v_addc_co_u32_e32 v7, vcc, v85, v55, vcc
	global_load_dwordx2 v[18:19], v[6:7], off
	v_mov_b32_e32 v16, v4
	v_mov_b32_e32 v17, v4
	;; [unrolled: 1-line block ×13, first 2 shown]
	s_waitcnt vmcnt(1)
	v_pk_mov_b32 v[48:49], v[16:17], v[16:17] op_sel:[0,1]
	v_mov_b32_e32 v20, v4
	v_mov_b32_e32 v21, v4
	;; [unrolled: 1-line block ×14, first 2 shown]
	v_pk_mov_b32 v[46:47], v[14:15], v[14:15] op_sel:[0,1]
	v_pk_mov_b32 v[44:45], v[12:13], v[12:13] op_sel:[0,1]
	;; [unrolled: 1-line block ×7, first 2 shown]
.LBB46_10:                              ;   in Loop: Header=BB46_3 Depth=1
	s_or_b64 exec, exec, s[8:9]
	v_add_co_u32_e32 v2, vcc, 0xffffff02, v97
	v_addc_co_u32_e32 v3, vcc, -1, v98, vcc
	v_cmp_gt_i64_e32 vcc, s[36:37], v[2:3]
	s_and_b64 s[14:15], s[2:3], vcc
	s_and_saveexec_b64 s[8:9], s[14:15]
	s_cbranch_execz .LBB46_12
; %bb.11:                               ;   in Loop: Header=BB46_3 Depth=1
	v_add_co_u32_e32 v2, vcc, v82, v54
	v_addc_co_u32_e32 v3, vcc, v79, v55, vcc
	global_load_dwordx2 v[36:37], v[2:3], off
	v_add_co_u32_e32 v2, vcc, v84, v54
	v_addc_co_u32_e32 v3, vcc, v81, v55, vcc
	global_load_dwordx2 v[20:21], v[2:3], off
.LBB46_12:                              ;   in Loop: Header=BB46_3 Depth=1
	s_or_b64 exec, exec, s[8:9]
	v_add_co_u32_e32 v2, vcc, 0xffffff03, v97
	v_addc_co_u32_e32 v3, vcc, -1, v98, vcc
	v_cmp_gt_i64_e32 vcc, s[36:37], v[2:3]
	s_and_b64 s[14:15], s[2:3], vcc
	s_and_saveexec_b64 s[8:9], s[14:15]
	s_cbranch_execz .LBB46_14
; %bb.13:                               ;   in Loop: Header=BB46_3 Depth=1
	v_add_co_u32_e32 v2, vcc, v78, v54
	v_addc_co_u32_e32 v3, vcc, v75, v55, vcc
	global_load_dwordx2 v[38:39], v[2:3], off
	v_add_co_u32_e32 v2, vcc, v80, v54
	v_addc_co_u32_e32 v3, vcc, v77, v55, vcc
	global_load_dwordx2 v[22:23], v[2:3], off
.LBB46_14:                              ;   in Loop: Header=BB46_3 Depth=1
	;; [unrolled: 15-line block ×7, first 2 shown]
	s_or_b64 exec, exec, s[8:9]
	s_waitcnt vmcnt(1)
	ds_bpermute_b32 v2, v96, v92
	ds_bpermute_b32 v3, v96, v93
	s_waitcnt vmcnt(0)
	ds_bpermute_b32 v6, v96, v94
	ds_bpermute_b32 v7, v96, v95
	ds_bpermute_b32 v8, v96, v92 offset:4
	ds_bpermute_b32 v9, v96, v93 offset:4
	s_waitcnt lgkmcnt(4)
	v_add_f64 v[2:3], v[18:19], -v[2:3]
	v_mul_f64 v[2:3], v[34:35], v[2:3]
	s_waitcnt lgkmcnt(2)
	v_fma_f64 v[58:59], v[2:3], v[6:7], v[90:91]
	ds_bpermute_b32 v6, v96, v94 offset:4
	ds_bpermute_b32 v7, v96, v95 offset:4
	;; [unrolled: 1-line block ×4, first 2 shown]
	s_waitcnt lgkmcnt(4)
	v_add_f64 v[8:9], v[20:21], -v[8:9]
	v_mul_f64 v[8:9], v[36:37], v[8:9]
	s_waitcnt lgkmcnt(2)
	v_fmac_f64_e32 v[58:59], v[8:9], v[6:7]
	ds_bpermute_b32 v6, v96, v94 offset:8
	ds_bpermute_b32 v7, v96, v95 offset:8
	s_waitcnt lgkmcnt(2)
	v_add_f64 v[8:9], v[22:23], -v[10:11]
	ds_bpermute_b32 v10, v96, v92 offset:12
	ds_bpermute_b32 v11, v96, v93 offset:12
	v_mul_f64 v[8:9], v[38:39], v[8:9]
	s_waitcnt lgkmcnt(2)
	v_fmac_f64_e32 v[58:59], v[8:9], v[6:7]
	ds_bpermute_b32 v6, v96, v94 offset:12
	ds_bpermute_b32 v7, v96, v95 offset:12
	s_waitcnt lgkmcnt(2)
	v_add_f64 v[8:9], v[24:25], -v[10:11]
	ds_bpermute_b32 v10, v96, v92 offset:16
	ds_bpermute_b32 v11, v96, v93 offset:16
	;; [unrolled: 9-line block ×3, first 2 shown]
	v_mul_f64 v[8:9], v[42:43], v[8:9]
	v_add_f64 v[2:3], v[50:51], v[34:35]
	s_waitcnt lgkmcnt(2)
	v_fmac_f64_e32 v[58:59], v[8:9], v[6:7]
	ds_bpermute_b32 v6, v96, v94 offset:20
	ds_bpermute_b32 v7, v96, v95 offset:20
	v_add_f64 v[2:3], v[36:37], v[2:3]
	v_add_f64 v[2:3], v[38:39], v[2:3]
	s_waitcnt lgkmcnt(2)
	v_add_f64 v[8:9], v[28:29], -v[10:11]
	ds_bpermute_b32 v10, v96, v92 offset:24
	ds_bpermute_b32 v11, v96, v93 offset:24
	v_add_f64 v[2:3], v[40:41], v[2:3]
	v_add_f64 v[2:3], v[42:43], v[2:3]
	v_mul_f64 v[8:9], v[44:45], v[8:9]
	ds_bpermute_b32 v12, v96, v94 offset:24
	ds_bpermute_b32 v13, v96, v95 offset:24
	s_waitcnt lgkmcnt(4)
	v_fmac_f64_e32 v[58:59], v[8:9], v[6:7]
	v_add_f64 v[8:9], v[44:45], v[2:3]
	ds_bpermute_b32 v2, v96, v94 offset:28
	ds_bpermute_b32 v3, v96, v95 offset:28
	;; [unrolled: 1-line block ×4, first 2 shown]
	s_waitcnt lgkmcnt(6)
	v_add_f64 v[10:11], v[30:31], -v[10:11]
	v_mul_f64 v[10:11], v[46:47], v[10:11]
	s_waitcnt lgkmcnt(4)
	v_fmac_f64_e32 v[58:59], v[10:11], v[12:13]
	v_add_f64 v[8:9], v[46:47], v[8:9]
	s_branch .LBB46_40
.LBB46_25:                              ;   in Loop: Header=BB46_3 Depth=1
                                        ; implicit-def: $vgpr2_vgpr3
                                        ; implicit-def: $vgpr18_vgpr19_vgpr20_vgpr21_vgpr22_vgpr23_vgpr24_vgpr25_vgpr26_vgpr27_vgpr28_vgpr29_vgpr30_vgpr31_vgpr32_vgpr33
                                        ; implicit-def: $vgpr34_vgpr35_vgpr36_vgpr37_vgpr38_vgpr39_vgpr40_vgpr41_vgpr42_vgpr43_vgpr44_vgpr45_vgpr46_vgpr47_vgpr48_vgpr49
                                        ; implicit-def: $vgpr6
                                        ; implicit-def: $vgpr8_vgpr9
                                        ; implicit-def: $vgpr58_vgpr59
	s_cbranch_execz .LBB46_40
; %bb.26:                               ;   in Loop: Header=BB46_3 Depth=1
	s_load_dword s8, s[44:45], 0x0
	v_pk_mov_b32 v[92:93], 0, 0
	v_pk_mov_b32 v[58:59], v[92:93], v[92:93] op_sel:[0,1]
	s_waitcnt lgkmcnt(0)
	s_cmp_lt_u32 s6, s8
	s_cselect_b32 s8, 12, 18
	s_add_u32 s8, s44, s8
	s_addc_u32 s9, s45, 0
	global_load_ushort v2, v4, s[8:9]
	s_waitcnt vmcnt(0)
	v_mad_u32_u24 v2, v89, v2, v87
	v_and_b32_e32 v2, 63, v2
	v_cmp_gt_u32_e32 vcc, 8, v2
	s_and_saveexec_b64 s[8:9], vcc
	s_cbranch_execz .LBB46_30
; %bb.27:                               ;   in Loop: Header=BB46_3 Depth=1
	v_add_co_u32_e32 v2, vcc, v97, v2
	v_addc_co_u32_e32 v3, vcc, 0, v98, vcc
	v_add_co_u32_e32 v2, vcc, 0xffffff01, v2
	v_addc_co_u32_e32 v3, vcc, -1, v3, vcc
	v_pk_mov_b32 v[58:59], 0, 0
	v_cmp_gt_i64_e32 vcc, s[36:37], v[2:3]
	v_pk_mov_b32 v[92:93], v[58:59], v[58:59] op_sel:[0,1]
	s_and_saveexec_b64 s[14:15], vcc
	s_cbranch_execz .LBB46_29
; %bb.28:                               ;   in Loop: Header=BB46_3 Depth=1
	v_lshlrev_b64 v[2:3], 3, v[2:3]
	v_mov_b32_e32 v5, s31
	v_add_co_u32_e32 v6, vcc, s30, v2
	v_addc_co_u32_e32 v7, vcc, v5, v3, vcc
	v_mov_b32_e32 v5, s29
	v_add_co_u32_e32 v2, vcc, s28, v2
	v_addc_co_u32_e32 v3, vcc, v5, v3, vcc
	global_load_dwordx2 v[58:59], v[2:3], off
	global_load_dwordx2 v[92:93], v[6:7], off
.LBB46_29:                              ;   in Loop: Header=BB46_3 Depth=1
	s_or_b64 exec, exec, s[14:15]
.LBB46_30:                              ;   in Loop: Header=BB46_3 Depth=1
	s_or_b64 exec, exec, s[8:9]
	s_mov_b32 s26, s12
	s_mov_b32 s27, s12
	;; [unrolled: 1-line block ×15, first 2 shown]
	v_pk_mov_b32 v[32:33], s[26:27], s[26:27] op_sel:[0,1]
	v_pk_mov_b32 v[30:31], s[24:25], s[24:25] op_sel:[0,1]
	;; [unrolled: 1-line block ×16, first 2 shown]
	s_and_saveexec_b64 s[8:9], s[2:3]
	s_cbranch_execnz .LBB46_42
; %bb.31:                               ;   in Loop: Header=BB46_3 Depth=1
	s_or_b64 exec, exec, s[8:9]
	s_and_saveexec_b64 s[8:9], s[2:3]
	s_cbranch_execnz .LBB46_43
.LBB46_32:                              ;   in Loop: Header=BB46_3 Depth=1
	s_or_b64 exec, exec, s[8:9]
	s_and_saveexec_b64 s[8:9], s[2:3]
	s_cbranch_execnz .LBB46_44
.LBB46_33:                              ;   in Loop: Header=BB46_3 Depth=1
	s_or_b64 exec, exec, s[8:9]
	s_and_saveexec_b64 s[8:9], s[2:3]
	s_cbranch_execnz .LBB46_45
.LBB46_34:                              ;   in Loop: Header=BB46_3 Depth=1
	s_or_b64 exec, exec, s[8:9]
	s_and_saveexec_b64 s[8:9], s[2:3]
	s_cbranch_execnz .LBB46_46
.LBB46_35:                              ;   in Loop: Header=BB46_3 Depth=1
	s_or_b64 exec, exec, s[8:9]
	s_and_saveexec_b64 s[8:9], s[2:3]
	s_cbranch_execnz .LBB46_47
.LBB46_36:                              ;   in Loop: Header=BB46_3 Depth=1
	s_or_b64 exec, exec, s[8:9]
	s_and_saveexec_b64 s[8:9], s[2:3]
	s_cbranch_execnz .LBB46_48
.LBB46_37:                              ;   in Loop: Header=BB46_3 Depth=1
	s_or_b64 exec, exec, s[8:9]
	s_and_saveexec_b64 s[8:9], s[2:3]
	s_cbranch_execz .LBB46_39
.LBB46_38:                              ;   in Loop: Header=BB46_3 Depth=1
	v_add_co_u32_e32 v2, vcc, v56, v54
	v_addc_co_u32_e32 v3, vcc, v1, v55, vcc
	global_load_dwordx2 v[48:49], v[2:3], off
	v_add_co_u32_e32 v2, vcc, v60, v54
	v_addc_co_u32_e32 v3, vcc, v53, v55, vcc
	global_load_dwordx2 v[32:33], v[2:3], off
.LBB46_39:                              ;   in Loop: Header=BB46_3 Depth=1
	s_or_b64 exec, exec, s[8:9]
	s_waitcnt vmcnt(1)
	ds_bpermute_b32 v2, v96, v58
	ds_bpermute_b32 v3, v96, v59
	s_waitcnt vmcnt(0)
	ds_bpermute_b32 v6, v96, v92
	ds_bpermute_b32 v7, v96, v93
	ds_bpermute_b32 v8, v96, v58 offset:4
	ds_bpermute_b32 v9, v96, v59 offset:4
	s_waitcnt lgkmcnt(4)
	v_add_f64 v[2:3], v[18:19], -v[2:3]
	v_mul_f64 v[2:3], v[34:35], v[2:3]
	s_waitcnt lgkmcnt(2)
	v_fmac_f64_e32 v[90:91], v[2:3], v[6:7]
	ds_bpermute_b32 v6, v96, v92 offset:4
	ds_bpermute_b32 v7, v96, v93 offset:4
	;; [unrolled: 1-line block ×4, first 2 shown]
	s_waitcnt lgkmcnt(4)
	v_add_f64 v[8:9], v[20:21], -v[8:9]
	v_mul_f64 v[8:9], v[36:37], v[8:9]
	s_waitcnt lgkmcnt(2)
	v_fmac_f64_e32 v[90:91], v[8:9], v[6:7]
	ds_bpermute_b32 v6, v96, v92 offset:8
	ds_bpermute_b32 v7, v96, v93 offset:8
	s_waitcnt lgkmcnt(2)
	v_add_f64 v[8:9], v[22:23], -v[10:11]
	ds_bpermute_b32 v10, v96, v58 offset:12
	ds_bpermute_b32 v11, v96, v59 offset:12
	v_mul_f64 v[8:9], v[38:39], v[8:9]
	s_waitcnt lgkmcnt(2)
	v_fmac_f64_e32 v[90:91], v[8:9], v[6:7]
	ds_bpermute_b32 v6, v96, v92 offset:12
	ds_bpermute_b32 v7, v96, v93 offset:12
	s_waitcnt lgkmcnt(2)
	v_add_f64 v[8:9], v[24:25], -v[10:11]
	ds_bpermute_b32 v10, v96, v58 offset:16
	ds_bpermute_b32 v11, v96, v59 offset:16
	v_mul_f64 v[8:9], v[40:41], v[8:9]
	s_waitcnt lgkmcnt(2)
	v_fmac_f64_e32 v[90:91], v[8:9], v[6:7]
	ds_bpermute_b32 v6, v96, v92 offset:16
	ds_bpermute_b32 v7, v96, v93 offset:16
	s_waitcnt lgkmcnt(2)
	v_add_f64 v[8:9], v[26:27], -v[10:11]
	ds_bpermute_b32 v10, v96, v58 offset:20
	ds_bpermute_b32 v11, v96, v59 offset:20
	v_mul_f64 v[8:9], v[42:43], v[8:9]
	s_waitcnt lgkmcnt(2)
	v_fmac_f64_e32 v[90:91], v[8:9], v[6:7]
	ds_bpermute_b32 v6, v96, v92 offset:20
	ds_bpermute_b32 v7, v96, v93 offset:20
	s_waitcnt lgkmcnt(2)
	v_add_f64 v[8:9], v[28:29], -v[10:11]
	ds_bpermute_b32 v10, v96, v58 offset:24
	ds_bpermute_b32 v11, v96, v59 offset:24
	v_add_f64 v[2:3], v[50:51], v[34:35]
	ds_bpermute_b32 v12, v96, v92 offset:24
	ds_bpermute_b32 v13, v96, v93 offset:24
	v_add_f64 v[2:3], v[36:37], v[2:3]
	v_add_f64 v[2:3], v[38:39], v[2:3]
	;; [unrolled: 1-line block ×3, first 2 shown]
	v_mul_f64 v[8:9], v[44:45], v[8:9]
	s_waitcnt lgkmcnt(2)
	v_add_f64 v[10:11], v[30:31], -v[10:11]
	v_add_f64 v[2:3], v[42:43], v[2:3]
	v_fmac_f64_e32 v[90:91], v[8:9], v[6:7]
	v_mul_f64 v[10:11], v[46:47], v[10:11]
	v_add_f64 v[8:9], v[44:45], v[2:3]
	s_waitcnt lgkmcnt(0)
	v_fmac_f64_e32 v[90:91], v[10:11], v[12:13]
	ds_bpermute_b32 v2, v96, v92 offset:28
	ds_bpermute_b32 v3, v96, v93 offset:28
	;; [unrolled: 1-line block ×4, first 2 shown]
	v_add_f64 v[8:9], v[46:47], v[8:9]
	v_pk_mov_b32 v[58:59], v[90:91], v[90:91] op_sel:[0,1]
.LBB46_40:                              ;   in Loop: Header=BB46_3 Depth=1
	s_waitcnt lgkmcnt(0)
	v_add_f64 v[6:7], v[32:33], -v[6:7]
	v_mul_f64 v[6:7], v[48:49], v[6:7]
	v_fmac_f64_e32 v[58:59], v[6:7], v[2:3]
	v_mov_b32_e32 v2, s47
	v_add_co_u32_e32 v56, vcc, s46, v56
	v_addc_co_u32_e32 v1, vcc, v1, v2, vcc
	v_add_co_u32_e32 v60, vcc, s46, v60
	v_addc_co_u32_e32 v53, vcc, v53, v2, vcc
	;; [unrolled: 2-line block ×15, first 2 shown]
	s_add_u32 s50, s50, s7
	v_add_co_u32_e32 v88, vcc, s46, v88
	s_addc_u32 s51, s51, 0
	v_addc_co_u32_e32 v85, vcc, v85, v2, vcc
	v_pk_mov_b32 v[2:3], s[36:37], s[36:37] op_sel:[0,1]
	s_add_u32 s48, s48, s7
	v_cmp_lt_i64_e32 vcc, s[50:51], v[2:3]
	v_add_f64 v[50:51], v[8:9], v[48:49]
	s_addc_u32 s49, s49, 0
	s_cbranch_vccz .LBB46_50
; %bb.41:                               ;   in Loop: Header=BB46_3 Depth=1
	v_pk_mov_b32 v[90:91], v[58:59], v[58:59] op_sel:[0,1]
	s_branch .LBB46_3
.LBB46_42:                              ;   in Loop: Header=BB46_3 Depth=1
	v_add_co_u32_e32 v2, vcc, v86, v54
	v_addc_co_u32_e32 v3, vcc, v83, v55, vcc
	v_add_co_u32_e32 v6, vcc, v88, v54
	global_load_dwordx2 v[2:3], v[2:3], off
	v_addc_co_u32_e32 v7, vcc, v85, v55, vcc
	global_load_dwordx2 v[18:19], v[6:7], off
	v_mov_b32_e32 v16, v4
	v_mov_b32_e32 v17, v4
	;; [unrolled: 1-line block ×13, first 2 shown]
	s_waitcnt vmcnt(1)
	v_pk_mov_b32 v[48:49], v[16:17], v[16:17] op_sel:[0,1]
	v_mov_b32_e32 v20, v4
	v_mov_b32_e32 v21, v4
	;; [unrolled: 1-line block ×14, first 2 shown]
	v_pk_mov_b32 v[46:47], v[14:15], v[14:15] op_sel:[0,1]
	v_pk_mov_b32 v[44:45], v[12:13], v[12:13] op_sel:[0,1]
	v_pk_mov_b32 v[42:43], v[10:11], v[10:11] op_sel:[0,1]
	v_pk_mov_b32 v[40:41], v[8:9], v[8:9] op_sel:[0,1]
	v_pk_mov_b32 v[38:39], v[6:7], v[6:7] op_sel:[0,1]
	v_pk_mov_b32 v[36:37], v[4:5], v[4:5] op_sel:[0,1]
	v_pk_mov_b32 v[34:35], v[2:3], v[2:3] op_sel:[0,1]
	s_or_b64 exec, exec, s[8:9]
	s_and_saveexec_b64 s[8:9], s[2:3]
	s_cbranch_execz .LBB46_32
.LBB46_43:                              ;   in Loop: Header=BB46_3 Depth=1
	v_add_co_u32_e32 v2, vcc, v82, v54
	v_addc_co_u32_e32 v3, vcc, v79, v55, vcc
	global_load_dwordx2 v[36:37], v[2:3], off
	v_add_co_u32_e32 v2, vcc, v84, v54
	v_addc_co_u32_e32 v3, vcc, v81, v55, vcc
	global_load_dwordx2 v[20:21], v[2:3], off
	s_or_b64 exec, exec, s[8:9]
	s_and_saveexec_b64 s[8:9], s[2:3]
	s_cbranch_execz .LBB46_33
.LBB46_44:                              ;   in Loop: Header=BB46_3 Depth=1
	v_add_co_u32_e32 v2, vcc, v78, v54
	v_addc_co_u32_e32 v3, vcc, v75, v55, vcc
	global_load_dwordx2 v[38:39], v[2:3], off
	v_add_co_u32_e32 v2, vcc, v80, v54
	v_addc_co_u32_e32 v3, vcc, v77, v55, vcc
	global_load_dwordx2 v[22:23], v[2:3], off
	s_or_b64 exec, exec, s[8:9]
	s_and_saveexec_b64 s[8:9], s[2:3]
	s_cbranch_execz .LBB46_34
.LBB46_45:                              ;   in Loop: Header=BB46_3 Depth=1
	v_add_co_u32_e32 v2, vcc, v74, v54
	v_addc_co_u32_e32 v3, vcc, v71, v55, vcc
	global_load_dwordx2 v[40:41], v[2:3], off
	v_add_co_u32_e32 v2, vcc, v76, v54
	v_addc_co_u32_e32 v3, vcc, v73, v55, vcc
	global_load_dwordx2 v[24:25], v[2:3], off
	s_or_b64 exec, exec, s[8:9]
	s_and_saveexec_b64 s[8:9], s[2:3]
	s_cbranch_execz .LBB46_35
.LBB46_46:                              ;   in Loop: Header=BB46_3 Depth=1
	v_add_co_u32_e32 v2, vcc, v70, v54
	v_addc_co_u32_e32 v3, vcc, v67, v55, vcc
	global_load_dwordx2 v[42:43], v[2:3], off
	v_add_co_u32_e32 v2, vcc, v72, v54
	v_addc_co_u32_e32 v3, vcc, v69, v55, vcc
	global_load_dwordx2 v[26:27], v[2:3], off
	s_or_b64 exec, exec, s[8:9]
	s_and_saveexec_b64 s[8:9], s[2:3]
	s_cbranch_execz .LBB46_36
.LBB46_47:                              ;   in Loop: Header=BB46_3 Depth=1
	v_add_co_u32_e32 v2, vcc, v66, v54
	v_addc_co_u32_e32 v3, vcc, v63, v55, vcc
	global_load_dwordx2 v[44:45], v[2:3], off
	v_add_co_u32_e32 v2, vcc, v68, v54
	v_addc_co_u32_e32 v3, vcc, v65, v55, vcc
	global_load_dwordx2 v[28:29], v[2:3], off
	s_or_b64 exec, exec, s[8:9]
	s_and_saveexec_b64 s[8:9], s[2:3]
	s_cbranch_execz .LBB46_37
.LBB46_48:                              ;   in Loop: Header=BB46_3 Depth=1
	v_add_co_u32_e32 v2, vcc, v62, v54
	v_addc_co_u32_e32 v3, vcc, v57, v55, vcc
	global_load_dwordx2 v[46:47], v[2:3], off
	v_add_co_u32_e32 v2, vcc, v64, v54
	v_addc_co_u32_e32 v3, vcc, v61, v55, vcc
	global_load_dwordx2 v[30:31], v[2:3], off
	s_or_b64 exec, exec, s[8:9]
	s_and_saveexec_b64 s[8:9], s[2:3]
	s_cbranch_execnz .LBB46_38
	s_branch .LBB46_39
.LBB46_49:
	s_mov_b64 s[10:11], -1
                                        ; implicit-def: $vgpr50_vgpr51
                                        ; implicit-def: $vgpr58_vgpr59
.LBB46_50:
	s_andn2_b64 vcc, exec, s[10:11]
	s_cbranch_vccnz .LBB46_82
; %bb.51:
	v_pk_mov_b32 v[50:51], 0, 0
	s_and_b64 vcc, exec, s[0:1]
	v_pk_mov_b32 v[58:59], v[50:51], v[50:51] op_sel:[0,1]
	s_cbranch_vccnz .LBB46_82
; %bb.52:
	s_load_dword s0, s[4:5], 0x44
	s_add_u32 s2, s4, 64
	s_addc_u32 s3, s5, 0
	v_bfe_u32 v101, v0, 10, 10
	v_lshlrev_b32_e32 v1, 6, v101
	s_waitcnt lgkmcnt(0)
	s_lshl_b32 s7, s0, 8
	s_add_u32 s24, s34, 0xff
	s_addc_u32 s25, 0, 0
	s_lshl_b64 s[0:1], s[34:35], 3
	v_mov_b32_e32 v2, s1
	v_add_co_u32_e32 v1, vcc, s0, v1
	v_addc_co_u32_e32 v4, vcc, 0, v2, vcc
	v_add_co_u32_e32 v6, vcc, 8, v1
	v_addc_co_u32_e32 v5, vcc, 0, v4, vcc
	v_add_co_u32_e32 v9, vcc, 16, v1
	v_mul_lo_u32 v7, s38, v5
	v_addc_co_u32_e32 v5, vcc, 0, v4, vcc
	v_add_co_u32_e32 v12, vcc, 24, v1
	v_mul_lo_u32 v10, s38, v5
	;; [unrolled: 3-line block ×5, first 2 shown]
	v_addc_co_u32_e32 v5, vcc, 0, v4, vcc
	v_add_co_u32_e32 v24, vcc, 56, v1
	v_lshlrev_b32_e32 v38, 3, v101
	v_addc_co_u32_e32 v1, vcc, 0, v4, vcc
	v_mul_lo_u32 v25, s38, v1
	v_mov_b32_e32 v1, s35
	v_add_co_u32_e32 v27, vcc, s34, v38
	v_pk_mov_b32 v[2:3], s[40:41], s[40:41] op_sel:[0,1]
	v_addc_co_u32_e32 v28, vcc, 0, v1, vcc
	v_mad_u64_u32 v[40:41], s[0:1], s38, v6, v[2:3]
	v_mad_u64_u32 v[42:43], s[0:1], s38, v9, v[2:3]
	;; [unrolled: 1-line block ×7, first 2 shown]
	v_mul_lo_u32 v29, s39, v27
	v_mul_lo_u32 v30, s38, v28
	v_mad_u64_u32 v[2:3], s[0:1], s38, v27, 0
	v_add3_u32 v3, v3, v30, v29
	v_lshlrev_b64 v[2:3], 3, v[2:3]
	v_mul_lo_u32 v22, s38, v5
	v_mov_b32_e32 v31, s41
	v_add_co_u32_e32 v56, vcc, s40, v2
	v_pk_mov_b32 v[4:5], s[42:43], s[42:43] op_sel:[0,1]
	v_mul_lo_u32 v17, s39, v15
	v_addc_co_u32_e32 v1, vcc, v31, v3, vcc
	v_mad_u64_u32 v[66:67], s[0:1], s38, v15, v[4:5]
	v_add3_u32 v47, v17, v47, v16
	v_add3_u32 v67, v17, v67, v16
	v_mov_b32_e32 v16, s43
	v_add_co_u32_e32 v74, vcc, s42, v2
	v_addc_co_u32_e32 v39, vcc, v16, v3, vcc
	v_add_co_u32_e32 v2, vcc, 7, v27
	v_addc_co_u32_e32 v3, vcc, 0, v28, vcc
	v_mad_u64_u32 v[60:61], s[0:1], s38, v6, v[4:5]
	v_mad_u64_u32 v[62:63], s[0:1], s38, v9, v[4:5]
	;; [unrolled: 1-line block ×6, first 2 shown]
	v_mul_lo_u32 v4, s39, v2
	v_mul_lo_u32 v5, s38, v3
	v_mad_u64_u32 v[2:3], s[0:1], s38, v2, 0
	v_add3_u32 v3, v3, v5, v4
	v_add_co_u32_e32 v4, vcc, 6, v27
	v_mul_lo_u32 v8, s39, v6
	v_addc_co_u32_e32 v5, vcc, 0, v28, vcc
	v_add3_u32 v41, v8, v41, v7
	v_add3_u32 v61, v8, v61, v7
	v_mul_lo_u32 v6, s39, v4
	v_mul_lo_u32 v7, s38, v5
	v_mad_u64_u32 v[4:5], s[0:1], s38, v4, 0
	v_add3_u32 v5, v5, v7, v6
	v_add_co_u32_e32 v6, vcc, 5, v27
	v_addc_co_u32_e32 v7, vcc, 0, v28, vcc
	v_mul_lo_u32 v11, s39, v9
	v_mul_lo_u32 v8, s39, v6
	;; [unrolled: 1-line block ×3, first 2 shown]
	v_mad_u64_u32 v[6:7], s[0:1], s38, v6, 0
	v_add3_u32 v7, v7, v9, v8
	v_add_co_u32_e32 v8, vcc, 4, v27
	v_addc_co_u32_e32 v9, vcc, 0, v28, vcc
	v_add3_u32 v43, v11, v43, v10
	v_add3_u32 v63, v11, v63, v10
	v_mul_lo_u32 v10, s39, v8
	v_mul_lo_u32 v11, s38, v9
	v_mad_u64_u32 v[8:9], s[0:1], s38, v8, 0
	v_add3_u32 v9, v9, v11, v10
	v_add_co_u32_e32 v10, vcc, 3, v27
	v_mul_lo_u32 v14, s39, v12
	v_addc_co_u32_e32 v11, vcc, 0, v28, vcc
	v_add3_u32 v45, v14, v45, v13
	v_add3_u32 v65, v14, v65, v13
	v_mul_lo_u32 v12, s39, v10
	v_mul_lo_u32 v13, s38, v11
	v_mad_u64_u32 v[10:11], s[0:1], s38, v10, 0
	v_add3_u32 v11, v11, v13, v12
	v_add_co_u32_e32 v12, vcc, 2, v27
	v_lshlrev_b64 v[2:3], 3, v[2:3]
	v_addc_co_u32_e32 v13, vcc, 0, v28, vcc
	v_add_co_u32_e32 v76, vcc, s40, v2
	v_addc_co_u32_e32 v57, vcc, v31, v3, vcc
	v_add_co_u32_e32 v78, vcc, s42, v2
	v_addc_co_u32_e32 v75, vcc, v16, v3, vcc
	v_lshlrev_b64 v[2:3], 3, v[4:5]
	v_add_co_u32_e32 v80, vcc, s40, v2
	v_addc_co_u32_e32 v77, vcc, v31, v3, vcc
	v_add_co_u32_e32 v82, vcc, s42, v2
	v_addc_co_u32_e32 v79, vcc, v16, v3, vcc
	v_lshlrev_b64 v[2:3], 3, v[6:7]
	;; [unrolled: 5-line block ×4, first 2 shown]
	v_add_co_u32_e32 v92, vcc, s40, v2
	v_mul_lo_u32 v14, s39, v12
	v_mul_lo_u32 v15, s38, v13
	v_mad_u64_u32 v[12:13], s[0:1], s38, v12, 0
	v_addc_co_u32_e32 v89, vcc, v31, v3, vcc
	v_add3_u32 v13, v13, v15, v14
	v_add_co_u32_e32 v94, vcc, s42, v2
	v_addc_co_u32_e32 v91, vcc, v16, v3, vcc
	v_lshlrev_b64 v[2:3], 3, v[12:13]
	v_pk_mov_b32 v[14:15], s[38:39], s[38:39] op_sel:[0,1]
	v_add_co_u32_e32 v96, vcc, s40, v2
	v_mad_u64_u32 v[14:15], s[0:1], s38, v27, v[14:15]
	v_addc_co_u32_e32 v93, vcc, v31, v3, vcc
	v_add3_u32 v15, v29, v15, v30
	v_add_co_u32_e32 v98, vcc, s42, v2
	v_addc_co_u32_e32 v95, vcc, v16, v3, vcc
	v_lshlrev_b64 v[2:3], 3, v[14:15]
	v_add_co_u32_e32 v100, vcc, s40, v2
	v_addc_co_u32_e32 v97, vcc, v31, v3, vcc
	v_add_co_u32_e32 v102, vcc, s42, v2
	v_and_b32_e32 v103, 0x3ff, v0
	v_mov_b32_e32 v4, 0
	v_addc_co_u32_e32 v99, vcc, v16, v3, vcc
	v_add_u32_e32 v2, s33, v103
	v_mov_b32_e32 v3, v4
	v_lshlrev_b64 v[104:105], 3, v[2:3]
	v_mbcnt_lo_u32_b32 v2, -1, 0
	s_mul_i32 s0, s39, s7
	s_mul_hi_u32 s1, s38, s7
	v_mbcnt_hi_u32_b32 v2, -1, v2
	v_mul_lo_u32 v20, s39, v18
	v_mul_lo_u32 v23, s39, v21
	;; [unrolled: 1-line block ×3, first 2 shown]
	s_add_i32 s1, s1, s0
	s_mul_i32 s0, s38, s7
	v_lshlrev_b32_e32 v2, 2, v2
	v_pk_mov_b32 v[58:59], 0, 0
	v_add3_u32 v49, v20, v49, v19
	v_add3_u32 v53, v23, v53, v22
	;; [unrolled: 1-line block ×6, first 2 shown]
	s_mov_b32 s8, 0
	s_lshl_b64 s[26:27], s[0:1], 3
	v_and_b32_e32 v110, 0x100, v2
	v_pk_mov_b32 v[50:51], v[58:59], v[58:59] op_sel:[0,1]
	s_branch .LBB46_56
.LBB46_53:                              ;   in Loop: Header=BB46_56 Depth=1
	s_or_b64 exec, exec, s[10:11]
.LBB46_54:                              ;   in Loop: Header=BB46_56 Depth=1
	s_or_b64 exec, exec, s[0:1]
	v_add_co_u32_e32 v8, vcc, v56, v104
	v_addc_co_u32_e32 v9, vcc, v1, v105, vcc
	global_load_dwordx2 v[12:13], v[8:9], off
	v_add_co_u32_e32 v8, vcc, v74, v104
	v_addc_co_u32_e32 v9, vcc, v39, v105, vcc
	global_load_dwordx2 v[30:31], v[8:9], off
	v_add_co_u32_e32 v8, vcc, v40, v104
	v_addc_co_u32_e32 v9, vcc, v41, v105, vcc
	v_add_co_u32_e32 v10, vcc, v60, v104
	v_addc_co_u32_e32 v11, vcc, v61, v105, vcc
	global_load_dwordx2 v[34:35], v[10:11], off
	global_load_dwordx2 v[24:25], v[8:9], off
	v_add_co_u32_e32 v8, vcc, v42, v104
	v_addc_co_u32_e32 v9, vcc, v43, v105, vcc
	v_add_co_u32_e32 v10, vcc, v62, v104
	v_addc_co_u32_e32 v11, vcc, v63, v105, vcc
	global_load_dwordx2 v[106:107], v[10:11], off
	global_load_dwordx2 v[32:33], v[8:9], off
	v_add_co_u32_e32 v8, vcc, v44, v104
	v_addc_co_u32_e32 v9, vcc, v45, v105, vcc
	global_load_dwordx2 v[22:23], v[8:9], off
	v_add_co_u32_e32 v8, vcc, v64, v104
	v_addc_co_u32_e32 v9, vcc, v65, v105, vcc
	;; [unrolled: 3-line block ×7, first 2 shown]
	v_add_co_u32_e32 v16, vcc, v70, v104
	v_addc_co_u32_e32 v17, vcc, v71, v105, vcc
	global_load_dwordx2 v[16:17], v[16:17], off
	v_add_co_u32_e32 v20, vcc, v54, v104
	v_addc_co_u32_e32 v21, vcc, v55, v105, vcc
	v_add_co_u32_e32 v18, vcc, v72, v104
	global_load_dwordx2 v[8:9], v[8:9], off
	v_addc_co_u32_e32 v19, vcc, v73, v105, vcc
	global_load_dwordx2 v[18:19], v[18:19], off
	s_nop 0
	global_load_dwordx2 v[20:21], v[20:21], off
	s_waitcnt vmcnt(17)
	ds_bpermute_b32 v108, v110, v6
	ds_bpermute_b32 v109, v110, v7
	s_waitcnt vmcnt(16)
	ds_bpermute_b32 v112, v110, v2
	ds_bpermute_b32 v113, v110, v3
	ds_bpermute_b32 v114, v110, v2 offset:4
	ds_bpermute_b32 v115, v110, v3 offset:4
	s_waitcnt vmcnt(14) lgkmcnt(4)
	v_add_f64 v[30:31], v[30:31], -v[108:109]
	ds_bpermute_b32 v108, v110, v6 offset:4
	ds_bpermute_b32 v109, v110, v7 offset:4
	v_mul_f64 v[30:31], v[12:13], v[30:31]
	s_waitcnt lgkmcnt(4)
	v_fmac_f64_e32 v[58:59], v[30:31], v[112:113]
	v_add_f64 v[12:13], v[50:51], v[12:13]
	s_waitcnt vmcnt(13) lgkmcnt(0)
	v_add_f64 v[30:31], v[34:35], -v[108:109]
	ds_bpermute_b32 v34, v110, v6 offset:8
	ds_bpermute_b32 v35, v110, v7 offset:8
	;; [unrolled: 1-line block ×4, first 2 shown]
	s_waitcnt vmcnt(12)
	v_mul_f64 v[30:31], v[24:25], v[30:31]
	v_fmac_f64_e32 v[58:59], v[30:31], v[114:115]
	v_add_f64 v[12:13], v[12:13], v[24:25]
	ds_bpermute_b32 v24, v110, v2 offset:12
	s_waitcnt vmcnt(11) lgkmcnt(3)
	v_add_f64 v[30:31], v[106:107], -v[34:35]
	s_waitcnt vmcnt(10)
	v_mul_f64 v[30:31], v[32:33], v[30:31]
	s_waitcnt lgkmcnt(1)
	v_fmac_f64_e32 v[58:59], v[30:31], v[108:109]
	ds_bpermute_b32 v30, v110, v6 offset:12
	ds_bpermute_b32 v31, v110, v7 offset:12
	v_add_f64 v[12:13], v[12:13], v[32:33]
	ds_bpermute_b32 v25, v110, v3 offset:12
	ds_bpermute_b32 v32, v110, v6 offset:16
	;; [unrolled: 1-line block ×3, first 2 shown]
	s_waitcnt vmcnt(9)
	v_add_f64 v[12:13], v[12:13], v[22:23]
	s_waitcnt vmcnt(8) lgkmcnt(3)
	v_add_f64 v[30:31], v[36:37], -v[30:31]
	v_mul_f64 v[30:31], v[22:23], v[30:31]
	ds_bpermute_b32 v22, v110, v2 offset:16
	ds_bpermute_b32 v23, v110, v3 offset:16
	s_waitcnt lgkmcnt(4)
	v_fmac_f64_e32 v[58:59], v[30:31], v[24:25]
	s_waitcnt vmcnt(7)
	v_add_f64 v[12:13], v[12:13], v[14:15]
	s_waitcnt vmcnt(6) lgkmcnt(2)
	v_add_f64 v[24:25], v[28:29], -v[32:33]
	ds_bpermute_b32 v28, v110, v6 offset:20
	ds_bpermute_b32 v29, v110, v7 offset:20
	v_mul_f64 v[24:25], v[14:15], v[24:25]
	s_waitcnt lgkmcnt(2)
	v_fmac_f64_e32 v[58:59], v[24:25], v[22:23]
	ds_bpermute_b32 v14, v110, v2 offset:20
	ds_bpermute_b32 v15, v110, v3 offset:20
	;; [unrolled: 1-line block ×4, first 2 shown]
	s_waitcnt vmcnt(4) lgkmcnt(4)
	v_add_f64 v[22:23], v[26:27], -v[28:29]
	v_mul_f64 v[22:23], v[10:11], v[22:23]
	s_waitcnt lgkmcnt(2)
	v_fmac_f64_e32 v[58:59], v[22:23], v[14:15]
	v_add_f64 v[10:11], v[12:13], v[10:11]
	ds_bpermute_b32 v12, v110, v2 offset:24
	ds_bpermute_b32 v13, v110, v3 offset:24
	;; [unrolled: 1-line block ×4, first 2 shown]
	s_waitcnt vmcnt(3) lgkmcnt(4)
	v_add_f64 v[14:15], v[16:17], -v[24:25]
	ds_bpermute_b32 v16, v110, v6 offset:28
	ds_bpermute_b32 v17, v110, v7 offset:28
	s_waitcnt vmcnt(2)
	v_mul_f64 v[14:15], v[8:9], v[14:15]
	v_add_f64 v[6:7], v[10:11], v[8:9]
	s_waitcnt vmcnt(1) lgkmcnt(0)
	v_add_f64 v[8:9], v[18:19], -v[16:17]
	v_fmac_f64_e32 v[58:59], v[14:15], v[12:13]
	s_waitcnt vmcnt(0)
	v_mul_f64 v[8:9], v[20:21], v[8:9]
	v_mul_f64 v[8:9], v[8:9], v[2:3]
	v_pk_mov_b32 v[2:3], v[58:59], v[58:59] op_sel:[0,1]
.LBB46_55:                              ;   in Loop: Header=BB46_56 Depth=1
	v_add_f64 v[58:59], v[2:3], v[8:9]
	v_mov_b32_e32 v2, s27
	v_add_co_u32_e32 v40, vcc, s26, v40
	v_addc_co_u32_e32 v41, vcc, v41, v2, vcc
	v_add_co_u32_e32 v42, vcc, s26, v42
	v_addc_co_u32_e32 v43, vcc, v43, v2, vcc
	;; [unrolled: 2-line block ×29, first 2 shown]
	s_add_u32 s34, s34, s7
	v_add_co_u32_e32 v102, vcc, s26, v102
	s_addc_u32 s35, s35, 0
	v_addc_co_u32_e32 v99, vcc, v99, v2, vcc
	v_pk_mov_b32 v[2:3], s[36:37], s[36:37] op_sel:[0,1]
	s_add_u32 s24, s24, s7
	v_cmp_ge_i64_e32 vcc, s[34:35], v[2:3]
	v_add_f64 v[50:51], v[6:7], v[20:21]
	s_addc_u32 s25, s25, 0
	s_cbranch_vccnz .LBB46_82
.LBB46_56:                              ; =>This Inner Loop Header: Depth=1
	v_pk_mov_b32 v[2:3], s[36:37], s[36:37] op_sel:[0,1]
	v_cmp_ge_i64_e32 vcc, s[24:25], v[2:3]
	v_mov_b32_e32 v2, s25
	v_add_co_u32_e64 v111, s[0:1], s24, v38
	v_addc_co_u32_e64 v112, s[0:1], 0, v2, s[0:1]
	s_cbranch_vccz .LBB46_78
; %bb.57:                               ;   in Loop: Header=BB46_56 Depth=1
	s_load_dword s0, s[2:3], 0xc
	v_pk_mov_b32 v[106:107], 0, 0
	v_pk_mov_b32 v[108:109], v[106:107], v[106:107] op_sel:[0,1]
	s_waitcnt lgkmcnt(0)
	s_and_b32 s0, s0, 0xffff
	v_mad_u32_u24 v2, v101, s0, v103
	v_and_b32_e32 v2, 63, v2
	v_cmp_gt_u32_e32 vcc, 8, v2
	s_and_saveexec_b64 s[0:1], vcc
	s_cbranch_execz .LBB46_61
; %bb.58:                               ;   in Loop: Header=BB46_56 Depth=1
	v_add_co_u32_e32 v2, vcc, v111, v2
	v_addc_co_u32_e32 v3, vcc, 0, v112, vcc
	v_add_co_u32_e32 v2, vcc, 0xffffff01, v2
	v_addc_co_u32_e32 v3, vcc, -1, v3, vcc
	v_pk_mov_b32 v[108:109], 0, 0
	v_cmp_gt_i64_e32 vcc, s[36:37], v[2:3]
	v_pk_mov_b32 v[106:107], v[108:109], v[108:109] op_sel:[0,1]
	s_and_saveexec_b64 s[10:11], vcc
	s_cbranch_execz .LBB46_60
; %bb.59:                               ;   in Loop: Header=BB46_56 Depth=1
	v_lshlrev_b64 v[2:3], 3, v[2:3]
	v_mov_b32_e32 v5, s31
	v_add_co_u32_e32 v6, vcc, s30, v2
	v_addc_co_u32_e32 v7, vcc, v5, v3, vcc
	v_mov_b32_e32 v5, s29
	v_add_co_u32_e32 v2, vcc, s28, v2
	v_addc_co_u32_e32 v3, vcc, v5, v3, vcc
	global_load_dwordx2 v[108:109], v[2:3], off
	global_load_dwordx2 v[106:107], v[6:7], off
.LBB46_60:                              ;   in Loop: Header=BB46_56 Depth=1
	s_or_b64 exec, exec, s[10:11]
.LBB46_61:                              ;   in Loop: Header=BB46_56 Depth=1
	s_or_b64 exec, exec, s[0:1]
	s_mov_b32 s22, s8
	s_mov_b32 s23, s8
	;; [unrolled: 1-line block ×15, first 2 shown]
	v_pk_mov_b32 v[36:37], s[22:23], s[22:23] op_sel:[0,1]
	v_add_co_u32_e32 v2, vcc, 0xffffff01, v111
	v_pk_mov_b32 v[22:23], s[8:9], s[8:9] op_sel:[0,1]
	v_addc_co_u32_e32 v3, vcc, -1, v112, vcc
	v_pk_mov_b32 v[34:35], s[20:21], s[20:21] op_sel:[0,1]
	v_pk_mov_b32 v[32:33], s[18:19], s[18:19] op_sel:[0,1]
	;; [unrolled: 1-line block ×7, first 2 shown]
	v_cmp_gt_i64_e32 vcc, s[36:37], v[2:3]
	v_pk_mov_b32 v[8:9], v[24:25], v[24:25] op_sel:[0,1]
	v_pk_mov_b32 v[10:11], v[26:27], v[26:27] op_sel:[0,1]
	;; [unrolled: 1-line block ×7, first 2 shown]
	s_and_saveexec_b64 s[0:1], vcc
	s_cbranch_execz .LBB46_63
; %bb.62:                               ;   in Loop: Header=BB46_56 Depth=1
	v_add_co_u32_e32 v2, vcc, v56, v104
	v_addc_co_u32_e32 v3, vcc, v1, v105, vcc
	v_add_co_u32_e32 v6, vcc, v74, v104
	global_load_dwordx2 v[2:3], v[2:3], off
	v_addc_co_u32_e32 v7, vcc, v39, v105, vcc
	global_load_dwordx2 v[22:23], v[6:7], off
	v_mov_b32_e32 v6, v4
	v_mov_b32_e32 v7, v4
	;; [unrolled: 1-line block ×13, first 2 shown]
	s_waitcnt vmcnt(1)
	v_pk_mov_b32 v[20:21], v[16:17], v[16:17] op_sel:[0,1]
	v_mov_b32_e32 v24, v4
	v_mov_b32_e32 v25, v4
	v_mov_b32_e32 v26, v4
	v_mov_b32_e32 v27, v4
	v_mov_b32_e32 v28, v4
	v_mov_b32_e32 v29, v4
	v_mov_b32_e32 v30, v4
	v_mov_b32_e32 v31, v4
	v_mov_b32_e32 v32, v4
	v_mov_b32_e32 v33, v4
	v_mov_b32_e32 v34, v4
	v_mov_b32_e32 v35, v4
	v_mov_b32_e32 v36, v4
	v_mov_b32_e32 v37, v4
	v_pk_mov_b32 v[18:19], v[14:15], v[14:15] op_sel:[0,1]
	v_pk_mov_b32 v[16:17], v[12:13], v[12:13] op_sel:[0,1]
	v_pk_mov_b32 v[14:15], v[10:11], v[10:11] op_sel:[0,1]
	v_pk_mov_b32 v[12:13], v[8:9], v[8:9] op_sel:[0,1]
	v_pk_mov_b32 v[10:11], v[6:7], v[6:7] op_sel:[0,1]
	v_pk_mov_b32 v[8:9], v[4:5], v[4:5] op_sel:[0,1]
	v_pk_mov_b32 v[6:7], v[2:3], v[2:3] op_sel:[0,1]
.LBB46_63:                              ;   in Loop: Header=BB46_56 Depth=1
	s_or_b64 exec, exec, s[0:1]
	v_add_co_u32_e32 v2, vcc, 0xffffff02, v111
	v_addc_co_u32_e32 v3, vcc, -1, v112, vcc
	v_cmp_gt_i64_e32 vcc, s[36:37], v[2:3]
	s_and_saveexec_b64 s[0:1], vcc
	s_cbranch_execz .LBB46_65
; %bb.64:                               ;   in Loop: Header=BB46_56 Depth=1
	v_add_co_u32_e32 v2, vcc, v100, v104
	v_addc_co_u32_e32 v3, vcc, v97, v105, vcc
	global_load_dwordx2 v[8:9], v[2:3], off
	v_add_co_u32_e32 v2, vcc, v102, v104
	v_addc_co_u32_e32 v3, vcc, v99, v105, vcc
	global_load_dwordx2 v[24:25], v[2:3], off
.LBB46_65:                              ;   in Loop: Header=BB46_56 Depth=1
	s_or_b64 exec, exec, s[0:1]
	v_add_co_u32_e32 v2, vcc, 0xffffff03, v111
	v_addc_co_u32_e32 v3, vcc, -1, v112, vcc
	v_cmp_gt_i64_e32 vcc, s[36:37], v[2:3]
	s_and_saveexec_b64 s[0:1], vcc
	s_cbranch_execz .LBB46_67
; %bb.66:                               ;   in Loop: Header=BB46_56 Depth=1
	v_add_co_u32_e32 v2, vcc, v96, v104
	v_addc_co_u32_e32 v3, vcc, v93, v105, vcc
	global_load_dwordx2 v[10:11], v[2:3], off
	v_add_co_u32_e32 v2, vcc, v98, v104
	v_addc_co_u32_e32 v3, vcc, v95, v105, vcc
	global_load_dwordx2 v[26:27], v[2:3], off
.LBB46_67:                              ;   in Loop: Header=BB46_56 Depth=1
	;; [unrolled: 14-line block ×7, first 2 shown]
	s_or_b64 exec, exec, s[0:1]
	s_waitcnt vmcnt(1)
	ds_bpermute_b32 v2, v110, v108
	ds_bpermute_b32 v3, v110, v109
	s_waitcnt vmcnt(0)
	ds_bpermute_b32 v114, v110, v106
	ds_bpermute_b32 v115, v110, v107
	ds_bpermute_b32 v116, v110, v108 offset:4
	ds_bpermute_b32 v117, v110, v109 offset:4
	s_waitcnt lgkmcnt(4)
	v_add_f64 v[2:3], v[22:23], -v[2:3]
	v_mul_f64 v[2:3], v[6:7], v[2:3]
	s_waitcnt lgkmcnt(2)
	v_fma_f64 v[2:3], v[2:3], v[114:115], v[58:59]
	ds_bpermute_b32 v22, v110, v106 offset:4
	ds_bpermute_b32 v23, v110, v107 offset:4
	;; [unrolled: 1-line block ×4, first 2 shown]
	v_add_f64 v[6:7], v[50:51], v[6:7]
	s_waitcnt lgkmcnt(4)
	v_add_f64 v[24:25], v[24:25], -v[116:117]
	v_mul_f64 v[24:25], v[8:9], v[24:25]
	v_add_f64 v[6:7], v[8:9], v[6:7]
	ds_bpermute_b32 v8, v110, v106 offset:8
	ds_bpermute_b32 v9, v110, v107 offset:8
	s_waitcnt lgkmcnt(4)
	v_fmac_f64_e32 v[2:3], v[24:25], v[22:23]
	s_waitcnt lgkmcnt(2)
	v_add_f64 v[22:23], v[26:27], -v[114:115]
	ds_bpermute_b32 v24, v110, v108 offset:12
	ds_bpermute_b32 v25, v110, v109 offset:12
	v_mul_f64 v[22:23], v[10:11], v[22:23]
	s_waitcnt lgkmcnt(2)
	v_fmac_f64_e32 v[2:3], v[22:23], v[8:9]
	ds_bpermute_b32 v8, v110, v106 offset:12
	ds_bpermute_b32 v9, v110, v107 offset:12
	v_add_f64 v[6:7], v[10:11], v[6:7]
	s_waitcnt lgkmcnt(2)
	v_add_f64 v[10:11], v[28:29], -v[24:25]
	ds_bpermute_b32 v22, v110, v108 offset:16
	ds_bpermute_b32 v23, v110, v109 offset:16
	v_mul_f64 v[10:11], v[12:13], v[10:11]
	s_waitcnt lgkmcnt(2)
	v_fmac_f64_e32 v[2:3], v[10:11], v[8:9]
	v_add_f64 v[6:7], v[12:13], v[6:7]
	ds_bpermute_b32 v8, v110, v106 offset:16
	ds_bpermute_b32 v9, v110, v107 offset:16
	;; [unrolled: 1-line block ×4, first 2 shown]
	s_waitcnt lgkmcnt(4)
	v_add_f64 v[10:11], v[30:31], -v[22:23]
	v_mul_f64 v[10:11], v[14:15], v[10:11]
	s_waitcnt lgkmcnt(2)
	v_fmac_f64_e32 v[2:3], v[10:11], v[8:9]
	ds_bpermute_b32 v8, v110, v106 offset:20
	ds_bpermute_b32 v9, v110, v107 offset:20
	s_waitcnt lgkmcnt(2)
	v_add_f64 v[10:11], v[32:33], -v[12:13]
	ds_bpermute_b32 v12, v110, v108 offset:24
	ds_bpermute_b32 v13, v110, v109 offset:24
	v_mul_f64 v[10:11], v[16:17], v[10:11]
	s_waitcnt lgkmcnt(2)
	v_fmac_f64_e32 v[2:3], v[10:11], v[8:9]
	ds_bpermute_b32 v8, v110, v106 offset:24
	ds_bpermute_b32 v9, v110, v107 offset:24
	s_waitcnt lgkmcnt(2)
	v_add_f64 v[10:11], v[34:35], -v[12:13]
	ds_bpermute_b32 v12, v110, v108 offset:28
	ds_bpermute_b32 v13, v110, v109 offset:28
	v_add_f64 v[6:7], v[14:15], v[6:7]
	ds_bpermute_b32 v14, v110, v106 offset:28
	ds_bpermute_b32 v15, v110, v107 offset:28
	v_mul_f64 v[10:11], v[18:19], v[10:11]
	s_waitcnt lgkmcnt(4)
	v_fmac_f64_e32 v[2:3], v[10:11], v[8:9]
	s_waitcnt lgkmcnt(2)
	v_add_f64 v[8:9], v[36:37], -v[12:13]
	v_add_f64 v[6:7], v[16:17], v[6:7]
	v_mul_f64 v[8:9], v[20:21], v[8:9]
	v_add_f64 v[6:7], v[18:19], v[6:7]
	s_waitcnt lgkmcnt(0)
	v_mul_f64 v[8:9], v[8:9], v[14:15]
	s_branch .LBB46_55
.LBB46_78:                              ;   in Loop: Header=BB46_56 Depth=1
                                        ; implicit-def: $vgpr20_vgpr21
                                        ; implicit-def: $vgpr8_vgpr9
                                        ; implicit-def: $vgpr6_vgpr7
                                        ; implicit-def: $vgpr2_vgpr3
	s_cbranch_execz .LBB46_55
; %bb.79:                               ;   in Loop: Header=BB46_56 Depth=1
	s_load_dword s0, s[2:3], 0x0
	v_pk_mov_b32 v[2:3], 0, 0
	v_pk_mov_b32 v[6:7], v[2:3], v[2:3] op_sel:[0,1]
	s_waitcnt lgkmcnt(0)
	s_cmp_lt_u32 s6, s0
	s_cselect_b32 s0, 12, 18
	s_add_u32 s0, s2, s0
	s_addc_u32 s1, s3, 0
	global_load_ushort v5, v4, s[0:1]
	s_waitcnt vmcnt(0)
	v_mad_u32_u24 v5, v101, v5, v103
	v_and_b32_e32 v5, 63, v5
	v_cmp_gt_u32_e32 vcc, 8, v5
	s_and_saveexec_b64 s[0:1], vcc
	s_cbranch_execz .LBB46_54
; %bb.80:                               ;   in Loop: Header=BB46_56 Depth=1
	v_add_co_u32_e32 v2, vcc, v111, v5
	v_addc_co_u32_e32 v3, vcc, 0, v112, vcc
	v_add_co_u32_e32 v8, vcc, 0xffffff01, v2
	v_addc_co_u32_e32 v9, vcc, -1, v3, vcc
	v_pk_mov_b32 v[6:7], 0, 0
	v_cmp_gt_i64_e32 vcc, s[36:37], v[8:9]
	v_pk_mov_b32 v[2:3], v[6:7], v[6:7] op_sel:[0,1]
	s_and_saveexec_b64 s[10:11], vcc
	s_cbranch_execz .LBB46_53
; %bb.81:                               ;   in Loop: Header=BB46_56 Depth=1
	v_lshlrev_b64 v[2:3], 3, v[8:9]
	v_mov_b32_e32 v5, s31
	v_add_co_u32_e32 v8, vcc, s30, v2
	v_addc_co_u32_e32 v9, vcc, v5, v3, vcc
	v_mov_b32_e32 v5, s29
	v_add_co_u32_e32 v2, vcc, s28, v2
	v_addc_co_u32_e32 v3, vcc, v5, v3, vcc
	global_load_dwordx2 v[6:7], v[2:3], off
	s_nop 0
	global_load_dwordx2 v[2:3], v[8:9], off
	s_branch .LBB46_53
.LBB46_82:
	v_and_b32_e32 v2, 0x3ff, v0
	v_bfe_u32 v0, v0, 10, 10
	v_mad_u32_u24 v1, v0, 33, v2
	v_lshl_add_u32 v3, v1, 3, 0
	v_sub_u32_e32 v1, v1, v0
	s_movk_i32 s0, 0x800
	s_mov_b32 s7, 0
	v_cmp_gt_u32_e32 vcc, s0, v1
	ds_write_b64 v3, v[58:59]
	ds_write_b64 v3, v[50:51] offset:8448
	s_waitcnt lgkmcnt(0)
	s_barrier
	s_and_saveexec_b64 s[0:1], vcc
	s_cbranch_execz .LBB46_92
; %bb.83:
	v_mbcnt_lo_u32_b32 v3, -1, 0
	v_mbcnt_hi_u32_b32 v3, -1, v3
	v_and_b32_e32 v4, 64, v3
	v_add_u32_e32 v4, 64, v4
	v_cmp_eq_u32_e64 s[2:3], 0, v2
	v_xor_b32_e32 v2, 16, v3
	v_cmp_lt_i32_e32 vcc, v2, v4
	v_cndmask_b32_e32 v2, v3, v2, vcc
	v_lshlrev_b32_e32 v10, 2, v2
	v_xor_b32_e32 v2, 8, v3
	v_cmp_lt_i32_e32 vcc, v2, v4
	v_cndmask_b32_e32 v2, v3, v2, vcc
	v_lshlrev_b32_e32 v11, 2, v2
	v_xor_b32_e32 v2, 4, v3
	v_cmp_lt_i32_e32 vcc, v2, v4
	s_load_dwordx4 s[8:11], s[4:5], 0x30
	v_cndmask_b32_e32 v2, v3, v2, vcc
	v_lshlrev_b32_e32 v12, 2, v2
	v_xor_b32_e32 v2, 2, v3
	v_cmp_lt_i32_e32 vcc, v2, v4
	v_cndmask_b32_e32 v2, v3, v2, vcc
	s_lshl_b64 s[4:5], s[6:7], 5
	v_lshlrev_b32_e32 v13, 2, v2
	v_xor_b32_e32 v2, 1, v3
	s_waitcnt lgkmcnt(0)
	s_cmp_lg_u64 s[8:9], 0
	v_cmp_lt_i32_e32 vcc, v2, v4
	v_lshrrev_b32_e32 v0, 6, v1
	s_cselect_b64 s[14:15], -1, 0
	s_cmp_lg_u64 s[10:11], 0
	v_cndmask_b32_e32 v2, v3, v2, vcc
	s_cselect_b64 s[16:17], -1, 0
	v_lshlrev_b32_e32 v14, 2, v2
	s_lshl_b64 s[6:7], s[6:7], 8
	v_lshlrev_b32_e32 v2, 3, v0
	v_mov_b32_e32 v3, s7
	v_add_co_u32_e32 v4, vcc, s6, v2
	v_addc_co_u32_e32 v5, vcc, 0, v3, vcc
	v_mov_b32_e32 v3, s11
	v_add_co_u32_e32 v2, vcc, s10, v4
	v_and_b32_e32 v6, 63, v1
	v_addc_co_u32_e32 v3, vcc, v3, v5, vcc
	v_cmp_gt_u32_e64 s[0:1], 32, v6
	v_mov_b32_e32 v7, s9
	v_add_co_u32_e32 v4, vcc, s8, v4
	v_mad_u32_u24 v6, v6, 33, v0
	v_mov_b32_e32 v1, 0
	s_mov_b64 s[12:13], 0
	v_addc_co_u32_e32 v5, vcc, v7, v5, vcc
	v_lshl_add_u32 v15, v6, 3, 0
	v_mov_b32_e32 v16, s5
                                        ; implicit-def: $vgpr6_vgpr7
                                        ; implicit-def: $vgpr8_vgpr9
	s_branch .LBB46_85
.LBB46_84:                              ;   in Loop: Header=BB46_85 Depth=1
	s_or_b64 exec, exec, s[6:7]
	v_add_co_u32_e32 v0, vcc, 16, v0
	v_addc_co_u32_e32 v1, vcc, 0, v1, vcc
	v_add_co_u32_e32 v2, vcc, 0x80, v2
	v_addc_co_u32_e32 v3, vcc, 0, v3, vcc
	v_add_co_u32_e32 v4, vcc, 0x80, v4
	v_add_u32_e32 v17, -16, v0
	v_addc_co_u32_e32 v5, vcc, 0, v5, vcc
	v_cmp_lt_u32_e32 vcc, 15, v17
	s_or_b64 s[12:13], vcc, s[12:13]
	v_add_u32_e32 v15, 0x80, v15
	s_andn2_b64 exec, exec, s[12:13]
	s_cbranch_execz .LBB46_92
.LBB46_85:                              ; =>This Inner Loop Header: Depth=1
	s_and_saveexec_b64 s[6:7], s[0:1]
	s_cbranch_execz .LBB46_87
; %bb.86:                               ;   in Loop: Header=BB46_85 Depth=1
	ds_read_b64 v[6:7], v15
	ds_read_b64 v[8:9], v15 offset:8448
.LBB46_87:                              ;   in Loop: Header=BB46_85 Depth=1
	s_or_b64 exec, exec, s[6:7]
	s_waitcnt lgkmcnt(1)
	ds_bpermute_b32 v18, v10, v6
	ds_bpermute_b32 v19, v10, v7
	s_waitcnt lgkmcnt(2)
	ds_bpermute_b32 v20, v10, v8
	ds_bpermute_b32 v21, v10, v9
	s_waitcnt lgkmcnt(2)
	v_add_f64 v[6:7], v[6:7], v[18:19]
	ds_bpermute_b32 v18, v11, v6
	ds_bpermute_b32 v19, v11, v7
	s_waitcnt lgkmcnt(2)
	v_add_f64 v[8:9], v[8:9], v[20:21]
	;; [unrolled: 4-line block ×9, first 2 shown]
	v_add_co_u32_e32 v18, vcc, s4, v0
	v_addc_co_u32_e32 v19, vcc, v16, v1, vcc
	v_cmp_gt_i64_e32 vcc, s[38:39], v[18:19]
	s_waitcnt lgkmcnt(0)
	v_add_f64 v[8:9], v[8:9], v[20:21]
	s_and_b64 s[8:9], s[2:3], vcc
	s_and_saveexec_b64 s[6:7], s[8:9]
	s_cbranch_execz .LBB46_84
; %bb.88:                               ;   in Loop: Header=BB46_85 Depth=1
	s_andn2_b64 vcc, exec, s[14:15]
	s_cbranch_vccnz .LBB46_90
; %bb.89:                               ;   in Loop: Header=BB46_85 Depth=1
	global_store_dwordx2 v[4:5], v[6:7], off
.LBB46_90:                              ;   in Loop: Header=BB46_85 Depth=1
	s_andn2_b64 vcc, exec, s[16:17]
	s_cbranch_vccnz .LBB46_84
; %bb.91:                               ;   in Loop: Header=BB46_85 Depth=1
	global_store_dwordx2 v[2:3], v[8:9], off
	s_branch .LBB46_84
.LBB46_92:
	s_endpgm
	.section	.rodata,"a",@progbits
	.p2align	6, 0x0
	.amdhsa_kernel _ZN2at6native12_GLOBAL__N_135GammaBetaBackwardCUDAKernelTemplateIddLj32ELj32ELj256ELb0ELb0ELb0EEEvllPKT_S5_PKT0_S8_PS3_S9_
		.amdhsa_group_segment_fixed_size 0
		.amdhsa_private_segment_fixed_size 0
		.amdhsa_kernarg_size 320
		.amdhsa_user_sgpr_count 6
		.amdhsa_user_sgpr_private_segment_buffer 1
		.amdhsa_user_sgpr_dispatch_ptr 0
		.amdhsa_user_sgpr_queue_ptr 0
		.amdhsa_user_sgpr_kernarg_segment_ptr 1
		.amdhsa_user_sgpr_dispatch_id 0
		.amdhsa_user_sgpr_flat_scratch_init 0
		.amdhsa_user_sgpr_kernarg_preload_length 0
		.amdhsa_user_sgpr_kernarg_preload_offset 0
		.amdhsa_user_sgpr_private_segment_size 0
		.amdhsa_uses_dynamic_stack 0
		.amdhsa_system_sgpr_private_segment_wavefront_offset 0
		.amdhsa_system_sgpr_workgroup_id_x 1
		.amdhsa_system_sgpr_workgroup_id_y 1
		.amdhsa_system_sgpr_workgroup_id_z 0
		.amdhsa_system_sgpr_workgroup_info 0
		.amdhsa_system_vgpr_workitem_id 1
		.amdhsa_next_free_vgpr 118
		.amdhsa_next_free_sgpr 54
		.amdhsa_accum_offset 120
		.amdhsa_reserve_vcc 1
		.amdhsa_reserve_flat_scratch 0
		.amdhsa_float_round_mode_32 0
		.amdhsa_float_round_mode_16_64 0
		.amdhsa_float_denorm_mode_32 3
		.amdhsa_float_denorm_mode_16_64 3
		.amdhsa_dx10_clamp 1
		.amdhsa_ieee_mode 1
		.amdhsa_fp16_overflow 0
		.amdhsa_tg_split 0
		.amdhsa_exception_fp_ieee_invalid_op 0
		.amdhsa_exception_fp_denorm_src 0
		.amdhsa_exception_fp_ieee_div_zero 0
		.amdhsa_exception_fp_ieee_overflow 0
		.amdhsa_exception_fp_ieee_underflow 0
		.amdhsa_exception_fp_ieee_inexact 0
		.amdhsa_exception_int_div_zero 0
	.end_amdhsa_kernel
	.section	.text._ZN2at6native12_GLOBAL__N_135GammaBetaBackwardCUDAKernelTemplateIddLj32ELj32ELj256ELb0ELb0ELb0EEEvllPKT_S5_PKT0_S8_PS3_S9_,"axG",@progbits,_ZN2at6native12_GLOBAL__N_135GammaBetaBackwardCUDAKernelTemplateIddLj32ELj32ELj256ELb0ELb0ELb0EEEvllPKT_S5_PKT0_S8_PS3_S9_,comdat
.Lfunc_end46:
	.size	_ZN2at6native12_GLOBAL__N_135GammaBetaBackwardCUDAKernelTemplateIddLj32ELj32ELj256ELb0ELb0ELb0EEEvllPKT_S5_PKT0_S8_PS3_S9_, .Lfunc_end46-_ZN2at6native12_GLOBAL__N_135GammaBetaBackwardCUDAKernelTemplateIddLj32ELj32ELj256ELb0ELb0ELb0EEEvllPKT_S5_PKT0_S8_PS3_S9_
                                        ; -- End function
	.section	.AMDGPU.csdata,"",@progbits
; Kernel info:
; codeLenInByte = 8892
; NumSgprs: 58
; NumVgprs: 118
; NumAgprs: 0
; TotalNumVgprs: 118
; ScratchSize: 0
; MemoryBound: 1
; FloatMode: 240
; IeeeMode: 1
; LDSByteSize: 0 bytes/workgroup (compile time only)
; SGPRBlocks: 7
; VGPRBlocks: 14
; NumSGPRsForWavesPerEU: 58
; NumVGPRsForWavesPerEU: 118
; AccumOffset: 120
; Occupancy: 4
; WaveLimiterHint : 0
; COMPUTE_PGM_RSRC2:SCRATCH_EN: 0
; COMPUTE_PGM_RSRC2:USER_SGPR: 6
; COMPUTE_PGM_RSRC2:TRAP_HANDLER: 0
; COMPUTE_PGM_RSRC2:TGID_X_EN: 1
; COMPUTE_PGM_RSRC2:TGID_Y_EN: 1
; COMPUTE_PGM_RSRC2:TGID_Z_EN: 0
; COMPUTE_PGM_RSRC2:TIDIG_COMP_CNT: 1
; COMPUTE_PGM_RSRC3_GFX90A:ACCUM_OFFSET: 29
; COMPUTE_PGM_RSRC3_GFX90A:TG_SPLIT: 0
	.section	.text._ZN2at6native12_GLOBAL__N_118cuComputeGradInputIffLb0EEEvPKT_S5_llPKT0_S8_S5_PS3_,"axG",@progbits,_ZN2at6native12_GLOBAL__N_118cuComputeGradInputIffLb0EEEvPKT_S5_llPKT0_S8_S5_PS3_,comdat
	.globl	_ZN2at6native12_GLOBAL__N_118cuComputeGradInputIffLb0EEEvPKT_S5_llPKT0_S8_S5_PS3_ ; -- Begin function _ZN2at6native12_GLOBAL__N_118cuComputeGradInputIffLb0EEEvPKT_S5_llPKT0_S8_S5_PS3_
	.p2align	8
	.type	_ZN2at6native12_GLOBAL__N_118cuComputeGradInputIffLb0EEEvPKT_S5_llPKT0_S8_S5_PS3_,@function
_ZN2at6native12_GLOBAL__N_118cuComputeGradInputIffLb0EEEvPKT_S5_llPKT0_S8_S5_PS3_: ; @_ZN2at6native12_GLOBAL__N_118cuComputeGradInputIffLb0EEEvPKT_S5_llPKT0_S8_S5_PS3_
; %bb.0:
	s_load_dwordx4 s[20:23], s[4:5], 0x10
	s_mov_b32 s28, s7
	s_ashr_i32 s29, s7, 31
	s_waitcnt lgkmcnt(0)
	v_pk_mov_b32 v[2:3], s[20:21], s[20:21] op_sel:[0,1]
	v_cmp_ge_i64_e32 vcc, s[28:29], v[2:3]
	s_cbranch_vccnz .LBB47_47
; %bb.1:
	s_load_dword s0, s[4:5], 0x4c
	s_load_dword s33, s[4:5], 0x44
	s_load_dwordx4 s[24:27], s[4:5], 0x0
	s_load_dwordx8 s[12:19], s[4:5], 0x20
	v_and_b32_e32 v14, 0x3ff, v0
	s_waitcnt lgkmcnt(0)
	s_lshr_b32 s44, s0, 16
	s_and_b32 s45, s0, 0xffff
	v_cmp_gt_u16_e64 s[30:31], s0, 1
	s_cmp_lg_u64 s[16:17], 0
	s_cselect_b64 s[6:7], -1, 0
	s_xor_b32 s1, s22, s23
	s_flbit_i32 s0, s23
	s_ashr_i32 s1, s1, 31
	s_add_i32 s0, s0, -1
	s_add_i32 s1, s1, 32
	s_min_u32 s2, s0, s1
	s_lshl_b64 s[0:1], s[22:23], s2
	s_min_u32 s0, s0, 1
	s_or_b32 s0, s1, s0
	v_cvt_f32_i32_e32 v1, s0
	s_sub_i32 s0, 32, s2
	v_bfe_u32 v15, v0, 10, 10
	s_mul_i32 s46, s44, s45
	v_ldexp_f32 v2, v1, s0
	v_div_scale_f32 v1, s[0:1], v2, v2, 1.0
	v_rcp_f32_e32 v4, v1
	v_mad_u32_u24 v0, v15, s45, v14
	s_ashr_i32 s47, s46, 31
	v_lshlrev_b32_e32 v3, 3, v0
	v_fma_f32 v5, -v1, v4, 1.0
	v_fmac_f32_e32 v4, v5, v4
	v_div_scale_f32 v5, vcc, 1.0, v2, 1.0
	v_mul_f32_e32 v6, v5, v4
	v_fma_f32 v7, -v1, v6, v5
	v_fmac_f32_e32 v6, v7, v4
	v_fma_f32 v1, -v1, v6, v5
	v_div_fmas_f32 v1, v1, v4, v6
	v_add_u32_e32 v4, s46, v0
	v_ashrrev_i32_e32 v5, 31, v4
	v_mov_b32_e32 v6, s47
	v_subrev_co_u32_e32 v4, vcc, s46, v4
	v_lshlrev_b32_e32 v8, 3, v14
	v_div_fixup_f32 v16, v1, v2, 1.0
	v_mov_b32_e32 v1, 0
	v_subb_co_u32_e32 v5, vcc, v5, v6, vcc
	v_cndmask_b32_e64 v6, 0, 1, s[6:7]
	v_cmp_gt_i64_e64 s[6:7], s[22:23], 0
	v_add_u32_e32 v18, 0, v3
	v_mbcnt_lo_u32_b32 v3, -1, 0
	v_cmp_gt_u16_e64 s[34:35], s44, 1
	s_mov_b32 s36, 0
	v_cmp_eq_u32_e64 s[0:1], 0, v15
	v_cmp_ne_u32_e64 s[2:3], 0, v15
	v_cmp_gt_i64_e64 s[4:5], s[22:23], v[0:1]
	v_cndmask_b32_e64 v17, 0, 1, s[6:7]
	v_cmp_ne_u32_e64 s[6:7], 1, v6
	v_pk_mov_b32 v[6:7], s[22:23], s[22:23] op_sel:[0,1]
	v_mbcnt_hi_u32_b32 v19, -1, v3
	v_add_u32_e32 v20, 0, v8
	s_branch .LBB47_4
.LBB47_2:                               ;   in Loop: Header=BB47_4 Depth=1
	s_or_b64 exec, exec, s[10:11]
.LBB47_3:                               ;   in Loop: Header=BB47_4 Depth=1
	s_add_i32 s28, s33, s28
	s_ashr_i32 s29, s28, 31
	v_pk_mov_b32 v[8:9], s[20:21], s[20:21] op_sel:[0,1]
	v_cmp_ge_i64_e32 vcc, s[28:29], v[8:9]
	s_barrier
	s_cbranch_vccnz .LBB47_47
.LBB47_4:                               ; =>This Loop Header: Depth=1
                                        ;     Child Loop BB47_8 Depth 2
                                        ;     Child Loop BB47_19 Depth 2
                                        ;     Child Loop BB47_25 Depth 2
                                        ;     Child Loop BB47_27 Depth 2
                                        ;     Child Loop BB47_41 Depth 2
                                        ;     Child Loop BB47_46 Depth 2
	s_mul_i32 s8, s28, s23
	s_mul_hi_u32 s9, s28, s22
	s_add_i32 s8, s9, s8
	s_mul_i32 s9, s29, s22
	s_add_i32 s9, s8, s9
	s_lshl_b64 s[10:11], s[28:29], 2
	s_add_u32 s38, s12, s10
	s_addc_u32 s39, s13, s11
	s_add_u32 s10, s14, s10
	s_mul_i32 s8, s28, s22
	s_addc_u32 s11, s15, s11
	s_load_dword s29, s[38:39], 0x0
	s_load_dword s48, s[10:11], 0x0
	s_lshl_b64 s[38:39], s[8:9], 2
	s_add_u32 s49, s26, s38
	s_addc_u32 s50, s27, s39
	s_add_u32 s51, s24, s38
	s_addc_u32 s52, s25, s39
	s_and_b64 vcc, exec, s[6:7]
	v_cmp_ne_u32_e64 s[8:9], 1, v17
	s_cbranch_vccnz .LBB47_15
; %bb.5:                                ;   in Loop: Header=BB47_4 Depth=1
	s_mov_b32 s37, s36
	s_and_b64 vcc, exec, s[8:9]
	v_pk_mov_b32 v[8:9], s[36:37], s[36:37] op_sel:[0,1]
	s_cbranch_vccnz .LBB47_14
; %bb.6:                                ;   in Loop: Header=BB47_4 Depth=1
	v_mov_b32_e32 v8, 0
	s_mov_b32 s40, 0
	v_mov_b32_e32 v9, v8
	s_branch .LBB47_8
.LBB47_7:                               ;   in Loop: Header=BB47_8 Depth=2
	s_or_b64 exec, exec, s[10:11]
	s_waitcnt vmcnt(0) lgkmcnt(0)
	v_subrev_f32_e32 v11, s29, v12
	v_mul_f32_e32 v10, v3, v13
	s_add_i32 s40, s40, s46
	v_mul_f32_e32 v3, v11, v10
	s_ashr_i32 s41, s40, 31
	v_mul_f32_e32 v11, s48, v3
	v_cmp_ge_i64_e32 vcc, s[40:41], v[6:7]
	v_pk_add_f32 v[8:9], v[8:9], v[10:11]
	s_cbranch_vccnz .LBB47_14
.LBB47_8:                               ;   Parent Loop BB47_4 Depth=1
                                        ; =>  This Inner Loop Header: Depth=2
	v_add_u32_e32 v10, s40, v0
	v_ashrrev_i32_e32 v11, 31, v10
	v_cmp_gt_i64_e32 vcc, s[22:23], v[10:11]
	v_lshlrev_b64 v[10:11], 2, v[10:11]
	v_mov_b32_e32 v3, 0
	s_and_saveexec_b64 s[42:43], vcc
	s_cbranch_execnz .LBB47_11
; %bb.9:                                ;   in Loop: Header=BB47_8 Depth=2
	s_or_b64 exec, exec, s[42:43]
	v_mov_b32_e32 v12, 0
	s_and_saveexec_b64 s[42:43], vcc
	s_cbranch_execnz .LBB47_12
.LBB47_10:                              ;   in Loop: Header=BB47_8 Depth=2
	s_or_b64 exec, exec, s[42:43]
	v_mov_b32_e32 v13, 0
	s_and_saveexec_b64 s[10:11], vcc
	s_cbranch_execz .LBB47_7
	s_branch .LBB47_13
.LBB47_11:                              ;   in Loop: Header=BB47_8 Depth=2
	v_mov_b32_e32 v3, s17
	v_add_co_u32_e64 v12, s[10:11], s16, v10
	v_addc_co_u32_e64 v13, s[10:11], v3, v11, s[10:11]
	global_load_dword v3, v[12:13], off
	s_or_b64 exec, exec, s[42:43]
	v_mov_b32_e32 v12, 0
	s_and_saveexec_b64 s[42:43], vcc
	s_cbranch_execz .LBB47_10
.LBB47_12:                              ;   in Loop: Header=BB47_8 Depth=2
	v_mov_b32_e32 v13, s50
	v_add_co_u32_e64 v12, s[10:11], s49, v10
	v_addc_co_u32_e64 v13, s[10:11], v13, v11, s[10:11]
	global_load_dword v12, v[12:13], off
	s_or_b64 exec, exec, s[42:43]
	v_mov_b32_e32 v13, 0
	s_and_saveexec_b64 s[10:11], vcc
	s_cbranch_execz .LBB47_7
.LBB47_13:                              ;   in Loop: Header=BB47_8 Depth=2
	v_mov_b32_e32 v13, s52
	v_add_co_u32_e32 v10, vcc, s51, v10
	v_addc_co_u32_e32 v11, vcc, v13, v11, vcc
	global_load_dword v13, v[10:11], off
	s_branch .LBB47_7
.LBB47_14:                              ;   in Loop: Header=BB47_4 Depth=1
	s_cbranch_execz .LBB47_16
	s_branch .LBB47_23
.LBB47_15:                              ;   in Loop: Header=BB47_4 Depth=1
                                        ; implicit-def: $vgpr8_vgpr9
.LBB47_16:                              ;   in Loop: Header=BB47_4 Depth=1
	s_mov_b32 s37, s36
	s_and_b64 vcc, exec, s[8:9]
	v_pk_mov_b32 v[8:9], s[36:37], s[36:37] op_sel:[0,1]
	s_cbranch_vccnz .LBB47_23
; %bb.17:                               ;   in Loop: Header=BB47_4 Depth=1
	v_mov_b32_e32 v8, 0
	s_mov_b32 s10, 0
	v_mov_b32_e32 v9, v8
	s_branch .LBB47_19
.LBB47_18:                              ;   in Loop: Header=BB47_19 Depth=2
	s_or_b64 exec, exec, s[8:9]
	s_waitcnt vmcnt(0) lgkmcnt(0)
	v_subrev_f32_e32 v3, s29, v3
	s_add_i32 s10, s10, s46
	v_mul_f32_e32 v3, v3, v12
	s_ashr_i32 s11, s10, 31
	v_pk_mov_b32 v[10:11], s[22:23], s[22:23] op_sel:[0,1]
	v_mul_f32_e32 v13, s48, v3
	v_cmp_ge_i64_e32 vcc, s[10:11], v[10:11]
	v_pk_add_f32 v[8:9], v[8:9], v[12:13]
	s_cbranch_vccnz .LBB47_23
.LBB47_19:                              ;   Parent Loop BB47_4 Depth=1
                                        ; =>  This Inner Loop Header: Depth=2
	v_add_u32_e32 v10, s10, v0
	v_ashrrev_i32_e32 v11, 31, v10
	v_cmp_gt_i64_e32 vcc, s[22:23], v[10:11]
	v_lshlrev_b64 v[10:11], 2, v[10:11]
	v_mov_b32_e32 v3, 0
	s_and_saveexec_b64 s[40:41], vcc
	s_cbranch_execz .LBB47_21
; %bb.20:                               ;   in Loop: Header=BB47_19 Depth=2
	v_mov_b32_e32 v3, s50
	v_add_co_u32_e64 v12, s[8:9], s49, v10
	v_addc_co_u32_e64 v13, s[8:9], v3, v11, s[8:9]
	global_load_dword v3, v[12:13], off
.LBB47_21:                              ;   in Loop: Header=BB47_19 Depth=2
	s_or_b64 exec, exec, s[40:41]
	v_mov_b32_e32 v12, 0
	s_and_saveexec_b64 s[8:9], vcc
	s_cbranch_execz .LBB47_18
; %bb.22:                               ;   in Loop: Header=BB47_19 Depth=2
	v_mov_b32_e32 v12, s52
	v_add_co_u32_e32 v10, vcc, s51, v10
	v_addc_co_u32_e32 v11, vcc, v12, v11, vcc
	global_load_dword v12, v[10:11], off
	s_branch .LBB47_18
.LBB47_23:                              ;   in Loop: Header=BB47_4 Depth=1
	s_andn2_b64 vcc, exec, s[30:31]
	s_cbranch_vccnz .LBB47_26
; %bb.24:                               ;   in Loop: Header=BB47_4 Depth=1
	v_and_b32_e32 v3, 64, v19
	v_add_u32_e32 v3, 64, v3
	s_mov_b32 s8, s45
.LBB47_25:                              ;   Parent Loop BB47_4 Depth=1
                                        ; =>  This Inner Loop Header: Depth=2
	s_lshr_b32 s9, s8, 1
	v_xor_b32_e32 v10, s9, v19
	v_cmp_lt_i32_e32 vcc, v10, v3
	v_cndmask_b32_e32 v10, v19, v10, vcc
	v_lshlrev_b32_e32 v11, 2, v10
	ds_bpermute_b32 v10, v11, v8
	ds_bpermute_b32 v11, v11, v9
	s_cmp_lt_u32 s8, 4
	s_mov_b32 s8, s9
	s_waitcnt lgkmcnt(0)
	v_pk_add_f32 v[8:9], v[8:9], v[10:11]
	s_cbranch_scc0 .LBB47_25
.LBB47_26:                              ;   in Loop: Header=BB47_4 Depth=1
	s_andn2_b64 vcc, exec, s[34:35]
	s_mov_b32 s37, s44
	s_cbranch_vccnz .LBB47_38
.LBB47_27:                              ;   Parent Loop BB47_4 Depth=1
                                        ; =>  This Inner Loop Header: Depth=2
	s_lshr_b32 s40, s37, 1
	s_and_b32 s10, s37, 0xfffe
	v_cmp_le_u32_e64 s[8:9], s40, v15
	v_cmp_gt_u32_e64 s[10:11], s10, v15
	v_cmp_gt_u32_e32 vcc, s40, v15
	s_and_b64 s[10:11], s[8:9], s[10:11]
	s_and_saveexec_b64 s[8:9], s[10:11]
	s_cbranch_execz .LBB47_29
; %bb.28:                               ;   in Loop: Header=BB47_27 Depth=2
	v_subrev_u32_e32 v3, s40, v15
	v_mad_i32_i24 v3, v3, s45, v14
	v_lshl_add_u32 v3, v3, 3, 0
	ds_write_b64 v3, v[8:9]
.LBB47_29:                              ;   in Loop: Header=BB47_27 Depth=2
	s_or_b64 exec, exec, s[8:9]
	s_waitcnt lgkmcnt(0)
	s_barrier
	s_and_saveexec_b64 s[8:9], vcc
	s_cbranch_execz .LBB47_31
; %bb.30:                               ;   in Loop: Header=BB47_27 Depth=2
	ds_read_b64 v[10:11], v18
	s_waitcnt lgkmcnt(0)
	v_pk_add_f32 v[8:9], v[8:9], v[10:11]
.LBB47_31:                              ;   in Loop: Header=BB47_27 Depth=2
	s_or_b64 exec, exec, s[8:9]
	s_cmp_lt_u32 s37, 4
	s_barrier
	s_cbranch_scc1 .LBB47_33
; %bb.32:                               ;   in Loop: Header=BB47_27 Depth=2
	s_mov_b32 s37, s40
	s_branch .LBB47_27
.LBB47_33:                              ;   in Loop: Header=BB47_4 Depth=1
	s_and_saveexec_b64 s[8:9], s[0:1]
	s_cbranch_execz .LBB47_35
; %bb.34:                               ;   in Loop: Header=BB47_4 Depth=1
	ds_write_b64 v20, v[8:9]
.LBB47_35:                              ;   in Loop: Header=BB47_4 Depth=1
	s_or_b64 exec, exec, s[8:9]
	s_waitcnt lgkmcnt(0)
	s_barrier
	s_and_saveexec_b64 s[8:9], s[2:3]
	s_cbranch_execz .LBB47_37
; %bb.36:                               ;   in Loop: Header=BB47_4 Depth=1
	ds_read_b64 v[8:9], v20
.LBB47_37:                              ;   in Loop: Header=BB47_4 Depth=1
	s_or_b64 exec, exec, s[8:9]
.LBB47_38:                              ;   in Loop: Header=BB47_4 Depth=1
	s_add_u32 s37, s18, s38
	s_addc_u32 s40, s19, s39
	s_and_b64 vcc, exec, s[6:7]
	s_waitcnt lgkmcnt(0)
	v_mul_f32_e32 v21, s48, v16
	s_cbranch_vccnz .LBB47_43
; %bb.39:                               ;   in Loop: Header=BB47_4 Depth=1
	s_and_saveexec_b64 s[10:11], s[4:5]
	s_cbranch_execz .LBB47_42
; %bb.40:                               ;   in Loop: Header=BB47_4 Depth=1
	s_mov_b64 s[38:39], 0
	v_pk_mov_b32 v[10:11], v[4:5], v[4:5] op_sel:[0,1]
	v_pk_mov_b32 v[12:13], v[0:1], v[0:1] op_sel:[0,1]
.LBB47_41:                              ;   Parent Loop BB47_4 Depth=1
                                        ; =>  This Inner Loop Header: Depth=2
	v_lshlrev_b64 v[12:13], 2, v[12:13]
	v_mov_b32_e32 v3, s50
	v_add_co_u32_e32 v22, vcc, s49, v12
	v_addc_co_u32_e32 v23, vcc, v3, v13, vcc
	v_mov_b32_e32 v25, s52
	v_add_co_u32_e32 v24, vcc, s51, v12
	v_addc_co_u32_e32 v25, vcc, v25, v13, vcc
	;; [unrolled: 3-line block ×3, first 2 shown]
	global_load_dword v3, v[24:25], off
	global_load_dword v28, v[22:23], off
	global_load_dword v29, v[26:27], off
	v_mov_b32_e32 v24, s47
	v_add_co_u32_e32 v10, vcc, s46, v10
	v_addc_co_u32_e32 v11, vcc, v11, v24, vcc
	v_mov_b32_e32 v23, s40
	v_add_co_u32_e64 v22, s[8:9], s37, v12
	v_cmp_le_i64_e32 vcc, s[22:23], v[10:11]
	v_addc_co_u32_e64 v23, s[8:9], v23, v13, s[8:9]
	v_ashrrev_i32_e32 v13, 31, v10
	v_mov_b32_e32 v12, v10
	s_or_b64 s[38:39], vcc, s[38:39]
	s_waitcnt vmcnt(2)
	v_mul_f32_e32 v3, v3, v2
	s_waitcnt vmcnt(1)
	v_subrev_f32_e32 v24, s29, v28
	s_waitcnt vmcnt(0)
	v_fma_f32 v3, v3, v29, -v8
	v_mul_f32_e32 v24, s48, v24
	v_fma_f32 v3, -v9, v24, v3
	v_mul_f32_e32 v3, v21, v3
	global_store_dword v[22:23], v3, off
	s_andn2_b64 exec, exec, s[38:39]
	s_cbranch_execnz .LBB47_41
.LBB47_42:                              ;   in Loop: Header=BB47_4 Depth=1
	s_or_b64 exec, exec, s[10:11]
	s_cbranch_execnz .LBB47_3
	s_branch .LBB47_44
.LBB47_43:                              ;   in Loop: Header=BB47_4 Depth=1
.LBB47_44:                              ;   in Loop: Header=BB47_4 Depth=1
	s_and_saveexec_b64 s[10:11], s[4:5]
	s_cbranch_execz .LBB47_2
; %bb.45:                               ;   in Loop: Header=BB47_4 Depth=1
	s_mov_b64 s[38:39], 0
	v_pk_mov_b32 v[10:11], v[4:5], v[4:5] op_sel:[0,1]
	v_pk_mov_b32 v[12:13], v[0:1], v[0:1] op_sel:[0,1]
.LBB47_46:                              ;   Parent Loop BB47_4 Depth=1
                                        ; =>  This Inner Loop Header: Depth=2
	v_lshlrev_b64 v[12:13], 2, v[12:13]
	v_mov_b32_e32 v3, s50
	v_add_co_u32_e32 v22, vcc, s49, v12
	v_addc_co_u32_e32 v23, vcc, v3, v13, vcc
	v_mov_b32_e32 v25, s52
	v_add_co_u32_e32 v24, vcc, s51, v12
	v_addc_co_u32_e32 v25, vcc, v25, v13, vcc
	global_load_dword v3, v[22:23], off
	global_load_dword v26, v[24:25], off
	v_mov_b32_e32 v27, s48
	v_mov_b32_e32 v24, s47
	v_add_co_u32_e32 v10, vcc, s46, v10
	v_addc_co_u32_e32 v11, vcc, v11, v24, vcc
	v_mov_b32_e32 v23, s40
	v_add_co_u32_e64 v22, s[8:9], s37, v12
	v_cmp_le_i64_e32 vcc, s[22:23], v[10:11]
	v_addc_co_u32_e64 v23, s[8:9], v23, v13, s[8:9]
	v_ashrrev_i32_e32 v13, 31, v10
	v_mov_b32_e32 v12, v10
	s_or_b64 s[38:39], vcc, s[38:39]
	s_waitcnt vmcnt(1)
	v_subrev_f32_e32 v3, s29, v3
	s_waitcnt vmcnt(0)
	v_pk_mul_f32 v[24:25], v[26:27], v[2:3]
	v_sub_f32_e32 v3, v24, v8
	v_fma_f32 v3, -v25, v9, v3
	v_mul_f32_e32 v3, v21, v3
	global_store_dword v[22:23], v3, off
	s_andn2_b64 exec, exec, s[38:39]
	s_cbranch_execnz .LBB47_46
	s_branch .LBB47_2
.LBB47_47:
	s_endpgm
	.section	.rodata,"a",@progbits
	.p2align	6, 0x0
	.amdhsa_kernel _ZN2at6native12_GLOBAL__N_118cuComputeGradInputIffLb0EEEvPKT_S5_llPKT0_S8_S5_PS3_
		.amdhsa_group_segment_fixed_size 0
		.amdhsa_private_segment_fixed_size 0
		.amdhsa_kernarg_size 320
		.amdhsa_user_sgpr_count 6
		.amdhsa_user_sgpr_private_segment_buffer 1
		.amdhsa_user_sgpr_dispatch_ptr 0
		.amdhsa_user_sgpr_queue_ptr 0
		.amdhsa_user_sgpr_kernarg_segment_ptr 1
		.amdhsa_user_sgpr_dispatch_id 0
		.amdhsa_user_sgpr_flat_scratch_init 0
		.amdhsa_user_sgpr_kernarg_preload_length 0
		.amdhsa_user_sgpr_kernarg_preload_offset 0
		.amdhsa_user_sgpr_private_segment_size 0
		.amdhsa_uses_dynamic_stack 0
		.amdhsa_system_sgpr_private_segment_wavefront_offset 0
		.amdhsa_system_sgpr_workgroup_id_x 1
		.amdhsa_system_sgpr_workgroup_id_y 1
		.amdhsa_system_sgpr_workgroup_id_z 0
		.amdhsa_system_sgpr_workgroup_info 0
		.amdhsa_system_vgpr_workitem_id 1
		.amdhsa_next_free_vgpr 30
		.amdhsa_next_free_sgpr 53
		.amdhsa_accum_offset 32
		.amdhsa_reserve_vcc 1
		.amdhsa_reserve_flat_scratch 0
		.amdhsa_float_round_mode_32 0
		.amdhsa_float_round_mode_16_64 0
		.amdhsa_float_denorm_mode_32 3
		.amdhsa_float_denorm_mode_16_64 3
		.amdhsa_dx10_clamp 1
		.amdhsa_ieee_mode 1
		.amdhsa_fp16_overflow 0
		.amdhsa_tg_split 0
		.amdhsa_exception_fp_ieee_invalid_op 0
		.amdhsa_exception_fp_denorm_src 0
		.amdhsa_exception_fp_ieee_div_zero 0
		.amdhsa_exception_fp_ieee_overflow 0
		.amdhsa_exception_fp_ieee_underflow 0
		.amdhsa_exception_fp_ieee_inexact 0
		.amdhsa_exception_int_div_zero 0
	.end_amdhsa_kernel
	.section	.text._ZN2at6native12_GLOBAL__N_118cuComputeGradInputIffLb0EEEvPKT_S5_llPKT0_S8_S5_PS3_,"axG",@progbits,_ZN2at6native12_GLOBAL__N_118cuComputeGradInputIffLb0EEEvPKT_S5_llPKT0_S8_S5_PS3_,comdat
.Lfunc_end47:
	.size	_ZN2at6native12_GLOBAL__N_118cuComputeGradInputIffLb0EEEvPKT_S5_llPKT0_S8_S5_PS3_, .Lfunc_end47-_ZN2at6native12_GLOBAL__N_118cuComputeGradInputIffLb0EEEvPKT_S5_llPKT0_S8_S5_PS3_
                                        ; -- End function
	.section	.AMDGPU.csdata,"",@progbits
; Kernel info:
; codeLenInByte = 1684
; NumSgprs: 57
; NumVgprs: 30
; NumAgprs: 0
; TotalNumVgprs: 30
; ScratchSize: 0
; MemoryBound: 0
; FloatMode: 240
; IeeeMode: 1
; LDSByteSize: 0 bytes/workgroup (compile time only)
; SGPRBlocks: 7
; VGPRBlocks: 3
; NumSGPRsForWavesPerEU: 57
; NumVGPRsForWavesPerEU: 30
; AccumOffset: 32
; Occupancy: 8
; WaveLimiterHint : 0
; COMPUTE_PGM_RSRC2:SCRATCH_EN: 0
; COMPUTE_PGM_RSRC2:USER_SGPR: 6
; COMPUTE_PGM_RSRC2:TRAP_HANDLER: 0
; COMPUTE_PGM_RSRC2:TGID_X_EN: 1
; COMPUTE_PGM_RSRC2:TGID_Y_EN: 1
; COMPUTE_PGM_RSRC2:TGID_Z_EN: 0
; COMPUTE_PGM_RSRC2:TIDIG_COMP_CNT: 1
; COMPUTE_PGM_RSRC3_GFX90A:ACCUM_OFFSET: 7
; COMPUTE_PGM_RSRC3_GFX90A:TG_SPLIT: 0
	.section	.text._ZN2at6native12_GLOBAL__N_128layer_norm_grad_input_kernelIffLb0EEEvPKT_S5_PKT0_S8_S5_PS3_i,"axG",@progbits,_ZN2at6native12_GLOBAL__N_128layer_norm_grad_input_kernelIffLb0EEEvPKT_S5_PKT0_S8_S5_PS3_i,comdat
	.globl	_ZN2at6native12_GLOBAL__N_128layer_norm_grad_input_kernelIffLb0EEEvPKT_S5_PKT0_S8_S5_PS3_i ; -- Begin function _ZN2at6native12_GLOBAL__N_128layer_norm_grad_input_kernelIffLb0EEEvPKT_S5_PKT0_S8_S5_PS3_i
	.p2align	8
	.type	_ZN2at6native12_GLOBAL__N_128layer_norm_grad_input_kernelIffLb0EEEvPKT_S5_PKT0_S8_S5_PS3_i,@function
_ZN2at6native12_GLOBAL__N_128layer_norm_grad_input_kernelIffLb0EEEvPKT_S5_PKT0_S8_S5_PS3_i: ; @_ZN2at6native12_GLOBAL__N_128layer_norm_grad_input_kernelIffLb0EEEvPKT_S5_PKT0_S8_S5_PS3_i
; %bb.0:
	s_load_dword s18, s[4:5], 0x30
	s_load_dwordx2 s[16:17], s[4:5], 0x20
	s_load_dwordx8 s[8:15], s[4:5], 0x0
	s_mov_b32 s7, 0
	s_lshl_b64 s[2:3], s[6:7], 2
	s_waitcnt lgkmcnt(0)
	s_ashr_i32 s0, s18, 31
	s_mul_hi_u32 s1, s18, s6
	s_mul_i32 s0, s0, s6
	s_add_i32 s1, s1, s0
	s_add_u32 s12, s12, s2
	s_addc_u32 s13, s13, s3
	s_add_u32 s2, s14, s2
	s_mul_i32 s0, s18, s6
	s_addc_u32 s3, s15, s3
	s_load_dword s19, s[12:13], 0x0
	s_load_dword s20, s[2:3], 0x0
	s_lshl_b64 s[12:13], s[0:1], 2
	s_add_u32 s21, s10, s12
	v_lshlrev_b32_e32 v4, 2, v0
	s_addc_u32 s23, s11, s13
	s_add_u32 s22, s8, s12
	v_or_b32_e32 v1, 3, v4
	s_mov_b32 s6, s7
	s_addc_u32 s24, s9, s13
	v_cmp_gt_u32_e32 vcc, s18, v1
	v_pk_mov_b32 v[2:3], s[6:7], s[6:7] op_sel:[0,1]
	s_and_saveexec_b64 s[2:3], vcc
	s_cbranch_execz .LBB48_12
; %bb.1:
	s_load_dword s0, s[4:5], 0x44
	s_cmp_lg_u64 s[16:17], 0
	s_cselect_b64 s[14:15], -1, 0
	v_mov_b32_e32 v2, 0
	v_cndmask_b32_e64 v3, 0, 1, s[14:15]
	s_waitcnt lgkmcnt(0)
	s_and_b32 s0, s0, 0xffff
	s_lshl_b32 s25, s0, 2
	s_add_u32 s26, s16, 4
	s_addc_u32 s27, s17, 0
	s_add_u32 s28, s16, 8
	s_addc_u32 s29, s17, 0
	s_add_u32 s30, s16, 12
	s_mov_b64 s[6:7], 0
	s_addc_u32 s31, s17, 0
	v_mov_b32_e32 v5, 0
	v_mov_b32_e32 v1, s23
	v_mov_b32_e32 v12, s24
	v_cmp_ne_u32_e64 s[0:1], 1, v3
	v_mov_b32_e32 v3, v2
	s_branch .LBB48_3
.LBB48_2:                               ;   in Loop: Header=BB48_3 Depth=1
	global_load_dword v23, v[6:7], off offset:12
	global_load_dword v24, v[8:9], off offset:12
	s_waitcnt vmcnt(7)
	v_subrev_f32_e32 v6, s19, v15
	s_waitcnt vmcnt(6)
	v_mul_f32_e32 v7, v14, v17
	s_waitcnt vmcnt(5)
	v_subrev_f32_e32 v8, s19, v18
	s_waitcnt vmcnt(4)
	v_mul_f32_e32 v9, v13, v19
	v_mul_f32_e32 v6, v6, v7
	s_waitcnt vmcnt(3)
	v_subrev_f32_e32 v10, s19, v21
	s_waitcnt vmcnt(2)
	v_mul_f32_e32 v11, v20, v22
	v_mul_f32_e32 v8, v8, v9
	;; [unrolled: 1-line block ×3, first 2 shown]
	v_add_u32_e32 v4, s25, v4
	v_mul_f32_e32 v10, v10, v11
	v_mul_f32_e32 v8, s20, v8
	v_pk_add_f32 v[2:3], v[2:3], v[6:7]
	v_add_u32_e32 v13, 3, v4
	v_mul_f32_e32 v10, s20, v10
	v_pk_add_f32 v[2:3], v[2:3], v[8:9]
	v_cmp_le_u32_e32 vcc, s18, v13
	v_pk_add_f32 v[2:3], v[2:3], v[10:11]
	s_or_b64 s[6:7], vcc, s[6:7]
	s_waitcnt vmcnt(1)
	v_subrev_f32_e32 v6, s19, v23
	s_waitcnt vmcnt(0)
	v_mul_f32_e32 v7, v16, v24
	v_mul_f32_e32 v6, v6, v7
	v_mul_f32_e32 v6, s20, v6
	v_pk_add_f32 v[2:3], v[2:3], v[6:7]
	s_andn2_b64 exec, exec, s[6:7]
	s_cbranch_execz .LBB48_11
.LBB48_3:                               ; =>This Inner Loop Header: Depth=1
	s_and_b64 vcc, exec, s[14:15]
	v_mov_b32_e32 v13, 1.0
	v_lshlrev_b64 v[10:11], 2, v[4:5]
	v_mov_b32_e32 v14, 1.0
	s_cbranch_vccz .LBB48_5
; %bb.4:                                ;   in Loop: Header=BB48_3 Depth=1
	v_mov_b32_e32 v7, s17
	v_add_co_u32_e32 v6, vcc, s16, v10
	v_addc_co_u32_e32 v7, vcc, v7, v11, vcc
	global_load_dword v14, v[6:7], off
.LBB48_5:                               ;   in Loop: Header=BB48_3 Depth=1
	v_add_co_u32_e32 v6, vcc, s21, v10
	v_addc_co_u32_e32 v7, vcc, v1, v11, vcc
	v_add_co_u32_e32 v8, vcc, s22, v10
	v_addc_co_u32_e32 v9, vcc, v12, v11, vcc
	global_load_dword v15, v[6:7], off
	global_load_dword v17, v[8:9], off
	s_and_b64 vcc, exec, s[0:1]
	s_cbranch_vccnz .LBB48_7
; %bb.6:                                ;   in Loop: Header=BB48_3 Depth=1
	v_mov_b32_e32 v13, s27
	v_add_co_u32_e32 v18, vcc, s26, v10
	v_addc_co_u32_e32 v19, vcc, v13, v11, vcc
	global_load_dword v13, v[18:19], off
.LBB48_7:                               ;   in Loop: Header=BB48_3 Depth=1
	s_nop 0
	global_load_dword v18, v[6:7], off offset:4
	global_load_dword v19, v[8:9], off offset:4
	s_and_b64 vcc, exec, s[0:1]
	v_mov_b32_e32 v16, 1.0
	v_mov_b32_e32 v20, 1.0
	s_cbranch_vccnz .LBB48_9
; %bb.8:                                ;   in Loop: Header=BB48_3 Depth=1
	v_mov_b32_e32 v21, s29
	v_add_co_u32_e32 v20, vcc, s28, v10
	v_addc_co_u32_e32 v21, vcc, v21, v11, vcc
	global_load_dword v20, v[20:21], off
.LBB48_9:                               ;   in Loop: Header=BB48_3 Depth=1
	s_nop 0
	global_load_dword v21, v[6:7], off offset:8
	global_load_dword v22, v[8:9], off offset:8
	s_and_b64 vcc, exec, s[0:1]
	s_cbranch_vccnz .LBB48_2
; %bb.10:                               ;   in Loop: Header=BB48_3 Depth=1
	v_mov_b32_e32 v16, s31
	v_add_co_u32_e32 v10, vcc, s30, v10
	v_addc_co_u32_e32 v11, vcc, v16, v11, vcc
	global_load_dword v16, v[10:11], off
	s_branch .LBB48_2
.LBB48_11:
	s_or_b64 exec, exec, s[6:7]
.LBB48_12:
	s_or_b64 exec, exec, s[2:3]
	v_cmp_gt_u32_e32 vcc, s18, v4
	s_and_saveexec_b64 s[2:3], vcc
	s_cbranch_execz .LBB48_19
; %bb.13:
	v_mov_b32_e32 v5, 0
	v_lshlrev_b64 v[8:9], 2, v[4:5]
	v_mov_b32_e32 v1, s17
	v_add_co_u32_e32 v6, vcc, s16, v8
	v_addc_co_u32_e32 v7, vcc, v1, v9, vcc
	v_mov_b32_e32 v1, s13
	v_add_co_u32_e32 v5, vcc, s12, v8
	v_addc_co_u32_e32 v1, vcc, v1, v9, vcc
	v_mov_b32_e32 v9, s11
	v_add_co_u32_e32 v8, vcc, s10, v5
	s_cmp_lg_u64 s[16:17], 0
	v_addc_co_u32_e32 v9, vcc, v9, v1, vcc
	v_mov_b32_e32 v11, s9
	v_add_co_u32_e32 v10, vcc, s8, v5
	s_cselect_b64 s[0:1], -1, 0
	v_addc_co_u32_e32 v11, vcc, v11, v1, vcc
	v_cndmask_b32_e64 v1, 0, 1, s[0:1]
	s_mov_b64 s[6:7], 0
	v_cmp_ne_u32_e64 s[0:1], 1, v1
	s_branch .LBB48_16
.LBB48_14:                              ;   in Loop: Header=BB48_16 Depth=1
	global_load_dword v1, v[6:7], off
.LBB48_15:                              ;   in Loop: Header=BB48_16 Depth=1
	global_load_dword v5, v[8:9], off
	global_load_dword v12, v[10:11], off
	v_add_co_u32_e32 v6, vcc, 4, v6
	v_addc_co_u32_e32 v7, vcc, 0, v7, vcc
	v_add_co_u32_e32 v8, vcc, 4, v8
	v_add_u32_e32 v4, 1, v4
	v_addc_co_u32_e32 v9, vcc, 0, v9, vcc
	v_cmp_le_u32_e32 vcc, s18, v4
	s_or_b64 s[6:7], vcc, s[6:7]
	v_add_co_u32_e32 v10, vcc, 4, v10
	v_addc_co_u32_e32 v11, vcc, 0, v11, vcc
	s_waitcnt vmcnt(1) lgkmcnt(0)
	v_subrev_f32_e32 v5, s19, v5
	s_waitcnt vmcnt(0)
	v_mul_f32_e32 v13, v1, v12
	v_mul_f32_e32 v1, v5, v13
	;; [unrolled: 1-line block ×3, first 2 shown]
	v_pk_add_f32 v[2:3], v[2:3], v[12:13]
	s_andn2_b64 exec, exec, s[6:7]
	s_cbranch_execz .LBB48_18
.LBB48_16:                              ; =>This Inner Loop Header: Depth=1
	s_and_b64 vcc, exec, s[0:1]
	s_cbranch_vccz .LBB48_14
; %bb.17:                               ;   in Loop: Header=BB48_16 Depth=1
	v_mov_b32_e32 v1, 1.0
	s_branch .LBB48_15
.LBB48_18:
	s_or_b64 exec, exec, s[6:7]
.LBB48_19:
	s_or_b64 exec, exec, s[2:3]
	v_mbcnt_lo_u32_b32 v1, -1, 0
	v_mbcnt_hi_u32_b32 v5, -1, v1
	v_and_b32_e32 v9, 63, v5
	v_cmp_gt_u32_e32 vcc, 32, v9
	v_cndmask_b32_e64 v1, 0, 1, vcc
	v_lshlrev_b32_e32 v1, 5, v1
	v_add_lshl_u32 v1, v1, v5, 2
	ds_bpermute_b32 v4, v1, v3
	v_cmp_gt_u32_e32 vcc, 48, v9
	v_cndmask_b32_e64 v6, 0, 1, vcc
	v_lshlrev_b32_e32 v6, 4, v6
	v_cmp_gt_u32_e32 vcc, 56, v9
	s_waitcnt lgkmcnt(0)
	v_add_f32_e32 v4, v3, v4
	v_add_lshl_u32 v3, v6, v5, 2
	ds_bpermute_b32 v6, v3, v4
	v_cndmask_b32_e64 v7, 0, 1, vcc
	v_lshlrev_b32_e32 v7, 3, v7
	v_cmp_gt_u32_e32 vcc, 60, v9
	v_cndmask_b32_e64 v8, 0, 1, vcc
	s_waitcnt lgkmcnt(0)
	v_add_f32_e32 v4, v4, v6
	v_add_lshl_u32 v6, v7, v5, 2
	ds_bpermute_b32 v7, v6, v4
	v_lshlrev_b32_e32 v8, 2, v8
	v_cmp_gt_u32_e32 vcc, 62, v9
	v_cndmask_b32_e64 v10, 0, 1, vcc
	v_lshlrev_b32_e32 v10, 1, v10
	s_waitcnt lgkmcnt(0)
	v_add_f32_e32 v4, v4, v7
	v_add_lshl_u32 v7, v8, v5, 2
	ds_bpermute_b32 v8, v7, v4
	v_cmp_ne_u32_e32 vcc, 63, v9
	s_waitcnt lgkmcnt(0)
	s_barrier
	v_add_f32_e32 v4, v4, v8
	v_add_lshl_u32 v8, v10, v5, 2
	ds_bpermute_b32 v11, v8, v4
	v_addc_co_u32_e32 v5, vcc, 0, v5, vcc
	v_lshlrev_b32_e32 v9, 2, v5
	v_and_b32_e32 v10, 63, v0
	s_waitcnt lgkmcnt(0)
	v_add_f32_e32 v4, v4, v11
	ds_bpermute_b32 v11, v9, v4
	v_cmp_eq_u32_e32 vcc, 0, v10
	v_lshrrev_b32_e32 v5, 4, v0
	s_and_saveexec_b64 s[0:1], vcc
	s_cbranch_execz .LBB48_21
; %bb.20:
	v_add_u32_e32 v12, 0, v5
	s_waitcnt lgkmcnt(0)
	v_add_f32_e32 v4, v4, v11
	ds_write_b32 v12, v4
.LBB48_21:
	s_or_b64 exec, exec, s[0:1]
	s_waitcnt lgkmcnt(0)
	s_barrier
	s_load_dword s8, s[4:5], 0x44
	v_mov_b32_e32 v4, 0
	v_lshl_add_u32 v10, v10, 2, 0
	s_waitcnt lgkmcnt(0)
	s_bfe_u32 s0, s8, 0xa0006
	v_cmp_gt_u32_e64 s[0:1], s0, v0
	s_and_saveexec_b64 s[2:3], s[0:1]
	s_cbranch_execz .LBB48_23
; %bb.22:
	ds_read_b32 v4, v10
.LBB48_23:
	s_or_b64 exec, exec, s[2:3]
	v_cmp_gt_u32_e64 s[2:3], 64, v0
	s_and_saveexec_b64 s[6:7], s[2:3]
	s_cbranch_execz .LBB48_25
; %bb.24:
	s_waitcnt lgkmcnt(0)
	ds_bpermute_b32 v11, v1, v4
	s_waitcnt lgkmcnt(0)
	v_add_f32_e32 v4, v4, v11
	ds_bpermute_b32 v11, v3, v4
	s_waitcnt lgkmcnt(0)
	v_add_f32_e32 v4, v4, v11
	;; [unrolled: 3-line block ×6, first 2 shown]
.LBB48_25:
	s_or_b64 exec, exec, s[6:7]
	ds_bpermute_b32 v11, v1, v2
	s_waitcnt lgkmcnt(0)
	s_barrier
	v_add_f32_e32 v2, v2, v11
	ds_bpermute_b32 v11, v3, v2
	s_waitcnt lgkmcnt(0)
	v_add_f32_e32 v2, v2, v11
	ds_bpermute_b32 v11, v6, v2
	s_waitcnt lgkmcnt(0)
	;; [unrolled: 3-line block ×4, first 2 shown]
	v_add_f32_e32 v2, v2, v11
	ds_bpermute_b32 v11, v9, v2
	s_and_saveexec_b64 s[6:7], vcc
	s_cbranch_execz .LBB48_27
; %bb.26:
	v_add_u32_e32 v5, 0, v5
	s_waitcnt lgkmcnt(0)
	v_add_f32_e32 v2, v2, v11
	ds_write_b32 v5, v2
.LBB48_27:
	s_or_b64 exec, exec, s[6:7]
	v_mov_b32_e32 v5, 0
	s_waitcnt lgkmcnt(0)
	s_barrier
	s_and_saveexec_b64 s[6:7], s[0:1]
	s_cbranch_execnz .LBB48_38
; %bb.28:
	s_or_b64 exec, exec, s[6:7]
	s_and_saveexec_b64 s[0:1], s[2:3]
	s_cbranch_execnz .LBB48_39
.LBB48_29:
	s_or_b64 exec, exec, s[0:1]
	v_cmp_eq_u32_e32 vcc, 0, v0
	s_and_saveexec_b64 s[0:1], vcc
	s_cbranch_execz .LBB48_31
.LBB48_30:
	v_mov_b32_e32 v1, 0
	s_waitcnt lgkmcnt(0)
	ds_write_b64 v1, v[4:5]
.LBB48_31:
	s_or_b64 exec, exec, s[0:1]
	v_cmp_gt_i32_e32 vcc, s18, v0
	s_waitcnt lgkmcnt(0)
	s_barrier
	s_and_saveexec_b64 s[0:1], vcc
	s_cbranch_execz .LBB48_37
; %bb.32:
	v_cvt_f32_i32_e32 v6, s18
	v_mov_b32_e32 v1, 0
	ds_read_b64 v[2:3], v1
	s_and_b32 s6, s8, 0xffff
	v_div_scale_f32 v4, s[0:1], v6, v6, 1.0
	v_rcp_f32_e32 v5, v4
	s_load_dwordx2 s[0:1], s[4:5], 0x28
	v_div_scale_f32 v1, vcc, 1.0, v6, 1.0
	v_fma_f32 v7, -v4, v5, 1.0
	v_fmac_f32_e32 v5, v7, v5
	v_mul_f32_e32 v7, v1, v5
	v_fma_f32 v8, -v4, v7, v1
	v_fmac_f32_e32 v7, v8, v5
	s_waitcnt lgkmcnt(0)
	s_add_u32 s4, s0, s12
	v_fma_f32 v1, -v4, v7, v1
	s_addc_u32 s5, s1, s13
	v_div_fmas_f32 v1, v1, v5, v7
	s_cmp_lg_u64 s[16:17], 0
	v_div_fixup_f32 v1, v1, v6, 1.0
	s_cselect_b64 s[0:1], -1, 0
	v_mul_f32_e32 v7, s20, v1
	v_cndmask_b32_e64 v1, 0, 1, s[0:1]
	s_mov_b64 s[2:3], 0
	v_mov_b32_e32 v8, s23
	v_mov_b32_e32 v9, s24
	v_cmp_ne_u32_e64 s[0:1], 1, v1
	v_mov_b32_e32 v10, s5
	s_branch .LBB48_35
.LBB48_33:                              ;   in Loop: Header=BB48_35 Depth=1
	v_mov_b32_e32 v13, s17
	v_add_co_u32_e32 v12, vcc, s16, v4
	v_addc_co_u32_e32 v13, vcc, v13, v5, vcc
	global_load_dword v12, v[12:13], off
.LBB48_34:                              ;   in Loop: Header=BB48_35 Depth=1
	s_waitcnt vmcnt(1)
	v_subrev_f32_e32 v1, s19, v1
	v_mul_f32_e32 v1, s20, v1
	s_waitcnt vmcnt(0)
	v_mul_f32_e32 v12, v12, v6
	v_mul_f32_e32 v1, v3, v1
	v_add_co_u32_e32 v4, vcc, s4, v4
	v_fma_f32 v1, v11, v12, -v1
	v_addc_co_u32_e32 v5, vcc, v10, v5, vcc
	v_add_u32_e32 v0, s6, v0
	v_sub_f32_e32 v1, v1, v2
	v_cmp_le_i32_e32 vcc, s18, v0
	v_mul_f32_e32 v1, v7, v1
	s_or_b64 s[2:3], vcc, s[2:3]
	global_store_dword v[4:5], v1, off
	s_andn2_b64 exec, exec, s[2:3]
	s_cbranch_execz .LBB48_37
.LBB48_35:                              ; =>This Inner Loop Header: Depth=1
	v_ashrrev_i32_e32 v1, 31, v0
	v_lshlrev_b64 v[4:5], 2, v[0:1]
	v_add_co_u32_e32 v12, vcc, s21, v4
	v_addc_co_u32_e32 v13, vcc, v8, v5, vcc
	global_load_dword v1, v[12:13], off
	v_add_co_u32_e32 v12, vcc, s22, v4
	v_addc_co_u32_e32 v13, vcc, v9, v5, vcc
	global_load_dword v11, v[12:13], off
	s_and_b64 vcc, exec, s[0:1]
	s_cbranch_vccz .LBB48_33
; %bb.36:                               ;   in Loop: Header=BB48_35 Depth=1
	v_mov_b32_e32 v12, 1.0
	s_branch .LBB48_34
.LBB48_37:
	s_endpgm
.LBB48_38:
	ds_read_b32 v5, v10
	s_or_b64 exec, exec, s[6:7]
	s_and_saveexec_b64 s[0:1], s[2:3]
	s_cbranch_execz .LBB48_29
.LBB48_39:
	s_waitcnt lgkmcnt(0)
	ds_bpermute_b32 v1, v1, v5
	s_waitcnt lgkmcnt(0)
	v_add_f32_e32 v1, v5, v1
	ds_bpermute_b32 v2, v3, v1
	s_waitcnt lgkmcnt(0)
	v_add_f32_e32 v1, v1, v2
	;; [unrolled: 3-line block ×6, first 2 shown]
	s_or_b64 exec, exec, s[0:1]
	v_cmp_eq_u32_e32 vcc, 0, v0
	s_and_saveexec_b64 s[0:1], vcc
	s_cbranch_execnz .LBB48_30
	s_branch .LBB48_31
	.section	.rodata,"a",@progbits
	.p2align	6, 0x0
	.amdhsa_kernel _ZN2at6native12_GLOBAL__N_128layer_norm_grad_input_kernelIffLb0EEEvPKT_S5_PKT0_S8_S5_PS3_i
		.amdhsa_group_segment_fixed_size 0
		.amdhsa_private_segment_fixed_size 0
		.amdhsa_kernarg_size 312
		.amdhsa_user_sgpr_count 6
		.amdhsa_user_sgpr_private_segment_buffer 1
		.amdhsa_user_sgpr_dispatch_ptr 0
		.amdhsa_user_sgpr_queue_ptr 0
		.amdhsa_user_sgpr_kernarg_segment_ptr 1
		.amdhsa_user_sgpr_dispatch_id 0
		.amdhsa_user_sgpr_flat_scratch_init 0
		.amdhsa_user_sgpr_kernarg_preload_length 0
		.amdhsa_user_sgpr_kernarg_preload_offset 0
		.amdhsa_user_sgpr_private_segment_size 0
		.amdhsa_uses_dynamic_stack 0
		.amdhsa_system_sgpr_private_segment_wavefront_offset 0
		.amdhsa_system_sgpr_workgroup_id_x 1
		.amdhsa_system_sgpr_workgroup_id_y 0
		.amdhsa_system_sgpr_workgroup_id_z 0
		.amdhsa_system_sgpr_workgroup_info 0
		.amdhsa_system_vgpr_workitem_id 0
		.amdhsa_next_free_vgpr 25
		.amdhsa_next_free_sgpr 32
		.amdhsa_accum_offset 28
		.amdhsa_reserve_vcc 1
		.amdhsa_reserve_flat_scratch 0
		.amdhsa_float_round_mode_32 0
		.amdhsa_float_round_mode_16_64 0
		.amdhsa_float_denorm_mode_32 3
		.amdhsa_float_denorm_mode_16_64 3
		.amdhsa_dx10_clamp 1
		.amdhsa_ieee_mode 1
		.amdhsa_fp16_overflow 0
		.amdhsa_tg_split 0
		.amdhsa_exception_fp_ieee_invalid_op 0
		.amdhsa_exception_fp_denorm_src 0
		.amdhsa_exception_fp_ieee_div_zero 0
		.amdhsa_exception_fp_ieee_overflow 0
		.amdhsa_exception_fp_ieee_underflow 0
		.amdhsa_exception_fp_ieee_inexact 0
		.amdhsa_exception_int_div_zero 0
	.end_amdhsa_kernel
	.section	.text._ZN2at6native12_GLOBAL__N_128layer_norm_grad_input_kernelIffLb0EEEvPKT_S5_PKT0_S8_S5_PS3_i,"axG",@progbits,_ZN2at6native12_GLOBAL__N_128layer_norm_grad_input_kernelIffLb0EEEvPKT_S5_PKT0_S8_S5_PS3_i,comdat
.Lfunc_end48:
	.size	_ZN2at6native12_GLOBAL__N_128layer_norm_grad_input_kernelIffLb0EEEvPKT_S5_PKT0_S8_S5_PS3_i, .Lfunc_end48-_ZN2at6native12_GLOBAL__N_128layer_norm_grad_input_kernelIffLb0EEEvPKT_S5_PKT0_S8_S5_PS3_i
                                        ; -- End function
	.section	.AMDGPU.csdata,"",@progbits
; Kernel info:
; codeLenInByte = 2008
; NumSgprs: 36
; NumVgprs: 25
; NumAgprs: 0
; TotalNumVgprs: 25
; ScratchSize: 0
; MemoryBound: 0
; FloatMode: 240
; IeeeMode: 1
; LDSByteSize: 0 bytes/workgroup (compile time only)
; SGPRBlocks: 4
; VGPRBlocks: 3
; NumSGPRsForWavesPerEU: 36
; NumVGPRsForWavesPerEU: 25
; AccumOffset: 28
; Occupancy: 8
; WaveLimiterHint : 0
; COMPUTE_PGM_RSRC2:SCRATCH_EN: 0
; COMPUTE_PGM_RSRC2:USER_SGPR: 6
; COMPUTE_PGM_RSRC2:TRAP_HANDLER: 0
; COMPUTE_PGM_RSRC2:TGID_X_EN: 1
; COMPUTE_PGM_RSRC2:TGID_Y_EN: 0
; COMPUTE_PGM_RSRC2:TGID_Z_EN: 0
; COMPUTE_PGM_RSRC2:TIDIG_COMP_CNT: 0
; COMPUTE_PGM_RSRC3_GFX90A:ACCUM_OFFSET: 6
; COMPUTE_PGM_RSRC3_GFX90A:TG_SPLIT: 0
	.section	.text._ZN2at6native12_GLOBAL__N_133GammaBetaBackwardSimpleCUDAKernelIffLb0EEEvllPKT_S5_PKT0_S8_PS3_S9_,"axG",@progbits,_ZN2at6native12_GLOBAL__N_133GammaBetaBackwardSimpleCUDAKernelIffLb0EEEvllPKT_S5_PKT0_S8_PS3_S9_,comdat
	.globl	_ZN2at6native12_GLOBAL__N_133GammaBetaBackwardSimpleCUDAKernelIffLb0EEEvllPKT_S5_PKT0_S8_PS3_S9_ ; -- Begin function _ZN2at6native12_GLOBAL__N_133GammaBetaBackwardSimpleCUDAKernelIffLb0EEEvllPKT_S5_PKT0_S8_PS3_S9_
	.p2align	8
	.type	_ZN2at6native12_GLOBAL__N_133GammaBetaBackwardSimpleCUDAKernelIffLb0EEEvllPKT_S5_PKT0_S8_PS3_S9_,@function
_ZN2at6native12_GLOBAL__N_133GammaBetaBackwardSimpleCUDAKernelIffLb0EEEvllPKT_S5_PKT0_S8_PS3_S9_: ; @_ZN2at6native12_GLOBAL__N_133GammaBetaBackwardSimpleCUDAKernelIffLb0EEEvllPKT_S5_PKT0_S8_PS3_S9_
; %bb.0:
	s_load_dword s0, s[4:5], 0x4c
	s_load_dwordx16 s[8:23], s[4:5], 0x0
	v_mov_b32_e32 v1, 0
	v_mov_b32_e32 v2, s6
	s_waitcnt lgkmcnt(0)
	s_and_b32 s0, s0, 0xffff
	v_mad_u64_u32 v[2:3], s[0:1], s0, v2, v[0:1]
	v_cmp_gt_i64_e32 vcc, s[10:11], v[2:3]
	s_and_saveexec_b64 s[0:1], vcc
	s_cbranch_execz .LBB49_12
; %bb.1:
	v_cmp_lt_i64_e64 s[0:1], s[8:9], 1
	s_and_b64 vcc, exec, s[0:1]
	v_lshlrev_b64 v[2:3], 2, v[2:3]
	v_mov_b32_e32 v0, 0
	s_cbranch_vccnz .LBB49_8
; %bb.2:
	s_cmp_lg_u64 s[20:21], 0
	s_cselect_b64 s[0:1], -1, 0
	s_cmp_lg_u64 s[22:23], 0
	s_cselect_b64 s[2:3], -1, 0
	v_cndmask_b32_e64 v0, 0, 1, s[0:1]
	s_lshl_b64 s[4:5], s[10:11], 2
	v_cmp_ne_u32_e64 s[0:1], 1, v0
	v_cndmask_b32_e64 v0, 0, 1, s[2:3]
	v_mov_b32_e32 v1, 0
	v_cmp_ne_u32_e64 s[2:3], 1, v0
	v_mov_b32_e32 v6, s5
	v_pk_mov_b32 v[4:5], v[2:3], v[2:3] op_sel:[0,1]
	v_mov_b32_e32 v0, 0
	s_branch .LBB49_4
.LBB49_3:                               ;   in Loop: Header=BB49_4 Depth=1
	s_add_u32 s8, s8, -1
	s_addc_u32 s9, s9, -1
	s_add_u32 s18, s18, 4
	s_addc_u32 s19, s19, 0
	s_add_u32 s16, s16, 4
	s_addc_u32 s17, s17, 0
	v_add_co_u32_e32 v4, vcc, s4, v4
	v_add_f32_e32 v1, v1, v7
	s_waitcnt vmcnt(0)
	v_add_f32_e32 v0, v0, v8
	s_cmp_eq_u64 s[8:9], 0
	v_addc_co_u32_e32 v5, vcc, v5, v6, vcc
	s_cbranch_scc1 .LBB49_8
.LBB49_4:                               ; =>This Inner Loop Header: Depth=1
	s_and_b64 vcc, exec, s[0:1]
	v_mov_b32_e32 v7, 0
	s_cbranch_vccnz .LBB49_6
; %bb.5:                                ;   in Loop: Header=BB49_4 Depth=1
	v_mov_b32_e32 v7, s13
	v_add_co_u32_e32 v8, vcc, s12, v4
	v_addc_co_u32_e32 v9, vcc, v7, v5, vcc
	v_mov_b32_e32 v7, s15
	v_add_co_u32_e32 v10, vcc, s14, v4
	v_addc_co_u32_e32 v11, vcc, v7, v5, vcc
	global_load_dword v7, v[10:11], off
	global_load_dword v12, v[8:9], off
	s_load_dword s5, s[16:17], 0x0
	s_load_dword s6, s[18:19], 0x0
	s_waitcnt vmcnt(1) lgkmcnt(0)
	v_subrev_f32_e32 v7, s5, v7
	s_waitcnt vmcnt(0)
	v_mul_f32_e32 v7, v12, v7
	v_mul_f32_e32 v7, s6, v7
.LBB49_6:                               ;   in Loop: Header=BB49_4 Depth=1
	s_and_b64 vcc, exec, s[2:3]
	v_mov_b32_e32 v8, 0
	s_cbranch_vccnz .LBB49_3
; %bb.7:                                ;   in Loop: Header=BB49_4 Depth=1
	v_mov_b32_e32 v9, s13
	v_add_co_u32_e32 v8, vcc, s12, v4
	v_addc_co_u32_e32 v9, vcc, v9, v5, vcc
	global_load_dword v8, v[8:9], off
	s_branch .LBB49_3
.LBB49_8:
	s_cmp_lg_u64 s[20:21], 0
	s_cbranch_scc0 .LBB49_10
; %bb.9:
	v_mov_b32_e32 v5, s21
	v_add_co_u32_e32 v4, vcc, s20, v2
	v_addc_co_u32_e32 v5, vcc, v5, v3, vcc
	global_store_dword v[4:5], v1, off
.LBB49_10:
	s_cmp_eq_u64 s[22:23], 0
	s_cbranch_scc1 .LBB49_12
; %bb.11:
	v_mov_b32_e32 v1, s23
	v_add_co_u32_e32 v2, vcc, s22, v2
	v_addc_co_u32_e32 v3, vcc, v1, v3, vcc
	global_store_dword v[2:3], v0, off
.LBB49_12:
	s_endpgm
	.section	.rodata,"a",@progbits
	.p2align	6, 0x0
	.amdhsa_kernel _ZN2at6native12_GLOBAL__N_133GammaBetaBackwardSimpleCUDAKernelIffLb0EEEvllPKT_S5_PKT0_S8_PS3_S9_
		.amdhsa_group_segment_fixed_size 0
		.amdhsa_private_segment_fixed_size 0
		.amdhsa_kernarg_size 320
		.amdhsa_user_sgpr_count 6
		.amdhsa_user_sgpr_private_segment_buffer 1
		.amdhsa_user_sgpr_dispatch_ptr 0
		.amdhsa_user_sgpr_queue_ptr 0
		.amdhsa_user_sgpr_kernarg_segment_ptr 1
		.amdhsa_user_sgpr_dispatch_id 0
		.amdhsa_user_sgpr_flat_scratch_init 0
		.amdhsa_user_sgpr_kernarg_preload_length 0
		.amdhsa_user_sgpr_kernarg_preload_offset 0
		.amdhsa_user_sgpr_private_segment_size 0
		.amdhsa_uses_dynamic_stack 0
		.amdhsa_system_sgpr_private_segment_wavefront_offset 0
		.amdhsa_system_sgpr_workgroup_id_x 1
		.amdhsa_system_sgpr_workgroup_id_y 0
		.amdhsa_system_sgpr_workgroup_id_z 0
		.amdhsa_system_sgpr_workgroup_info 0
		.amdhsa_system_vgpr_workitem_id 0
		.amdhsa_next_free_vgpr 13
		.amdhsa_next_free_sgpr 24
		.amdhsa_accum_offset 16
		.amdhsa_reserve_vcc 1
		.amdhsa_reserve_flat_scratch 0
		.amdhsa_float_round_mode_32 0
		.amdhsa_float_round_mode_16_64 0
		.amdhsa_float_denorm_mode_32 3
		.amdhsa_float_denorm_mode_16_64 3
		.amdhsa_dx10_clamp 1
		.amdhsa_ieee_mode 1
		.amdhsa_fp16_overflow 0
		.amdhsa_tg_split 0
		.amdhsa_exception_fp_ieee_invalid_op 0
		.amdhsa_exception_fp_denorm_src 0
		.amdhsa_exception_fp_ieee_div_zero 0
		.amdhsa_exception_fp_ieee_overflow 0
		.amdhsa_exception_fp_ieee_underflow 0
		.amdhsa_exception_fp_ieee_inexact 0
		.amdhsa_exception_int_div_zero 0
	.end_amdhsa_kernel
	.section	.text._ZN2at6native12_GLOBAL__N_133GammaBetaBackwardSimpleCUDAKernelIffLb0EEEvllPKT_S5_PKT0_S8_PS3_S9_,"axG",@progbits,_ZN2at6native12_GLOBAL__N_133GammaBetaBackwardSimpleCUDAKernelIffLb0EEEvllPKT_S5_PKT0_S8_PS3_S9_,comdat
.Lfunc_end49:
	.size	_ZN2at6native12_GLOBAL__N_133GammaBetaBackwardSimpleCUDAKernelIffLb0EEEvllPKT_S5_PKT0_S8_PS3_S9_, .Lfunc_end49-_ZN2at6native12_GLOBAL__N_133GammaBetaBackwardSimpleCUDAKernelIffLb0EEEvllPKT_S5_PKT0_S8_PS3_S9_
                                        ; -- End function
	.section	.AMDGPU.csdata,"",@progbits
; Kernel info:
; codeLenInByte = 396
; NumSgprs: 28
; NumVgprs: 13
; NumAgprs: 0
; TotalNumVgprs: 13
; ScratchSize: 0
; MemoryBound: 0
; FloatMode: 240
; IeeeMode: 1
; LDSByteSize: 0 bytes/workgroup (compile time only)
; SGPRBlocks: 3
; VGPRBlocks: 1
; NumSGPRsForWavesPerEU: 28
; NumVGPRsForWavesPerEU: 13
; AccumOffset: 16
; Occupancy: 8
; WaveLimiterHint : 0
; COMPUTE_PGM_RSRC2:SCRATCH_EN: 0
; COMPUTE_PGM_RSRC2:USER_SGPR: 6
; COMPUTE_PGM_RSRC2:TRAP_HANDLER: 0
; COMPUTE_PGM_RSRC2:TGID_X_EN: 1
; COMPUTE_PGM_RSRC2:TGID_Y_EN: 0
; COMPUTE_PGM_RSRC2:TGID_Z_EN: 0
; COMPUTE_PGM_RSRC2:TIDIG_COMP_CNT: 0
; COMPUTE_PGM_RSRC3_GFX90A:ACCUM_OFFSET: 3
; COMPUTE_PGM_RSRC3_GFX90A:TG_SPLIT: 0
	.section	.text._ZN2at6native12_GLOBAL__N_135GammaBetaBackwardCUDAKernelTemplateIffLj64ELj1ELj32ELb1ELb1ELb0EEEvllPKT_S5_PKT0_S8_PS3_S9_,"axG",@progbits,_ZN2at6native12_GLOBAL__N_135GammaBetaBackwardCUDAKernelTemplateIffLj64ELj1ELj32ELb1ELb1ELb0EEEvllPKT_S5_PKT0_S8_PS3_S9_,comdat
	.globl	_ZN2at6native12_GLOBAL__N_135GammaBetaBackwardCUDAKernelTemplateIffLj64ELj1ELj32ELb1ELb1ELb0EEEvllPKT_S5_PKT0_S8_PS3_S9_ ; -- Begin function _ZN2at6native12_GLOBAL__N_135GammaBetaBackwardCUDAKernelTemplateIffLj64ELj1ELj32ELb1ELb1ELb0EEEvllPKT_S5_PKT0_S8_PS3_S9_
	.p2align	8
	.type	_ZN2at6native12_GLOBAL__N_135GammaBetaBackwardCUDAKernelTemplateIffLj64ELj1ELj32ELb1ELb1ELb0EEEvllPKT_S5_PKT0_S8_PS3_S9_,@function
_ZN2at6native12_GLOBAL__N_135GammaBetaBackwardCUDAKernelTemplateIffLj64ELj1ELj32ELb1ELb1ELb0EEEvllPKT_S5_PKT0_S8_PS3_S9_: ; @_ZN2at6native12_GLOBAL__N_135GammaBetaBackwardCUDAKernelTemplateIffLj64ELj1ELj32ELb1ELb1ELb0EEEvllPKT_S5_PKT0_S8_PS3_S9_
; %bb.0:
	s_load_dwordx4 s[16:19], s[4:5], 0x0
	s_lshl_b32 s24, s7, 5
	s_mov_b32 s25, 0
	s_mov_b32 s2, s7
	v_bfe_u32 v14, v0, 10, 10
	s_waitcnt lgkmcnt(0)
	v_pk_mov_b32 v[2:3], s[16:17], s[16:17] op_sel:[0,1]
	v_cmp_lt_i64_e32 vcc, s[24:25], v[2:3]
	s_cbranch_vccnz .LBB50_2
; %bb.1:
	s_add_u32 s26, s4, 64
	s_addc_u32 s27, s5, 0
	s_mov_b64 s[0:1], 0
	v_bfe_u32 v2, v0, 10, 10
	s_branch .LBB50_3
.LBB50_2:
	s_mov_b64 s[0:1], -1
                                        ; implicit-def: $sgpr26_sgpr27
                                        ; implicit-def: $vgpr2
.LBB50_3:
	s_load_dwordx4 s[20:23], s[4:5], 0x30
	v_and_b32_e32 v15, 0x3ff, v0
	s_andn2_b64 vcc, exec, s[0:1]
	v_mov_b32_e32 v7, s25
	v_mov_b32_e32 v6, s25
	s_cbranch_vccnz .LBB50_11
; %bb.4:
	s_load_dword s0, s[4:5], 0x4c
	s_load_dword s3, s[4:5], 0x44
	s_load_dwordx8 s[8:15], s[4:5], 0x10
	v_mbcnt_lo_u32_b32 v2, -1, 0
	s_add_u32 s26, s4, 64
	v_mbcnt_hi_u32_b32 v2, -1, v2
	s_addc_u32 s27, s5, 0
	s_waitcnt lgkmcnt(0)
	s_and_b32 s0, s0, 0xffff
	v_lshlrev_b32_e32 v1, 5, v14
	v_lshlrev_b32_e32 v2, 2, v2
	v_mad_u32_u24 v0, v14, s0, v15
	v_and_b32_e32 v16, 0x100, v2
	v_mov_b32_e32 v2, s25
	v_add_co_u32_e32 v4, vcc, s24, v1
	v_and_b32_e32 v0, 63, v0
	v_addc_co_u32_e32 v5, vcc, 0, v2, vcc
	v_cmp_gt_u32_e64 s[0:1], 32, v0
	v_add_co_u32_e32 v0, vcc, v4, v0
	v_addc_co_u32_e32 v1, vcc, 0, v5, vcc
	v_mul_lo_u32 v8, s19, v4
	v_mul_lo_u32 v9, s18, v5
	v_mad_u64_u32 v[4:5], s[30:31], s18, v4, 0
	v_mov_b32_e32 v7, 0
	v_lshl_add_u32 v6, s6, 6, v15
	s_lshl_b32 s4, s3, 5
	v_add3_u32 v5, v5, v9, v8
	v_lshlrev_b64 v[4:5], 2, v[4:5]
	v_lshlrev_b64 v[8:9], 2, v[6:7]
	s_mul_i32 s3, s19, s4
	s_mul_hi_u32 s7, s18, s4
	s_mov_b32 s5, 0
	v_add_co_u32_e32 v4, vcc, v4, v8
	s_add_i32 s31, s7, s3
	s_mul_i32 s30, s18, s4
	v_or_b32_e32 v17, 4, v16
	v_or_b32_e32 v18, 8, v16
	;; [unrolled: 1-line block ×31, first 2 shown]
	v_lshlrev_b64 v[2:3], 2, v[0:1]
	s_lshl_b64 s[28:29], s[4:5], 2
	v_addc_co_u32_e32 v5, vcc, v5, v9, vcc
	s_lshl_b64 s[30:31], s[30:31], 2
	s_lshl_b64 s[34:35], s[18:19], 2
	v_mov_b32_e32 v6, v7
	s_branch .LBB50_7
.LBB50_5:                               ;   in Loop: Header=BB50_7 Depth=1
	s_or_b64 exec, exec, s[38:39]
.LBB50_6:                               ;   in Loop: Header=BB50_7 Depth=1
	s_or_b64 exec, exec, s[36:37]
	v_mov_b32_e32 v9, s11
	v_add_co_u32_e32 v10, vcc, s10, v4
	v_addc_co_u32_e32 v11, vcc, v9, v5, vcc
	v_mov_b32_e32 v8, s9
	v_add_co_u32_e32 v12, vcc, s8, v4
	v_addc_co_u32_e32 v13, vcc, v8, v5, vcc
	global_load_dword v51, v[10:11], off
	v_mov_b32_e32 v50, s35
	v_add_co_u32_e32 v10, vcc, s34, v10
	v_addc_co_u32_e32 v11, vcc, v11, v50, vcc
	global_load_dword v9, v[12:13], off
	v_add_co_u32_e32 v12, vcc, s34, v12
	v_addc_co_u32_e32 v13, vcc, v13, v50, vcc
	global_load_dword v8, v[10:11], off
	global_load_dword v53, v[12:13], off
	v_add_co_u32_e32 v10, vcc, s34, v10
	v_addc_co_u32_e32 v11, vcc, v11, v50, vcc
	v_add_co_u32_e32 v12, vcc, s34, v12
	global_load_dword v52, v[10:11], off
	v_addc_co_u32_e32 v13, vcc, v13, v50, vcc
	global_load_dword v55, v[12:13], off
	v_add_co_u32_e32 v10, vcc, s34, v10
	v_addc_co_u32_e32 v11, vcc, v11, v50, vcc
	v_add_co_u32_e32 v12, vcc, s34, v12
	v_addc_co_u32_e32 v13, vcc, v13, v50, vcc
	global_load_dword v56, v[10:11], off
	global_load_dword v57, v[12:13], off
	v_add_co_u32_e32 v10, vcc, s34, v10
	v_addc_co_u32_e32 v11, vcc, v11, v50, vcc
	v_add_co_u32_e32 v12, vcc, s34, v12
	v_addc_co_u32_e32 v13, vcc, v13, v50, vcc
	;; [unrolled: 2-line block ×3, first 2 shown]
	global_load_dword v70, v[10:11], off
	global_load_dword v71, v[58:59], off
	v_add_co_u32_e32 v10, vcc, s34, v12
	v_addc_co_u32_e32 v11, vcc, v13, v50, vcc
	global_load_dword v13, v[12:13], off
	s_waitcnt vmcnt(12)
	ds_bpermute_b32 v54, v16, v49
	ds_bpermute_b32 v63, v17, v49
	s_waitcnt vmcnt(11)
	ds_bpermute_b32 v62, v16, v48
	ds_bpermute_b32 v65, v18, v49
	v_add_co_u32_e32 v60, vcc, s34, v58
	ds_bpermute_b32 v64, v17, v48
	v_addc_co_u32_e32 v61, vcc, v59, v50, vcc
	v_add_co_u32_e32 v58, vcc, s34, v10
	v_addc_co_u32_e32 v59, vcc, v11, v50, vcc
	global_load_dword v11, v[10:11], off
	ds_bpermute_b32 v66, v18, v48
	ds_bpermute_b32 v68, v19, v49
	ds_bpermute_b32 v69, v19, v48
	s_add_u32 s24, s24, s4
	s_addc_u32 s25, s25, 0
	s_waitcnt vmcnt(11) lgkmcnt(7)
	v_sub_f32_e32 v12, v51, v54
	s_waitcnt vmcnt(10)
	v_mul_f32_e32 v12, v9, v12
	s_waitcnt vmcnt(9) lgkmcnt(6)
	v_sub_f32_e32 v51, v8, v63
	s_waitcnt lgkmcnt(5)
	v_mul_f32_e32 v8, v12, v62
	s_waitcnt vmcnt(8)
	v_mul_f32_e32 v12, v53, v51
	v_add_co_u32_e32 v62, vcc, s34, v60
	v_addc_co_u32_e32 v63, vcc, v61, v50, vcc
	v_pk_add_f32 v[6:7], v[6:7], v[8:9]
	s_waitcnt vmcnt(7) lgkmcnt(4)
	v_sub_f32_e32 v51, v52, v65
	s_waitcnt lgkmcnt(3)
	v_mul_f32_e32 v52, v12, v64
	v_pk_add_f32 v[6:7], v[6:7], v[52:53]
	s_waitcnt vmcnt(6)
	v_mul_f32_e32 v12, v55, v51
	global_load_dword v51, v[60:61], off
	v_add_co_u32_e32 v60, vcc, s34, v58
	v_addc_co_u32_e32 v61, vcc, v59, v50, vcc
	global_load_dword v59, v[58:59], off
	s_waitcnt lgkmcnt(2)
	v_mul_f32_e32 v54, v12, v66
	v_add_co_u32_e32 v64, vcc, s34, v62
	global_load_dword v66, v[62:63], off
	global_load_dword v67, v[60:61], off
	v_addc_co_u32_e32 v65, vcc, v63, v50, vcc
	v_add_co_u32_e32 v60, vcc, s34, v60
	v_addc_co_u32_e32 v61, vcc, v61, v50, vcc
	global_load_dword v62, v[64:65], off
	global_load_dword v63, v[60:61], off
	v_add_co_u32_e32 v64, vcc, s34, v64
	v_addc_co_u32_e32 v65, vcc, v65, v50, vcc
	s_waitcnt vmcnt(11) lgkmcnt(1)
	v_sub_f32_e32 v10, v56, v68
	global_load_dword v68, v[64:65], off
	v_add_co_u32_e32 v60, vcc, s34, v60
	s_waitcnt vmcnt(11)
	v_mul_f32_e32 v10, v57, v10
	v_addc_co_u32_e32 v61, vcc, v61, v50, vcc
	s_waitcnt lgkmcnt(0)
	v_mul_f32_e32 v56, v10, v69
	global_load_dword v69, v[60:61], off
	ds_bpermute_b32 v10, v20, v49
	ds_bpermute_b32 v12, v20, v48
	;; [unrolled: 1-line block ×3, first 2 shown]
	v_add_co_u32_e32 v64, vcc, s34, v64
	s_waitcnt vmcnt(11) lgkmcnt(2)
	v_sub_f32_e32 v10, v70, v10
	s_waitcnt vmcnt(9)
	v_mul_f32_e32 v10, v13, v10
	s_waitcnt lgkmcnt(1)
	v_mul_f32_e32 v12, v10, v12
	ds_bpermute_b32 v10, v21, v49
	ds_bpermute_b32 v70, v22, v49
	v_addc_co_u32_e32 v65, vcc, v65, v50, vcc
	v_add_co_u32_e32 v60, vcc, s34, v60
	s_waitcnt lgkmcnt(1)
	v_sub_f32_e32 v10, v71, v10
	s_waitcnt vmcnt(8)
	v_mul_f32_e32 v10, v11, v10
	v_mul_f32_e32 v10, v10, v58
	ds_bpermute_b32 v58, v22, v48
	ds_bpermute_b32 v71, v24, v49
	v_addc_co_u32_e32 v61, vcc, v61, v50, vcc
	v_pk_add_f32 v[6:7], v[6:7], v[54:55]
	v_add_co_u32_e32 v8, vcc, s34, v64
	v_pk_add_f32 v[6:7], v[6:7], v[56:57]
	v_addc_co_u32_e32 v9, vcc, v65, v50, vcc
	v_pk_add_f32 v[6:7], v[6:7], v[12:13]
	v_add_co_u32_e32 v12, vcc, s34, v8
	v_addc_co_u32_e32 v13, vcc, v9, v50, vcc
	v_pk_add_f32 v[10:11], v[6:7], v[10:11]
	v_add_co_u32_e32 v6, vcc, s34, v60
	v_addc_co_u32_e32 v7, vcc, v61, v50, vcc
	s_waitcnt vmcnt(7) lgkmcnt(2)
	v_sub_f32_e32 v51, v51, v70
	ds_bpermute_b32 v70, v23, v49
	s_waitcnt vmcnt(6)
	v_mul_f32_e32 v51, v59, v51
	s_waitcnt lgkmcnt(2)
	v_mul_f32_e32 v58, v51, v58
	ds_bpermute_b32 v51, v23, v48
	s_waitcnt vmcnt(5) lgkmcnt(1)
	v_sub_f32_e32 v66, v66, v70
	ds_bpermute_b32 v70, v24, v48
	s_waitcnt vmcnt(4)
	v_mul_f32_e32 v66, v67, v66
	v_pk_add_f32 v[10:11], v[10:11], v[58:59]
	s_waitcnt lgkmcnt(1)
	v_mul_f32_e32 v66, v66, v51
	ds_bpermute_b32 v58, v31, v48
	v_pk_add_f32 v[10:11], v[10:11], v[66:67]
	s_waitcnt vmcnt(3)
	v_sub_f32_e32 v51, v62, v71
	s_waitcnt vmcnt(2)
	v_mul_f32_e32 v51, v63, v51
	s_waitcnt lgkmcnt(1)
	v_mul_f32_e32 v62, v51, v70
	ds_bpermute_b32 v51, v25, v49
	v_pk_add_f32 v[10:11], v[10:11], v[62:63]
	s_waitcnt vmcnt(1) lgkmcnt(0)
	v_sub_f32_e32 v51, v68, v51
	ds_bpermute_b32 v68, v25, v48
	s_waitcnt vmcnt(0)
	v_mul_f32_e32 v51, v69, v51
	s_waitcnt lgkmcnt(0)
	v_mul_f32_e32 v68, v51, v68
	global_load_dword v51, v[64:65], off
	global_load_dword v70, v[8:9], off
	;; [unrolled: 1-line block ×3, first 2 shown]
	v_add_co_u32_e32 v8, vcc, s34, v6
	v_addc_co_u32_e32 v9, vcc, v7, v50, vcc
	global_load_dword v7, v[6:7], off
	v_add_co_u32_e32 v54, vcc, s34, v12
	v_addc_co_u32_e32 v55, vcc, v13, v50, vcc
	global_load_dword v60, v[12:13], off
	;; [unrolled: 3-line block ×4, first 2 shown]
	global_load_dword v61, v[12:13], off
	v_add_co_u32_e32 v12, vcc, s34, v12
	v_addc_co_u32_e32 v13, vcc, v13, v50, vcc
	v_add_co_u32_e32 v54, vcc, s34, v56
	v_addc_co_u32_e32 v55, vcc, v57, v50, vcc
	global_load_dword v73, v[56:57], off
	v_add_co_u32_e32 v56, vcc, s34, v12
	v_addc_co_u32_e32 v57, vcc, v13, v50, vcc
	global_load_dword v13, v[12:13], off
	;; [unrolled: 3-line block ×3, first 2 shown]
	global_load_dword v71, v[56:57], off
	global_load_dword v75, v[64:65], off
	ds_bpermute_b32 v6, v26, v49
	ds_bpermute_b32 v8, v26, v48
	;; [unrolled: 1-line block ×3, first 2 shown]
	v_add_co_u32_e32 v54, vcc, s34, v56
	ds_bpermute_b32 v56, v29, v48
	v_addc_co_u32_e32 v55, vcc, v57, v50, vcc
	global_load_dword v57, v[54:55], off
	v_pk_add_f32 v[10:11], v[10:11], v[68:69]
	s_waitcnt vmcnt(13) lgkmcnt(3)
	v_sub_f32_e32 v6, v51, v6
	ds_bpermute_b32 v51, v27, v48
	s_waitcnt vmcnt(11)
	v_mul_f32_e32 v6, v53, v6
	s_waitcnt lgkmcnt(3)
	v_mul_f32_e32 v52, v6, v8
	s_waitcnt lgkmcnt(2)
	v_sub_f32_e32 v6, v70, v12
	ds_bpermute_b32 v8, v28, v49
	s_waitcnt vmcnt(10)
	v_mul_f32_e32 v6, v7, v6
	s_waitcnt lgkmcnt(1)
	v_mul_f32_e32 v6, v6, v51
	ds_bpermute_b32 v12, v28, v48
	ds_bpermute_b32 v51, v29, v49
	v_pk_add_f32 v[10:11], v[10:11], v[52:53]
	s_waitcnt vmcnt(9) lgkmcnt(2)
	v_sub_f32_e32 v8, v60, v8
	v_pk_add_f32 v[6:7], v[10:11], v[6:7]
	ds_bpermute_b32 v52, v37, v49
	s_waitcnt vmcnt(8)
	v_mul_f32_e32 v8, v9, v8
	s_waitcnt lgkmcnt(2)
	v_mul_f32_e32 v8, v8, v12
	v_pk_add_f32 v[6:7], v[6:7], v[8:9]
	s_waitcnt vmcnt(7) lgkmcnt(1)
	v_sub_f32_e32 v12, v72, v51
	ds_bpermute_b32 v51, v30, v49
	s_waitcnt vmcnt(6)
	v_mul_f32_e32 v12, v61, v12
	v_mul_f32_e32 v60, v12, v56
	ds_bpermute_b32 v12, v30, v48
	ds_bpermute_b32 v56, v31, v49
	;; [unrolled: 1-line block ×3, first 2 shown]
	v_pk_add_f32 v[6:7], v[6:7], v[60:61]
	s_waitcnt vmcnt(5) lgkmcnt(3)
	v_sub_f32_e32 v51, v73, v51
	ds_bpermute_b32 v73, v35, v49
	s_waitcnt vmcnt(4)
	v_mul_f32_e32 v51, v13, v51
	s_waitcnt lgkmcnt(3)
	v_mul_f32_e32 v12, v51, v12
	v_pk_add_f32 v[6:7], v[6:7], v[12:13]
	s_waitcnt vmcnt(3) lgkmcnt(2)
	v_sub_f32_e32 v51, v74, v56
	s_waitcnt vmcnt(2)
	v_mul_f32_e32 v51, v71, v51
	v_mul_f32_e32 v70, v51, v58
	v_add_co_u32_e32 v58, vcc, s34, v64
	v_addc_co_u32_e32 v59, vcc, v65, v50, vcc
	global_load_dword v62, v[58:59], off
	v_add_co_u32_e32 v54, vcc, s34, v54
	v_addc_co_u32_e32 v55, vcc, v55, v50, vcc
	global_load_dword v63, v[54:55], off
	v_add_co_u32_e32 v58, vcc, s34, v58
	v_addc_co_u32_e32 v59, vcc, v59, v50, vcc
	v_add_co_u32_e32 v54, vcc, s34, v54
	v_addc_co_u32_e32 v55, vcc, v55, v50, vcc
	global_load_dword v64, v[58:59], off
	global_load_dword v65, v[54:55], off
	v_add_co_u32_e32 v58, vcc, s34, v58
	v_addc_co_u32_e32 v59, vcc, v59, v50, vcc
	v_add_co_u32_e32 v54, vcc, s34, v54
	v_addc_co_u32_e32 v55, vcc, v55, v50, vcc
	global_load_dword v66, v[58:59], off
	global_load_dword v67, v[54:55], off
	v_add_co_u32_e32 v58, vcc, s34, v58
	v_addc_co_u32_e32 v59, vcc, v59, v50, vcc
	global_load_dword v68, v[58:59], off
	v_add_co_u32_e32 v54, vcc, s34, v54
	v_addc_co_u32_e32 v55, vcc, v55, v50, vcc
	global_load_dword v69, v[54:55], off
	ds_bpermute_b32 v51, v32, v49
	ds_bpermute_b32 v56, v32, v48
	v_add_co_u32_e32 v58, vcc, s34, v58
	v_addc_co_u32_e32 v59, vcc, v59, v50, vcc
	s_waitcnt vmcnt(9) lgkmcnt(1)
	v_sub_f32_e32 v51, v75, v51
	s_waitcnt vmcnt(8)
	v_mul_f32_e32 v51, v57, v51
	s_waitcnt lgkmcnt(0)
	v_mul_f32_e32 v56, v51, v56
	ds_bpermute_b32 v51, v33, v49
	v_add_co_u32_e32 v54, vcc, s34, v54
	v_addc_co_u32_e32 v55, vcc, v55, v50, vcc
	v_pk_add_f32 v[6:7], v[6:7], v[70:71]
	v_pk_add_f32 v[6:7], v[6:7], v[56:57]
	ds_bpermute_b32 v56, v38, v48
	s_waitcnt vmcnt(7) lgkmcnt(1)
	v_sub_f32_e32 v51, v62, v51
	ds_bpermute_b32 v62, v33, v48
	s_waitcnt vmcnt(6)
	v_mul_f32_e32 v51, v63, v51
	s_waitcnt lgkmcnt(0)
	v_mul_f32_e32 v62, v51, v62
	ds_bpermute_b32 v51, v34, v49
	v_pk_add_f32 v[6:7], v[6:7], v[62:63]
	s_waitcnt vmcnt(5) lgkmcnt(0)
	v_sub_f32_e32 v51, v64, v51
	s_waitcnt vmcnt(4)
	v_mul_f32_e32 v51, v65, v51
	v_mul_f32_e32 v64, v51, v72
	ds_bpermute_b32 v51, v35, v48
	v_pk_add_f32 v[6:7], v[6:7], v[64:65]
	s_waitcnt vmcnt(3)
	v_sub_f32_e32 v66, v66, v73
	s_waitcnt vmcnt(2)
	v_mul_f32_e32 v66, v67, v66
	s_waitcnt lgkmcnt(0)
	v_mul_f32_e32 v66, v66, v51
	ds_bpermute_b32 v51, v36, v49
	v_pk_add_f32 v[6:7], v[6:7], v[66:67]
	s_waitcnt vmcnt(1) lgkmcnt(0)
	v_sub_f32_e32 v51, v68, v51
	ds_bpermute_b32 v68, v36, v48
	s_waitcnt vmcnt(0)
	v_mul_f32_e32 v51, v69, v51
	s_waitcnt lgkmcnt(0)
	v_mul_f32_e32 v68, v51, v68
	global_load_dword v51, v[58:59], off
	global_load_dword v53, v[54:55], off
	v_add_co_u32_e32 v58, vcc, s34, v58
	v_addc_co_u32_e32 v59, vcc, v59, v50, vcc
	v_add_co_u32_e32 v54, vcc, s34, v54
	global_load_dword v72, v[58:59], off
	v_addc_co_u32_e32 v55, vcc, v55, v50, vcc
	global_load_dword v73, v[54:55], off
	v_add_co_u32_e32 v8, vcc, s34, v58
	v_addc_co_u32_e32 v9, vcc, v59, v50, vcc
	v_add_co_u32_e32 v10, vcc, s34, v54
	ds_bpermute_b32 v54, v37, v48
	v_addc_co_u32_e32 v11, vcc, v55, v50, vcc
	v_add_co_u32_e32 v12, vcc, s34, v8
	v_addc_co_u32_e32 v13, vcc, v9, v50, vcc
	global_load_dword v70, v[8:9], off
	v_add_co_u32_e32 v8, vcc, s34, v10
	v_addc_co_u32_e32 v9, vcc, v11, v50, vcc
	v_pk_add_f32 v[6:7], v[6:7], v[68:69]
	global_load_dword v68, v[12:13], off
	s_waitcnt vmcnt(5)
	v_sub_f32_e32 v51, v51, v52
	s_waitcnt vmcnt(4)
	v_mul_f32_e32 v51, v53, v51
	s_waitcnt lgkmcnt(0)
	v_mul_f32_e32 v52, v51, v54
	ds_bpermute_b32 v51, v38, v49
	v_add_co_u32_e32 v54, vcc, s34, v12
	v_addc_co_u32_e32 v55, vcc, v13, v50, vcc
	s_waitcnt vmcnt(3) lgkmcnt(0)
	v_sub_f32_e32 v12, v72, v51
	global_load_dword v74, v[54:55], off
	v_pk_add_f32 v[6:7], v[6:7], v[52:53]
	s_waitcnt vmcnt(3)
	v_mul_f32_e32 v12, v73, v12
	v_mul_f32_e32 v72, v12, v56
	v_add_co_u32_e32 v12, vcc, s34, v8
	v_addc_co_u32_e32 v13, vcc, v9, v50, vcc
	v_add_co_u32_e32 v56, vcc, s34, v54
	v_addc_co_u32_e32 v57, vcc, v55, v50, vcc
	;; [unrolled: 2-line block ×4, first 2 shown]
	global_load_dword v76, v[56:57], off
	v_add_co_u32_e32 v56, vcc, s34, v54
	v_addc_co_u32_e32 v57, vcc, v55, v50, vcc
	v_add_co_u32_e32 v60, vcc, s34, v58
	v_addc_co_u32_e32 v61, vcc, v59, v50, vcc
	global_load_dword v78, v[58:59], off
	v_add_co_u32_e32 v58, vcc, s34, v56
	v_addc_co_u32_e32 v59, vcc, v57, v50, vcc
	v_add_co_u32_e32 v62, vcc, s34, v60
	v_addc_co_u32_e32 v63, vcc, v61, v50, vcc
	;; [unrolled: 5-line block ×4, first 2 shown]
	global_load_dword v81, v[64:65], off
	v_add_co_u32_e32 v64, vcc, s34, v62
	v_addc_co_u32_e32 v65, vcc, v63, v50, vcc
	global_load_dword v51, v[10:11], off
	global_load_dword v69, v[8:9], off
	;; [unrolled: 1-line block ×4, first 2 shown]
                                        ; kill: killed $vgpr10 killed $vgpr11
                                        ; kill: killed $vgpr54 killed $vgpr55
                                        ; kill: killed $vgpr12 killed $vgpr13
                                        ; kill: killed $vgpr8 killed $vgpr9
	s_nop 0
	global_load_dword v9, v[56:57], off
	global_load_dword v11, v[58:59], off
	;; [unrolled: 1-line block ×6, first 2 shown]
	ds_bpermute_b32 v8, v39, v49
	ds_bpermute_b32 v10, v39, v48
	;; [unrolled: 1-line block ×4, first 2 shown]
	v_pk_add_f32 v[6:7], v[6:7], v[72:73]
	s_waitcnt vmcnt(17) lgkmcnt(3)
	v_sub_f32_e32 v8, v70, v8
	ds_bpermute_b32 v56, v46, v49
	ds_bpermute_b32 v57, v46, v48
	v_add_co_u32_e32 v2, vcc, s28, v2
	s_waitcnt vmcnt(15) lgkmcnt(3)
	v_sub_f32_e32 v12, v74, v12
	s_waitcnt vmcnt(9)
	v_mul_f32_e32 v8, v51, v8
	v_mul_f32_e32 v50, v8, v10
	ds_bpermute_b32 v8, v40, v49
	ds_bpermute_b32 v10, v40, v48
	s_waitcnt vmcnt(7)
	v_mul_f32_e32 v12, v71, v12
	v_pk_add_f32 v[6:7], v[6:7], v[50:51]
	s_waitcnt lgkmcnt(1)
	v_sub_f32_e32 v8, v68, v8
	v_mul_f32_e32 v8, v69, v8
	s_waitcnt lgkmcnt(0)
	v_mul_f32_e32 v68, v8, v10
	ds_bpermute_b32 v8, v41, v48
	ds_bpermute_b32 v10, v42, v49
	v_pk_add_f32 v[6:7], v[6:7], v[68:69]
	s_waitcnt lgkmcnt(1)
	v_mul_f32_e32 v70, v12, v8
	s_waitcnt lgkmcnt(0)
	v_sub_f32_e32 v8, v76, v10
	ds_bpermute_b32 v10, v43, v49
	s_waitcnt vmcnt(6)
	v_mul_f32_e32 v8, v75, v8
	v_mul_f32_e32 v74, v8, v54
	ds_bpermute_b32 v8, v43, v48
	ds_bpermute_b32 v12, v44, v49
	s_waitcnt lgkmcnt(2)
	v_sub_f32_e32 v10, v78, v10
	s_waitcnt vmcnt(5)
	v_mul_f32_e32 v10, v9, v10
	v_pk_add_f32 v[6:7], v[6:7], v[70:71]
	s_waitcnt lgkmcnt(1)
	v_mul_f32_e32 v8, v10, v8
	v_pk_add_f32 v[6:7], v[6:7], v[74:75]
	ds_bpermute_b32 v54, v44, v48
	v_pk_add_f32 v[6:7], v[6:7], v[8:9]
	ds_bpermute_b32 v8, v47, v49
	ds_bpermute_b32 v9, v47, v48
	s_waitcnt lgkmcnt(3)
	v_sub_f32_e32 v10, v79, v12
	ds_bpermute_b32 v12, v45, v49
	s_waitcnt vmcnt(4)
	v_mul_f32_e32 v10, v11, v10
	s_waitcnt lgkmcnt(3)
	v_mul_f32_e32 v10, v10, v54
	ds_bpermute_b32 v54, v45, v48
	s_waitcnt vmcnt(1) lgkmcnt(3)
	v_sub_f32_e32 v8, v82, v8
	s_waitcnt vmcnt(0)
	v_mul_f32_e32 v8, v77, v8
	s_waitcnt lgkmcnt(2)
	v_mul_f32_e32 v76, v8, v9
	v_mov_b32_e32 v8, s29
	s_waitcnt lgkmcnt(1)
	v_sub_f32_e32 v12, v80, v12
	v_addc_co_u32_e32 v3, vcc, v3, v8, vcc
	v_mul_f32_e32 v12, v13, v12
	v_mov_b32_e32 v8, s5
	v_add_co_u32_e32 v0, vcc, s4, v0
	s_waitcnt lgkmcnt(0)
	v_mul_f32_e32 v12, v12, v54
	v_sub_f32_e32 v54, v81, v56
	v_addc_co_u32_e32 v1, vcc, v1, v8, vcc
	v_mul_f32_e32 v54, v55, v54
	v_pk_add_f32 v[6:7], v[6:7], v[10:11]
	v_mov_b32_e32 v8, s31
	v_add_co_u32_e32 v4, vcc, s30, v4
	v_mul_f32_e32 v54, v54, v57
	v_pk_add_f32 v[6:7], v[6:7], v[12:13]
	v_addc_co_u32_e32 v5, vcc, v5, v8, vcc
	v_pk_mov_b32 v[8:9], s[16:17], s[16:17] op_sel:[0,1]
	v_pk_add_f32 v[6:7], v[6:7], v[54:55]
	v_cmp_lt_i64_e32 vcc, s[24:25], v[8:9]
	v_pk_add_f32 v[6:7], v[6:7], v[76:77]
	s_cbranch_vccz .LBB50_10
.LBB50_7:                               ; =>This Inner Loop Header: Depth=1
	v_mov_b32_e32 v48, 0
	v_mov_b32_e32 v49, 0
	s_and_saveexec_b64 s[36:37], s[0:1]
	s_cbranch_execz .LBB50_6
; %bb.8:                                ;   in Loop: Header=BB50_7 Depth=1
	v_cmp_gt_i64_e32 vcc, s[16:17], v[0:1]
	v_mov_b32_e32 v49, 0
	v_mov_b32_e32 v48, 0
	s_and_saveexec_b64 s[38:39], vcc
	s_cbranch_execz .LBB50_5
; %bb.9:                                ;   in Loop: Header=BB50_7 Depth=1
	v_mov_b32_e32 v9, s15
	v_add_co_u32_e32 v8, vcc, s14, v2
	v_addc_co_u32_e32 v9, vcc, v9, v3, vcc
	v_mov_b32_e32 v11, s13
	v_add_co_u32_e32 v10, vcc, s12, v2
	v_addc_co_u32_e32 v11, vcc, v11, v3, vcc
	global_load_dword v49, v[10:11], off
	global_load_dword v48, v[8:9], off
	s_branch .LBB50_5
.LBB50_10:
	v_mov_b32_e32 v2, v14
.LBB50_11:
	s_mov_b32 s7, 0
	s_lshl_b64 s[0:1], s[6:7], 6
	v_mov_b32_e32 v1, s1
	s_load_dword s1, s[26:27], 0xc
	v_mov_b32_e32 v3, 0
	v_add_co_u32_e32 v0, vcc, s0, v15
	v_mov_b32_e32 v4, s2
	s_waitcnt lgkmcnt(0)
	s_lshr_b32 s0, s1, 16
	v_addc_co_u32_e32 v1, vcc, 0, v1, vcc
	v_mad_u64_u32 v[2:3], s[0:1], s0, v4, v[2:3]
	s_cmp_eq_u64 s[20:21], 0
	v_mul_lo_u32 v3, v3, s18
	v_mul_lo_u32 v4, v2, s19
	v_lshlrev_b64 v[0:1], 2, v[0:1]
	s_cbranch_scc1 .LBB50_13
; %bb.12:
	v_mad_u64_u32 v[8:9], s[0:1], v2, s18, 0
	v_add3_u32 v9, v9, v4, v3
	v_lshlrev_b64 v[8:9], 2, v[8:9]
	v_mov_b32_e32 v5, s21
	v_add_co_u32_e32 v8, vcc, s20, v8
	v_addc_co_u32_e32 v5, vcc, v5, v9, vcc
	v_add_co_u32_e32 v8, vcc, v8, v0
	v_addc_co_u32_e32 v9, vcc, v5, v1, vcc
	global_store_dword v[8:9], v6, off
.LBB50_13:
	s_cmp_eq_u64 s[22:23], 0
	s_cbranch_scc1 .LBB50_15
; %bb.14:
	v_mad_u64_u32 v[8:9], s[0:1], v2, s18, 0
	v_add3_u32 v9, v9, v4, v3
	v_lshlrev_b64 v[2:3], 2, v[8:9]
	v_mov_b32_e32 v4, s23
	v_add_co_u32_e32 v2, vcc, s22, v2
	v_addc_co_u32_e32 v3, vcc, v4, v3, vcc
	v_add_co_u32_e32 v0, vcc, v2, v0
	v_addc_co_u32_e32 v1, vcc, v3, v1, vcc
	global_store_dword v[0:1], v7, off
.LBB50_15:
	s_endpgm
	.section	.rodata,"a",@progbits
	.p2align	6, 0x0
	.amdhsa_kernel _ZN2at6native12_GLOBAL__N_135GammaBetaBackwardCUDAKernelTemplateIffLj64ELj1ELj32ELb1ELb1ELb0EEEvllPKT_S5_PKT0_S8_PS3_S9_
		.amdhsa_group_segment_fixed_size 0
		.amdhsa_private_segment_fixed_size 0
		.amdhsa_kernarg_size 320
		.amdhsa_user_sgpr_count 6
		.amdhsa_user_sgpr_private_segment_buffer 1
		.amdhsa_user_sgpr_dispatch_ptr 0
		.amdhsa_user_sgpr_queue_ptr 0
		.amdhsa_user_sgpr_kernarg_segment_ptr 1
		.amdhsa_user_sgpr_dispatch_id 0
		.amdhsa_user_sgpr_flat_scratch_init 0
		.amdhsa_user_sgpr_kernarg_preload_length 0
		.amdhsa_user_sgpr_kernarg_preload_offset 0
		.amdhsa_user_sgpr_private_segment_size 0
		.amdhsa_uses_dynamic_stack 0
		.amdhsa_system_sgpr_private_segment_wavefront_offset 0
		.amdhsa_system_sgpr_workgroup_id_x 1
		.amdhsa_system_sgpr_workgroup_id_y 1
		.amdhsa_system_sgpr_workgroup_id_z 0
		.amdhsa_system_sgpr_workgroup_info 0
		.amdhsa_system_vgpr_workitem_id 1
		.amdhsa_next_free_vgpr 83
		.amdhsa_next_free_sgpr 40
		.amdhsa_accum_offset 84
		.amdhsa_reserve_vcc 1
		.amdhsa_reserve_flat_scratch 0
		.amdhsa_float_round_mode_32 0
		.amdhsa_float_round_mode_16_64 0
		.amdhsa_float_denorm_mode_32 3
		.amdhsa_float_denorm_mode_16_64 3
		.amdhsa_dx10_clamp 1
		.amdhsa_ieee_mode 1
		.amdhsa_fp16_overflow 0
		.amdhsa_tg_split 0
		.amdhsa_exception_fp_ieee_invalid_op 0
		.amdhsa_exception_fp_denorm_src 0
		.amdhsa_exception_fp_ieee_div_zero 0
		.amdhsa_exception_fp_ieee_overflow 0
		.amdhsa_exception_fp_ieee_underflow 0
		.amdhsa_exception_fp_ieee_inexact 0
		.amdhsa_exception_int_div_zero 0
	.end_amdhsa_kernel
	.section	.text._ZN2at6native12_GLOBAL__N_135GammaBetaBackwardCUDAKernelTemplateIffLj64ELj1ELj32ELb1ELb1ELb0EEEvllPKT_S5_PKT0_S8_PS3_S9_,"axG",@progbits,_ZN2at6native12_GLOBAL__N_135GammaBetaBackwardCUDAKernelTemplateIffLj64ELj1ELj32ELb1ELb1ELb0EEEvllPKT_S5_PKT0_S8_PS3_S9_,comdat
.Lfunc_end50:
	.size	_ZN2at6native12_GLOBAL__N_135GammaBetaBackwardCUDAKernelTemplateIffLj64ELj1ELj32ELb1ELb1ELb0EEEvllPKT_S5_PKT0_S8_PS3_S9_, .Lfunc_end50-_ZN2at6native12_GLOBAL__N_135GammaBetaBackwardCUDAKernelTemplateIffLj64ELj1ELj32ELb1ELb1ELb0EEEvllPKT_S5_PKT0_S8_PS3_S9_
                                        ; -- End function
	.section	.AMDGPU.csdata,"",@progbits
; Kernel info:
; codeLenInByte = 3416
; NumSgprs: 44
; NumVgprs: 83
; NumAgprs: 0
; TotalNumVgprs: 83
; ScratchSize: 0
; MemoryBound: 0
; FloatMode: 240
; IeeeMode: 1
; LDSByteSize: 0 bytes/workgroup (compile time only)
; SGPRBlocks: 5
; VGPRBlocks: 10
; NumSGPRsForWavesPerEU: 44
; NumVGPRsForWavesPerEU: 83
; AccumOffset: 84
; Occupancy: 5
; WaveLimiterHint : 0
; COMPUTE_PGM_RSRC2:SCRATCH_EN: 0
; COMPUTE_PGM_RSRC2:USER_SGPR: 6
; COMPUTE_PGM_RSRC2:TRAP_HANDLER: 0
; COMPUTE_PGM_RSRC2:TGID_X_EN: 1
; COMPUTE_PGM_RSRC2:TGID_Y_EN: 1
; COMPUTE_PGM_RSRC2:TGID_Z_EN: 0
; COMPUTE_PGM_RSRC2:TIDIG_COMP_CNT: 1
; COMPUTE_PGM_RSRC3_GFX90A:ACCUM_OFFSET: 20
; COMPUTE_PGM_RSRC3_GFX90A:TG_SPLIT: 0
	.section	.text._ZN2at6native12_GLOBAL__N_135GammaBetaBackwardCUDAKernelTemplateIffLj64ELj1ELj32ELb1ELb0ELb0EEEvllPKT_S5_PKT0_S8_PS3_S9_,"axG",@progbits,_ZN2at6native12_GLOBAL__N_135GammaBetaBackwardCUDAKernelTemplateIffLj64ELj1ELj32ELb1ELb0ELb0EEEvllPKT_S5_PKT0_S8_PS3_S9_,comdat
	.globl	_ZN2at6native12_GLOBAL__N_135GammaBetaBackwardCUDAKernelTemplateIffLj64ELj1ELj32ELb1ELb0ELb0EEEvllPKT_S5_PKT0_S8_PS3_S9_ ; -- Begin function _ZN2at6native12_GLOBAL__N_135GammaBetaBackwardCUDAKernelTemplateIffLj64ELj1ELj32ELb1ELb0ELb0EEEvllPKT_S5_PKT0_S8_PS3_S9_
	.p2align	8
	.type	_ZN2at6native12_GLOBAL__N_135GammaBetaBackwardCUDAKernelTemplateIffLj64ELj1ELj32ELb1ELb0ELb0EEEvllPKT_S5_PKT0_S8_PS3_S9_,@function
_ZN2at6native12_GLOBAL__N_135GammaBetaBackwardCUDAKernelTemplateIffLj64ELj1ELj32ELb1ELb0ELb0EEEvllPKT_S5_PKT0_S8_PS3_S9_: ; @_ZN2at6native12_GLOBAL__N_135GammaBetaBackwardCUDAKernelTemplateIffLj64ELj1ELj32ELb1ELb0ELb0EEEvllPKT_S5_PKT0_S8_PS3_S9_
; %bb.0:
	s_load_dwordx8 s[12:19], s[4:5], 0x0
	s_load_dwordx4 s[20:23], s[4:5], 0x20
	s_lshl_b32 s9, s6, 6
	v_mov_b32_e32 v255, v0
	s_or_b32 s24, s9, 63
	s_mov_b32 s25, 0
	s_waitcnt lgkmcnt(0)
	v_pk_mov_b32 v[0:1], s[14:15], s[14:15] op_sel:[0,1]
	v_cmp_ge_i64_e32 vcc, s[24:25], v[0:1]
	s_lshl_b32 s24, s7, 5
	v_pk_mov_b32 v[0:1], s[12:13], s[12:13] op_sel:[0,1]
	v_cmp_lt_i64_e64 s[0:1], s[24:25], v[0:1]
	v_cndmask_b32_e64 v0, 0, 1, s[0:1]
	s_mov_b32 s8, s7
	v_cmp_ne_u32_e64 s[0:1], 1, v0
	s_cbranch_vccz .LBB51_144
; %bb.1:
	v_mov_b32_e32 v3, 0
	s_and_b64 vcc, exec, s[0:1]
	v_mov_b32_e32 v2, v3
	s_cbranch_vccnz .LBB51_145
; %bb.2:
	v_bfe_u32 v0, v255, 10, 10
	v_lshlrev_b32_e32 v4, 5, v0
	v_mov_b32_e32 v1, s25
	v_add_co_u32_e32 v2, vcc, s24, v4
	v_addc_co_u32_e32 v123, vcc, 0, v1, vcc
	v_add_co_u32_e32 v1, vcc, 31, v2
	v_addc_co_u32_e32 v3, vcc, 0, v123, vcc
	v_mul_lo_u32 v5, s15, v1
	v_mul_lo_u32 v3, s14, v3
	v_mad_u64_u32 v[6:7], s[2:3], s14, v1, 0
	v_add3_u32 v7, v7, v3, v5
	v_lshlrev_b64 v[8:9], 2, v[6:7]
	v_mov_b32_e32 v3, s17
	v_add_co_u32_e32 v6, vcc, s16, v8
	v_addc_co_u32_e32 v1, vcc, v3, v9, vcc
	v_mov_b32_e32 v129, s19
	v_add_co_u32_e32 v8, vcc, s18, v8
	v_addc_co_u32_e32 v5, vcc, v129, v9, vcc
	v_add_co_u32_e32 v7, vcc, 30, v2
	v_addc_co_u32_e32 v9, vcc, 0, v123, vcc
	v_mul_lo_u32 v12, s15, v7
	v_mul_lo_u32 v9, s14, v9
	v_mad_u64_u32 v[10:11], s[2:3], s14, v7, 0
	v_add3_u32 v11, v11, v9, v12
	v_lshlrev_b64 v[12:13], 2, v[10:11]
	v_add_co_u32_e32 v10, vcc, s16, v12
	v_addc_co_u32_e32 v7, vcc, v3, v13, vcc
	v_add_co_u32_e32 v12, vcc, s18, v12
	v_addc_co_u32_e32 v9, vcc, v129, v13, vcc
	v_add_co_u32_e32 v11, vcc, 29, v2
	v_addc_co_u32_e32 v13, vcc, 0, v123, vcc
	v_mul_lo_u32 v16, s15, v11
	v_mul_lo_u32 v13, s14, v13
	v_mad_u64_u32 v[14:15], s[2:3], s14, v11, 0
	v_add3_u32 v15, v15, v13, v16
	v_lshlrev_b64 v[16:17], 2, v[14:15]
	v_add_co_u32_e32 v14, vcc, s16, v16
	v_addc_co_u32_e32 v11, vcc, v3, v17, vcc
	;; [unrolled: 11-line block ×29, first 2 shown]
	v_add_co_u32_e32 v124, vcc, s18, v124
	v_pk_mov_b32 v[126:127], s[14:15], s[14:15] op_sel:[0,1]
	v_addc_co_u32_e32 v121, vcc, v129, v125, vcc
	v_mad_u64_u32 v[126:127], s[2:3], s14, v2, v[126:127]
	v_mul_lo_u32 v123, s14, v123
	v_mul_lo_u32 v125, s15, v2
	v_add3_u32 v127, v125, v127, v123
	v_lshlrev_b64 v[130:131], 2, v[126:127]
	v_mad_u64_u32 v[132:133], s[2:3], s14, v2, 0
	v_add_co_u32_e32 v126, vcc, s16, v130
	v_add3_u32 v133, v133, v123, v125
	v_addc_co_u32_e32 v123, vcc, v3, v131, vcc
	s_load_dword s7, s[4:5], 0x44
	v_add_co_u32_e32 v128, vcc, s18, v130
	v_addc_co_u32_e32 v125, vcc, v129, v131, vcc
	v_lshlrev_b64 v[132:133], 2, v[132:133]
	v_add_co_u32_e32 v130, vcc, s16, v132
	v_addc_co_u32_e32 v127, vcc, v3, v133, vcc
	s_add_u32 s26, s4, 64
	v_add_co_u32_e32 v132, vcc, s18, v132
	s_addc_u32 s27, s5, 0
	s_waitcnt lgkmcnt(0)
	s_lshl_b32 s7, s7, 5
	v_mbcnt_lo_u32_b32 v2, -1, 0
	v_addc_co_u32_e32 v129, vcc, v129, v133, vcc
	v_and_b32_e32 v133, 0x3ff, v255
	s_mul_i32 s10, s15, s7
	s_mul_hi_u32 s11, s14, s7
	v_mbcnt_hi_u32_b32 v2, -1, v2
	v_add_u32_e32 v134, s9, v133
	v_mov_b32_e32 v135, 0
	s_add_i32 s11, s11, s10
	s_mul_i32 s10, s14, s7
	v_lshlrev_b32_e32 v2, 2, v2
	v_cmp_gt_i64_e64 s[2:3], s[14:15], v[134:135]
	s_mov_b32 s33, s25
	s_mov_b64 s[28:29], 31
	s_lshl_b64 s[30:31], s[10:11], 2
	v_and_b32_e32 v204, 0x100, v2
	v_mov_b32_e32 v2, 0
	v_mov_b32_e32 v3, v135
	s_mov_b64 s[34:35], s[24:25]
	v_mov_b32_e32 v131, v135
	v_lshlrev_b64 v[136:137], 2, v[134:135]
	s_branch .LBB51_5
.LBB51_3:                               ;   in Loop: Header=BB51_5 Depth=1
	s_or_b64 exec, exec, s[10:11]
	s_waitcnt vmcnt(1)
	ds_bpermute_b32 v140, v204, v166
	s_waitcnt vmcnt(0)
	ds_bpermute_b32 v158, v204, v134
	ds_bpermute_b32 v207, v204, v166 offset:4
	ds_bpermute_b32 v168, v204, v134 offset:4
	;; [unrolled: 1-line block ×3, first 2 shown]
	s_waitcnt lgkmcnt(4)
	v_sub_f32_e32 v138, v138, v140
	v_mul_f32_e32 v138, v141, v138
	s_waitcnt lgkmcnt(3)
	v_mul_f32_e32 v140, v138, v158
	ds_bpermute_b32 v158, v204, v134 offset:8
	s_waitcnt lgkmcnt(3)
	v_sub_f32_e32 v138, v142, v207
	v_mul_f32_e32 v138, v143, v138
	s_waitcnt lgkmcnt(2)
	v_mul_f32_e32 v142, v138, v168
	s_waitcnt lgkmcnt(1)
	v_sub_f32_e32 v138, v144, v208
	ds_bpermute_b32 v144, v204, v166 offset:12
	v_mul_f32_e32 v138, v139, v138
	s_waitcnt lgkmcnt(1)
	v_mul_f32_e32 v138, v138, v158
	ds_bpermute_b32 v158, v204, v134 offset:12
	ds_bpermute_b32 v168, v204, v166 offset:16
	s_waitcnt lgkmcnt(2)
	v_sub_f32_e32 v144, v146, v144
	v_mul_f32_e32 v144, v147, v144
	ds_bpermute_b32 v207, v204, v134 offset:16
	s_waitcnt lgkmcnt(2)
	v_mul_f32_e32 v146, v144, v158
	s_waitcnt lgkmcnt(1)
	v_sub_f32_e32 v144, v148, v168
	ds_bpermute_b32 v148, v204, v166 offset:20
	ds_bpermute_b32 v158, v204, v134 offset:20
	;; [unrolled: 1-line block ×3, first 2 shown]
	v_pk_add_f32 v[2:3], v[2:3], v[140:141]
	v_mul_f32_e32 v144, v145, v144
	s_waitcnt lgkmcnt(2)
	v_sub_f32_e32 v148, v150, v148
	v_mul_f32_e32 v148, v151, v148
	s_waitcnt lgkmcnt(1)
	v_mul_f32_e32 v150, v148, v158
	s_waitcnt lgkmcnt(0)
	v_sub_f32_e32 v148, v152, v168
	ds_bpermute_b32 v152, v204, v166 offset:28
	ds_bpermute_b32 v158, v204, v134 offset:28
	;; [unrolled: 1-line block ×3, first 2 shown]
	v_pk_add_f32 v[2:3], v[2:3], v[142:143]
	v_mul_f32_e32 v144, v144, v207
	s_waitcnt lgkmcnt(2)
	v_sub_f32_e32 v152, v154, v152
	ds_bpermute_b32 v154, v204, v134 offset:32
	v_mul_f32_e32 v152, v159, v152
	ds_bpermute_b32 v207, v204, v134 offset:24
	s_waitcnt lgkmcnt(3)
	v_mul_f32_e32 v158, v152, v158
	s_waitcnt lgkmcnt(2)
	v_sub_f32_e32 v152, v156, v168
	ds_bpermute_b32 v156, v204, v166 offset:36
	v_pk_add_f32 v[2:3], v[2:3], v[138:139]
	ds_bpermute_b32 v138, v204, v166 offset:44
	v_mul_f32_e32 v152, v153, v152
	s_waitcnt lgkmcnt(3)
	v_mul_f32_e32 v152, v152, v154
	ds_bpermute_b32 v154, v204, v134 offset:36
	ds_bpermute_b32 v139, v204, v134 offset:44
	v_mul_f32_e32 v148, v149, v148
	s_waitcnt lgkmcnt(4)
	v_mul_f32_e32 v148, v148, v207
	ds_bpermute_b32 v207, v204, v166 offset:40
	s_waitcnt lgkmcnt(4)
	v_sub_f32_e32 v156, v160, v156
	s_waitcnt lgkmcnt(3)
	v_sub_f32_e32 v138, v164, v138
	ds_bpermute_b32 v140, v204, v166 offset:48
	v_mul_f32_e32 v156, v169, v156
	v_mul_f32_e32 v138, v157, v138
	ds_bpermute_b32 v160, v204, v134 offset:40
	s_waitcnt lgkmcnt(4)
	v_mul_f32_e32 v168, v156, v154
	s_waitcnt lgkmcnt(3)
	v_mul_f32_e32 v156, v138, v139
	ds_bpermute_b32 v138, v204, v134 offset:48
	ds_bpermute_b32 v139, v204, v166 offset:52
	;; [unrolled: 1-line block ×3, first 2 shown]
	s_waitcnt lgkmcnt(5)
	v_sub_f32_e32 v154, v162, v207
	s_waitcnt lgkmcnt(4)
	v_sub_f32_e32 v140, v170, v140
	v_mul_f32_e32 v154, v163, v154
	v_mul_f32_e32 v140, v155, v140
	s_waitcnt lgkmcnt(3)
	v_mul_f32_e32 v162, v154, v160
	s_waitcnt lgkmcnt(2)
	;; [unrolled: 2-line block ×3, first 2 shown]
	v_sub_f32_e32 v138, v172, v139
	ds_bpermute_b32 v139, v204, v166 offset:56
	v_mul_f32_e32 v138, v165, v138
	s_waitcnt lgkmcnt(1)
	v_mul_f32_e32 v164, v138, v141
	ds_bpermute_b32 v138, v204, v134 offset:56
	ds_bpermute_b32 v140, v204, v166 offset:60
	ds_bpermute_b32 v141, v204, v134 offset:60
	s_waitcnt lgkmcnt(3)
	v_sub_f32_e32 v139, v174, v139
	v_mul_f32_e32 v139, v161, v139
	s_waitcnt lgkmcnt(2)
	v_mul_f32_e32 v160, v139, v138
	s_waitcnt lgkmcnt(1)
	v_sub_f32_e32 v138, v176, v140
	ds_bpermute_b32 v139, v204, v166 offset:64
	v_mul_f32_e32 v138, v173, v138
	s_waitcnt lgkmcnt(1)
	v_mul_f32_e32 v172, v138, v141
	ds_bpermute_b32 v138, v204, v134 offset:64
	ds_bpermute_b32 v140, v204, v166 offset:68
	ds_bpermute_b32 v141, v204, v134 offset:68
	s_waitcnt lgkmcnt(3)
	v_sub_f32_e32 v139, v178, v139
	v_mul_f32_e32 v139, v171, v139
	s_waitcnt lgkmcnt(2)
	v_mul_f32_e32 v170, v139, v138
	s_waitcnt lgkmcnt(1)
	;; [unrolled: 14-line block ×4, first 2 shown]
	v_sub_f32_e32 v138, v192, v140
	v_mul_f32_e32 v138, v189, v138
	s_waitcnt lgkmcnt(0)
	v_mul_f32_e32 v188, v138, v141
	ds_bpermute_b32 v138, v204, v166 offset:88
	ds_bpermute_b32 v139, v204, v134 offset:88
	;; [unrolled: 1-line block ×4, first 2 shown]
	v_pk_add_f32 v[2:3], v[2:3], v[146:147]
	s_waitcnt lgkmcnt(3)
	v_sub_f32_e32 v138, v186, v138
	v_mul_f32_e32 v138, v179, v138
	s_waitcnt lgkmcnt(2)
	v_mul_f32_e32 v178, v138, v139
	s_waitcnt lgkmcnt(1)
	v_sub_f32_e32 v138, v190, v140
	ds_bpermute_b32 v139, v204, v166 offset:96
	v_mul_f32_e32 v138, v187, v138
	s_waitcnt lgkmcnt(1)
	v_mul_f32_e32 v186, v138, v141
	ds_bpermute_b32 v138, v204, v134 offset:96
	ds_bpermute_b32 v140, v204, v166 offset:100
	;; [unrolled: 1-line block ×3, first 2 shown]
	v_pk_add_f32 v[2:3], v[2:3], v[144:145]
	s_waitcnt lgkmcnt(3)
	v_sub_f32_e32 v139, v194, v139
	v_pk_add_f32 v[2:3], v[2:3], v[150:151]
	v_mul_f32_e32 v139, v185, v139
	v_pk_add_f32 v[2:3], v[2:3], v[148:149]
	s_waitcnt lgkmcnt(2)
	v_mul_f32_e32 v184, v139, v138
	s_waitcnt lgkmcnt(1)
	v_sub_f32_e32 v138, v196, v140
	ds_bpermute_b32 v139, v204, v166 offset:104
	v_pk_add_f32 v[2:3], v[2:3], v[158:159]
	v_mul_f32_e32 v138, v193, v138
	v_pk_add_f32 v[2:3], v[2:3], v[152:153]
	s_waitcnt lgkmcnt(1)
	v_mul_f32_e32 v192, v138, v141
	ds_bpermute_b32 v138, v204, v134 offset:104
	ds_bpermute_b32 v140, v204, v166 offset:108
	v_pk_add_f32 v[2:3], v[2:3], v[168:169]
	v_pk_add_f32 v[2:3], v[2:3], v[162:163]
	ds_bpermute_b32 v141, v204, v134 offset:108
	v_pk_add_f32 v[2:3], v[2:3], v[156:157]
	s_waitcnt lgkmcnt(3)
	v_sub_f32_e32 v139, v198, v139
	v_pk_add_f32 v[2:3], v[2:3], v[154:155]
	v_mul_f32_e32 v139, v191, v139
	v_pk_add_f32 v[2:3], v[2:3], v[164:165]
	s_waitcnt lgkmcnt(2)
	v_mul_f32_e32 v190, v139, v138
	s_waitcnt lgkmcnt(1)
	v_sub_f32_e32 v138, v200, v140
	ds_bpermute_b32 v139, v204, v166 offset:112
	v_pk_add_f32 v[2:3], v[2:3], v[160:161]
	v_mul_f32_e32 v138, v197, v138
	v_pk_add_f32 v[2:3], v[2:3], v[172:173]
	s_waitcnt lgkmcnt(1)
	v_mul_f32_e32 v196, v138, v141
	ds_bpermute_b32 v138, v204, v134 offset:112
	ds_bpermute_b32 v140, v204, v166 offset:116
	v_pk_add_f32 v[2:3], v[2:3], v[170:171]
	v_pk_add_f32 v[2:3], v[2:3], v[176:177]
	ds_bpermute_b32 v141, v204, v134 offset:116
	v_pk_add_f32 v[2:3], v[2:3], v[174:175]
	s_waitcnt lgkmcnt(3)
	v_sub_f32_e32 v139, v202, v139
	v_pk_add_f32 v[2:3], v[2:3], v[182:183]
	v_mul_f32_e32 v139, v195, v139
	v_pk_add_f32 v[2:3], v[2:3], v[180:181]
	s_waitcnt lgkmcnt(2)
	v_mul_f32_e32 v194, v139, v138
	s_waitcnt lgkmcnt(1)
	v_sub_f32_e32 v138, v206, v140
	v_pk_add_f32 v[2:3], v[2:3], v[188:189]
	v_mul_f32_e32 v138, v201, v138
	s_waitcnt lgkmcnt(0)
	v_mul_f32_e32 v200, v138, v141
	v_pk_add_f32 v[2:3], v[2:3], v[178:179]
	ds_bpermute_b32 v138, v204, v166 offset:120
	v_pk_add_f32 v[2:3], v[2:3], v[186:187]
	v_pk_add_f32 v[2:3], v[2:3], v[184:185]
	ds_bpermute_b32 v139, v204, v134 offset:120
	v_pk_add_f32 v[2:3], v[2:3], v[192:193]
	v_pk_add_f32 v[2:3], v[2:3], v[190:191]
	;; [unrolled: 1-line block ×3, first 2 shown]
	s_waitcnt lgkmcnt(1)
	v_sub_f32_e32 v138, v203, v138
	v_pk_add_f32 v[2:3], v[2:3], v[194:195]
	v_mul_f32_e32 v138, v199, v138
	v_pk_add_f32 v[2:3], v[2:3], v[200:201]
	s_waitcnt lgkmcnt(0)
	v_mul_f32_e32 v198, v138, v139
	ds_bpermute_b32 v134, v204, v134 offset:124
	ds_bpermute_b32 v142, v204, v166 offset:124
	v_pk_add_f32 v[140:141], v[2:3], v[198:199]
.LBB51_4:                               ;   in Loop: Header=BB51_5 Depth=1
	s_waitcnt lgkmcnt(0)
	v_sub_f32_e32 v2, v205, v142
	v_mul_f32_e32 v2, v167, v2
	v_mul_f32_e32 v166, v2, v134
	v_mov_b32_e32 v134, s33
	v_add_co_u32_e64 v4, s[10:11], s7, v4
	v_addc_co_u32_e64 v131, s[10:11], v131, v134, s[10:11]
	v_mov_b32_e32 v134, s31
	v_add_co_u32_e64 v6, s[10:11], s30, v6
	v_addc_co_u32_e64 v1, s[10:11], v1, v134, s[10:11]
	v_add_co_u32_e64 v8, s[10:11], s30, v8
	v_addc_co_u32_e64 v5, s[10:11], v5, v134, s[10:11]
	v_add_co_u32_e64 v10, s[10:11], s30, v10
	v_addc_co_u32_e64 v7, s[10:11], v7, v134, s[10:11]
	v_add_co_u32_e64 v12, s[10:11], s30, v12
	v_addc_co_u32_e64 v9, s[10:11], v9, v134, s[10:11]
	v_add_co_u32_e64 v14, s[10:11], s30, v14
	v_addc_co_u32_e64 v11, s[10:11], v11, v134, s[10:11]
	v_add_co_u32_e64 v16, s[10:11], s30, v16
	v_addc_co_u32_e64 v13, s[10:11], v13, v134, s[10:11]
	v_add_co_u32_e64 v18, s[10:11], s30, v18
	v_addc_co_u32_e64 v15, s[10:11], v15, v134, s[10:11]
	v_add_co_u32_e64 v20, s[10:11], s30, v20
	v_addc_co_u32_e64 v17, s[10:11], v17, v134, s[10:11]
	v_add_co_u32_e64 v22, s[10:11], s30, v22
	v_addc_co_u32_e64 v19, s[10:11], v19, v134, s[10:11]
	v_add_co_u32_e64 v24, s[10:11], s30, v24
	v_addc_co_u32_e64 v21, s[10:11], v21, v134, s[10:11]
	v_add_co_u32_e64 v26, s[10:11], s30, v26
	v_addc_co_u32_e64 v23, s[10:11], v23, v134, s[10:11]
	v_add_co_u32_e64 v28, s[10:11], s30, v28
	v_addc_co_u32_e64 v25, s[10:11], v25, v134, s[10:11]
	v_add_co_u32_e64 v30, s[10:11], s30, v30
	v_addc_co_u32_e64 v27, s[10:11], v27, v134, s[10:11]
	v_add_co_u32_e64 v32, s[10:11], s30, v32
	v_addc_co_u32_e64 v29, s[10:11], v29, v134, s[10:11]
	v_add_co_u32_e64 v34, s[10:11], s30, v34
	v_addc_co_u32_e64 v31, s[10:11], v31, v134, s[10:11]
	v_add_co_u32_e64 v36, s[10:11], s30, v36
	v_addc_co_u32_e64 v33, s[10:11], v33, v134, s[10:11]
	v_add_co_u32_e64 v38, s[10:11], s30, v38
	v_addc_co_u32_e64 v35, s[10:11], v35, v134, s[10:11]
	v_add_co_u32_e64 v40, s[10:11], s30, v40
	v_addc_co_u32_e64 v37, s[10:11], v37, v134, s[10:11]
	v_add_co_u32_e64 v42, s[10:11], s30, v42
	v_addc_co_u32_e64 v39, s[10:11], v39, v134, s[10:11]
	v_add_co_u32_e64 v44, s[10:11], s30, v44
	v_addc_co_u32_e64 v41, s[10:11], v41, v134, s[10:11]
	v_add_co_u32_e64 v46, s[10:11], s30, v46
	v_addc_co_u32_e64 v43, s[10:11], v43, v134, s[10:11]
	v_add_co_u32_e64 v48, s[10:11], s30, v48
	v_addc_co_u32_e64 v45, s[10:11], v45, v134, s[10:11]
	v_add_co_u32_e64 v50, s[10:11], s30, v50
	v_addc_co_u32_e64 v47, s[10:11], v47, v134, s[10:11]
	v_add_co_u32_e64 v52, s[10:11], s30, v52
	v_addc_co_u32_e64 v49, s[10:11], v49, v134, s[10:11]
	v_add_co_u32_e64 v54, s[10:11], s30, v54
	v_addc_co_u32_e64 v51, s[10:11], v51, v134, s[10:11]
	v_add_co_u32_e64 v56, s[10:11], s30, v56
	v_addc_co_u32_e64 v53, s[10:11], v53, v134, s[10:11]
	v_add_co_u32_e64 v58, s[10:11], s30, v58
	v_addc_co_u32_e64 v55, s[10:11], v55, v134, s[10:11]
	v_add_co_u32_e64 v60, s[10:11], s30, v60
	v_addc_co_u32_e64 v57, s[10:11], v57, v134, s[10:11]
	v_add_co_u32_e64 v62, s[10:11], s30, v62
	v_addc_co_u32_e64 v59, s[10:11], v59, v134, s[10:11]
	v_add_co_u32_e64 v64, s[10:11], s30, v64
	v_addc_co_u32_e64 v61, s[10:11], v61, v134, s[10:11]
	v_add_co_u32_e64 v66, s[10:11], s30, v66
	v_addc_co_u32_e64 v63, s[10:11], v63, v134, s[10:11]
	v_add_co_u32_e64 v68, s[10:11], s30, v68
	v_addc_co_u32_e64 v65, s[10:11], v65, v134, s[10:11]
	v_add_co_u32_e64 v70, s[10:11], s30, v70
	v_addc_co_u32_e64 v67, s[10:11], v67, v134, s[10:11]
	v_add_co_u32_e64 v72, s[10:11], s30, v72
	v_addc_co_u32_e64 v69, s[10:11], v69, v134, s[10:11]
	v_add_co_u32_e64 v74, s[10:11], s30, v74
	v_addc_co_u32_e64 v71, s[10:11], v71, v134, s[10:11]
	v_add_co_u32_e64 v76, s[10:11], s30, v76
	v_addc_co_u32_e64 v73, s[10:11], v73, v134, s[10:11]
	v_add_co_u32_e64 v78, s[10:11], s30, v78
	v_addc_co_u32_e64 v75, s[10:11], v75, v134, s[10:11]
	v_add_co_u32_e64 v80, s[10:11], s30, v80
	v_addc_co_u32_e64 v77, s[10:11], v77, v134, s[10:11]
	v_add_co_u32_e64 v82, s[10:11], s30, v82
	v_addc_co_u32_e64 v79, s[10:11], v79, v134, s[10:11]
	v_add_co_u32_e64 v84, s[10:11], s30, v84
	v_addc_co_u32_e64 v81, s[10:11], v81, v134, s[10:11]
	v_add_co_u32_e64 v86, s[10:11], s30, v86
	v_addc_co_u32_e64 v83, s[10:11], v83, v134, s[10:11]
	v_add_co_u32_e64 v88, s[10:11], s30, v88
	v_addc_co_u32_e64 v85, s[10:11], v85, v134, s[10:11]
	v_add_co_u32_e64 v90, s[10:11], s30, v90
	v_addc_co_u32_e64 v87, s[10:11], v87, v134, s[10:11]
	v_add_co_u32_e64 v92, s[10:11], s30, v92
	v_addc_co_u32_e64 v89, s[10:11], v89, v134, s[10:11]
	v_add_co_u32_e64 v94, s[10:11], s30, v94
	v_addc_co_u32_e64 v91, s[10:11], v91, v134, s[10:11]
	v_add_co_u32_e64 v96, s[10:11], s30, v96
	v_addc_co_u32_e64 v93, s[10:11], v93, v134, s[10:11]
	v_add_co_u32_e64 v98, s[10:11], s30, v98
	v_addc_co_u32_e64 v95, s[10:11], v95, v134, s[10:11]
	v_add_co_u32_e64 v100, s[10:11], s30, v100
	v_addc_co_u32_e64 v97, s[10:11], v97, v134, s[10:11]
	v_add_co_u32_e64 v102, s[10:11], s30, v102
	v_addc_co_u32_e64 v99, s[10:11], v99, v134, s[10:11]
	v_add_co_u32_e64 v104, s[10:11], s30, v104
	v_addc_co_u32_e64 v101, s[10:11], v101, v134, s[10:11]
	v_add_co_u32_e64 v106, s[10:11], s30, v106
	v_addc_co_u32_e64 v103, s[10:11], v103, v134, s[10:11]
	v_add_co_u32_e64 v108, s[10:11], s30, v108
	v_addc_co_u32_e64 v105, s[10:11], v105, v134, s[10:11]
	v_add_co_u32_e64 v110, s[10:11], s30, v110
	v_addc_co_u32_e64 v107, s[10:11], v107, v134, s[10:11]
	v_add_co_u32_e64 v112, s[10:11], s30, v112
	v_addc_co_u32_e64 v109, s[10:11], v109, v134, s[10:11]
	v_add_co_u32_e64 v114, s[10:11], s30, v114
	v_addc_co_u32_e64 v111, s[10:11], v111, v134, s[10:11]
	v_add_co_u32_e64 v116, s[10:11], s30, v116
	v_addc_co_u32_e64 v113, s[10:11], v113, v134, s[10:11]
	v_add_co_u32_e64 v118, s[10:11], s30, v118
	v_addc_co_u32_e64 v115, s[10:11], v115, v134, s[10:11]
	v_add_co_u32_e64 v120, s[10:11], s30, v120
	v_addc_co_u32_e64 v117, s[10:11], v117, v134, s[10:11]
	v_add_co_u32_e64 v122, s[10:11], s30, v122
	v_addc_co_u32_e64 v119, s[10:11], v119, v134, s[10:11]
	v_add_co_u32_e64 v124, s[10:11], s30, v124
	v_addc_co_u32_e64 v121, s[10:11], v121, v134, s[10:11]
	v_add_co_u32_e64 v126, s[10:11], s30, v126
	v_addc_co_u32_e64 v123, s[10:11], v123, v134, s[10:11]
	v_add_co_u32_e64 v128, s[10:11], s30, v128
	v_addc_co_u32_e64 v125, s[10:11], v125, v134, s[10:11]
	s_add_u32 s34, s34, s7
	v_add_co_u32_e64 v130, s[10:11], s30, v130
	s_addc_u32 s35, s35, 0
	v_pk_mov_b32 v[138:139], s[12:13], s[12:13] op_sel:[0,1]
	v_addc_co_u32_e64 v127, s[10:11], v127, v134, s[10:11]
	v_cmp_lt_i64_e32 vcc, s[34:35], v[138:139]
	v_add_co_u32_e64 v132, s[10:11], s30, v132
	s_add_u32 s28, s28, s7
	v_pk_add_f32 v[2:3], v[140:141], v[166:167]
	v_addc_co_u32_e64 v129, s[10:11], v129, v134, s[10:11]
	s_addc_u32 s29, s29, 0
	s_cbranch_vccz .LBB51_145
.LBB51_5:                               ; =>This Inner Loop Header: Depth=1
	s_add_u32 s10, s24, s28
	s_addc_u32 s11, 0, s29
	v_pk_mov_b32 v[138:139], s[12:13], s[12:13] op_sel:[0,1]
	v_cmp_ge_i64_e32 vcc, s[10:11], v[138:139]
	v_mov_b32_e32 v134, s25
	v_add_co_u32_e64 v138, s[10:11], s24, v4
	v_addc_co_u32_e64 v139, s[10:11], v134, v131, s[10:11]
	s_cbranch_vccz .LBB51_75
; %bb.6:                                ;   in Loop: Header=BB51_5 Depth=1
	s_load_dword s10, s[26:27], 0xc
	v_mov_b32_e32 v141, 0
	v_mov_b32_e32 v134, 0
	;; [unrolled: 1-line block ×3, first 2 shown]
	s_waitcnt lgkmcnt(0)
	s_and_b32 s10, s10, 0xffff
	v_mad_u32_u24 v140, v0, s10, v133
	v_and_b32_e32 v140, 63, v140
	v_cmp_gt_u32_e32 vcc, 32, v140
	s_and_saveexec_b64 s[10:11], vcc
	s_cbranch_execz .LBB51_10
; %bb.7:                                ;   in Loop: Header=BB51_5 Depth=1
	v_add_co_u32_e32 v142, vcc, v138, v140
	v_addc_co_u32_e32 v143, vcc, 0, v139, vcc
	v_cmp_gt_i64_e32 vcc, s[12:13], v[142:143]
	v_mov_b32_e32 v166, 0
	v_mov_b32_e32 v134, 0
	s_and_saveexec_b64 s[36:37], vcc
	s_cbranch_execz .LBB51_9
; %bb.8:                                ;   in Loop: Header=BB51_5 Depth=1
	v_lshlrev_b64 v[142:143], 2, v[142:143]
	v_mov_b32_e32 v134, s23
	v_add_co_u32_e32 v144, vcc, s22, v142
	v_addc_co_u32_e32 v145, vcc, v134, v143, vcc
	v_mov_b32_e32 v134, s21
	v_add_co_u32_e32 v142, vcc, s20, v142
	v_addc_co_u32_e32 v143, vcc, v134, v143, vcc
	global_load_dword v166, v[142:143], off
	global_load_dword v134, v[144:145], off
.LBB51_9:                               ;   in Loop: Header=BB51_5 Depth=1
	s_or_b64 exec, exec, s[36:37]
.LBB51_10:                              ;   in Loop: Header=BB51_5 Depth=1
	s_or_b64 exec, exec, s[10:11]
	v_cmp_gt_i64_e32 vcc, s[12:13], v[138:139]
	s_and_b64 s[36:37], s[2:3], vcc
	v_mov_b32_e32 v140, 0
	s_and_saveexec_b64 s[10:11], s[36:37]
	s_cbranch_execz .LBB51_12
; %bb.11:                               ;   in Loop: Header=BB51_5 Depth=1
	v_add_co_u32_e32 v140, vcc, v130, v136
	v_addc_co_u32_e32 v141, vcc, v127, v137, vcc
	v_add_co_u32_e32 v142, vcc, v132, v136
	v_addc_co_u32_e32 v143, vcc, v129, v137, vcc
	global_load_dword v141, v[140:141], off
	s_nop 0
	global_load_dword v140, v[142:143], off
.LBB51_12:                              ;   in Loop: Header=BB51_5 Depth=1
	s_or_b64 exec, exec, s[10:11]
	v_add_co_u32_e32 v142, vcc, 1, v138
	v_addc_co_u32_e32 v143, vcc, 0, v139, vcc
	v_cmp_gt_i64_e32 vcc, s[12:13], v[142:143]
	s_and_b64 s[36:37], s[2:3], vcc
	v_mov_b32_e32 v143, 0
	v_mov_b32_e32 v145, 0
	v_mov_b32_e32 v142, 0
	s_and_saveexec_b64 s[10:11], s[36:37]
	s_cbranch_execz .LBB51_14
; %bb.13:                               ;   in Loop: Header=BB51_5 Depth=1
	v_add_co_u32_e32 v144, vcc, v126, v136
	v_addc_co_u32_e32 v145, vcc, v123, v137, vcc
	v_add_co_u32_e32 v146, vcc, v128, v136
	v_addc_co_u32_e32 v147, vcc, v125, v137, vcc
	global_load_dword v145, v[144:145], off
	s_nop 0
	global_load_dword v142, v[146:147], off
.LBB51_14:                              ;   in Loop: Header=BB51_5 Depth=1
	s_or_b64 exec, exec, s[10:11]
	v_add_co_u32_e32 v146, vcc, 2, v138
	v_addc_co_u32_e32 v147, vcc, 0, v139, vcc
	v_cmp_gt_i64_e32 vcc, s[12:13], v[146:147]
	s_and_b64 s[36:37], s[2:3], vcc
	v_mov_b32_e32 v146, 0
	s_and_saveexec_b64 s[10:11], s[36:37]
	s_cbranch_execz .LBB51_16
; %bb.15:                               ;   in Loop: Header=BB51_5 Depth=1
	v_add_co_u32_e32 v146, vcc, v122, v136
	v_addc_co_u32_e32 v147, vcc, v119, v137, vcc
	global_load_dword v143, v[146:147], off
	v_add_co_u32_e32 v146, vcc, v124, v136
	v_addc_co_u32_e32 v147, vcc, v121, v137, vcc
	global_load_dword v146, v[146:147], off
.LBB51_16:                              ;   in Loop: Header=BB51_5 Depth=1
	s_or_b64 exec, exec, s[10:11]
	v_add_co_u32_e32 v148, vcc, 3, v138
	v_addc_co_u32_e32 v149, vcc, 0, v139, vcc
	v_cmp_gt_i64_e32 vcc, s[12:13], v[148:149]
	s_and_b64 s[36:37], s[2:3], vcc
	v_mov_b32_e32 v147, 0
	v_mov_b32_e32 v149, 0
	v_mov_b32_e32 v148, 0
	s_and_saveexec_b64 s[10:11], s[36:37]
	s_cbranch_execz .LBB51_18
; %bb.17:                               ;   in Loop: Header=BB51_5 Depth=1
	v_add_co_u32_e32 v148, vcc, v118, v136
	v_addc_co_u32_e32 v149, vcc, v115, v137, vcc
	v_add_co_u32_e32 v150, vcc, v120, v136
	v_addc_co_u32_e32 v151, vcc, v117, v137, vcc
	global_load_dword v149, v[148:149], off
	s_nop 0
	global_load_dword v148, v[150:151], off
.LBB51_18:                              ;   in Loop: Header=BB51_5 Depth=1
	s_or_b64 exec, exec, s[10:11]
	v_add_co_u32_e32 v150, vcc, 4, v138
	v_addc_co_u32_e32 v151, vcc, 0, v139, vcc
	v_cmp_gt_i64_e32 vcc, s[12:13], v[150:151]
	s_and_b64 s[36:37], s[2:3], vcc
	v_mov_b32_e32 v150, 0
	s_and_saveexec_b64 s[10:11], s[36:37]
	s_cbranch_execz .LBB51_20
; %bb.19:                               ;   in Loop: Header=BB51_5 Depth=1
	v_add_co_u32_e32 v150, vcc, v114, v136
	v_addc_co_u32_e32 v151, vcc, v111, v137, vcc
	global_load_dword v147, v[150:151], off
	v_add_co_u32_e32 v150, vcc, v116, v136
	v_addc_co_u32_e32 v151, vcc, v113, v137, vcc
	global_load_dword v150, v[150:151], off
.LBB51_20:                              ;   in Loop: Header=BB51_5 Depth=1
	;; [unrolled: 35-line block ×4, first 2 shown]
	s_or_b64 exec, exec, s[10:11]
	v_add_co_u32_e32 v160, vcc, 9, v138
	v_addc_co_u32_e32 v161, vcc, 0, v139, vcc
	v_cmp_gt_i64_e32 vcc, s[12:13], v[160:161]
	s_and_b64 s[36:37], s[2:3], vcc
	v_mov_b32_e32 v163, 0
	v_mov_b32_e32 v165, 0
	v_mov_b32_e32 v160, 0
	s_and_saveexec_b64 s[10:11], s[36:37]
	s_cbranch_execz .LBB51_30
; %bb.29:                               ;   in Loop: Header=BB51_5 Depth=1
	v_add_co_u32_e32 v160, vcc, v94, v136
	v_addc_co_u32_e32 v161, vcc, v91, v137, vcc
	global_load_dword v165, v[160:161], off
	v_add_co_u32_e32 v160, vcc, v96, v136
	v_addc_co_u32_e32 v161, vcc, v93, v137, vcc
	global_load_dword v160, v[160:161], off
.LBB51_30:                              ;   in Loop: Header=BB51_5 Depth=1
	s_or_b64 exec, exec, s[10:11]
	v_add_co_u32_e32 v168, vcc, 10, v138
	v_addc_co_u32_e32 v169, vcc, 0, v139, vcc
	v_cmp_gt_i64_e32 vcc, s[12:13], v[168:169]
	s_and_b64 s[36:37], s[2:3], vcc
	v_mov_b32_e32 v162, 0
	s_and_saveexec_b64 s[10:11], s[36:37]
	s_cbranch_execz .LBB51_32
; %bb.31:                               ;   in Loop: Header=BB51_5 Depth=1
	v_add_co_u32_e32 v162, vcc, v90, v136
	v_addc_co_u32_e32 v163, vcc, v87, v137, vcc
	v_add_co_u32_e32 v168, vcc, v92, v136
	v_addc_co_u32_e32 v169, vcc, v89, v137, vcc
	global_load_dword v163, v[162:163], off
	s_nop 0
	global_load_dword v162, v[168:169], off
.LBB51_32:                              ;   in Loop: Header=BB51_5 Depth=1
	s_or_b64 exec, exec, s[10:11]
	v_add_co_u32_e32 v168, vcc, 11, v138
	v_addc_co_u32_e32 v169, vcc, 0, v139, vcc
	v_cmp_gt_i64_e32 vcc, s[12:13], v[168:169]
	s_and_b64 s[36:37], s[2:3], vcc
	v_mov_b32_e32 v159, 0
	v_mov_b32_e32 v161, 0
	v_mov_b32_e32 v168, 0
	s_and_saveexec_b64 s[10:11], s[36:37]
	s_cbranch_execz .LBB51_34
; %bb.33:                               ;   in Loop: Header=BB51_5 Depth=1
	v_add_co_u32_e32 v168, vcc, v86, v136
	v_addc_co_u32_e32 v169, vcc, v83, v137, vcc
	global_load_dword v161, v[168:169], off
	v_add_co_u32_e32 v168, vcc, v88, v136
	v_addc_co_u32_e32 v169, vcc, v85, v137, vcc
	global_load_dword v168, v[168:169], off
.LBB51_34:                              ;   in Loop: Header=BB51_5 Depth=1
	s_or_b64 exec, exec, s[10:11]
	v_add_co_u32_e32 v170, vcc, 12, v138
	v_addc_co_u32_e32 v171, vcc, 0, v139, vcc
	v_cmp_gt_i64_e32 vcc, s[12:13], v[170:171]
	s_and_b64 s[36:37], s[2:3], vcc
	v_mov_b32_e32 v170, 0
	s_and_saveexec_b64 s[10:11], s[36:37]
	s_cbranch_execz .LBB51_36
; %bb.35:                               ;   in Loop: Header=BB51_5 Depth=1
	v_add_co_u32_e32 v170, vcc, v82, v136
	v_addc_co_u32_e32 v171, vcc, v79, v137, vcc
	global_load_dword v159, v[170:171], off
	v_add_co_u32_e32 v170, vcc, v84, v136
	v_addc_co_u32_e32 v171, vcc, v81, v137, vcc
	global_load_dword v170, v[170:171], off
.LBB51_36:                              ;   in Loop: Header=BB51_5 Depth=1
	s_or_b64 exec, exec, s[10:11]
	v_add_co_u32_e32 v172, vcc, 13, v138
	v_addc_co_u32_e32 v173, vcc, 0, v139, vcc
	v_cmp_gt_i64_e32 vcc, s[12:13], v[172:173]
	s_and_b64 s[36:37], s[2:3], vcc
	v_mov_b32_e32 v169, 0
	v_mov_b32_e32 v171, 0
	v_mov_b32_e32 v172, 0
	s_and_saveexec_b64 s[10:11], s[36:37]
	s_cbranch_execz .LBB51_38
; %bb.37:                               ;   in Loop: Header=BB51_5 Depth=1
	v_add_co_u32_e32 v172, vcc, v78, v136
	v_addc_co_u32_e32 v173, vcc, v75, v137, vcc
	global_load_dword v171, v[172:173], off
	v_add_co_u32_e32 v172, vcc, v80, v136
	v_addc_co_u32_e32 v173, vcc, v77, v137, vcc
	global_load_dword v172, v[172:173], off
.LBB51_38:                              ;   in Loop: Header=BB51_5 Depth=1
	s_or_b64 exec, exec, s[10:11]
	v_add_co_u32_e32 v174, vcc, 14, v138
	v_addc_co_u32_e32 v175, vcc, 0, v139, vcc
	v_cmp_gt_i64_e32 vcc, s[12:13], v[174:175]
	s_and_b64 s[36:37], s[2:3], vcc
	v_mov_b32_e32 v174, 0
	s_and_saveexec_b64 s[10:11], s[36:37]
	s_cbranch_execz .LBB51_40
; %bb.39:                               ;   in Loop: Header=BB51_5 Depth=1
	v_add_co_u32_e32 v174, vcc, v74, v136
	v_addc_co_u32_e32 v175, vcc, v71, v137, vcc
	global_load_dword v169, v[174:175], off
	v_add_co_u32_e32 v174, vcc, v76, v136
	v_addc_co_u32_e32 v175, vcc, v73, v137, vcc
	global_load_dword v174, v[174:175], off
.LBB51_40:                              ;   in Loop: Header=BB51_5 Depth=1
	;; [unrolled: 34-line block ×4, first 2 shown]
	s_or_b64 exec, exec, s[10:11]
	v_add_co_u32_e32 v184, vcc, 19, v138
	v_addc_co_u32_e32 v185, vcc, 0, v139, vcc
	v_cmp_gt_i64_e32 vcc, s[12:13], v[184:185]
	s_and_b64 s[36:37], s[2:3], vcc
	v_mov_b32_e32 v183, 0
	v_mov_b32_e32 v185, 0
	;; [unrolled: 1-line block ×3, first 2 shown]
	s_and_saveexec_b64 s[10:11], s[36:37]
	s_cbranch_execz .LBB51_50
; %bb.49:                               ;   in Loop: Header=BB51_5 Depth=1
	v_add_co_u32_e32 v184, vcc, v54, v136
	v_addc_co_u32_e32 v185, vcc, v51, v137, vcc
	v_add_co_u32_e32 v186, vcc, v56, v136
	v_addc_co_u32_e32 v187, vcc, v53, v137, vcc
	global_load_dword v185, v[184:185], off
	s_nop 0
	global_load_dword v184, v[186:187], off
.LBB51_50:                              ;   in Loop: Header=BB51_5 Depth=1
	s_or_b64 exec, exec, s[10:11]
	v_add_co_u32_e32 v186, vcc, 20, v138
	v_addc_co_u32_e32 v187, vcc, 0, v139, vcc
	v_cmp_gt_i64_e32 vcc, s[12:13], v[186:187]
	s_and_b64 s[36:37], s[2:3], vcc
	v_mov_b32_e32 v186, 0
	s_and_saveexec_b64 s[10:11], s[36:37]
	s_cbranch_execz .LBB51_52
; %bb.51:                               ;   in Loop: Header=BB51_5 Depth=1
	v_add_co_u32_e32 v186, vcc, v50, v136
	v_addc_co_u32_e32 v187, vcc, v47, v137, vcc
	global_load_dword v183, v[186:187], off
	v_add_co_u32_e32 v186, vcc, v52, v136
	v_addc_co_u32_e32 v187, vcc, v49, v137, vcc
	global_load_dword v186, v[186:187], off
.LBB51_52:                              ;   in Loop: Header=BB51_5 Depth=1
	s_or_b64 exec, exec, s[10:11]
	v_add_co_u32_e32 v188, vcc, 21, v138
	v_addc_co_u32_e32 v189, vcc, 0, v139, vcc
	v_cmp_gt_i64_e32 vcc, s[12:13], v[188:189]
	s_and_b64 s[36:37], s[2:3], vcc
	v_mov_b32_e32 v181, 0
	v_mov_b32_e32 v191, 0
	v_mov_b32_e32 v190, 0
	s_and_saveexec_b64 s[10:11], s[36:37]
	s_cbranch_execz .LBB51_54
; %bb.53:                               ;   in Loop: Header=BB51_5 Depth=1
	v_add_co_u32_e32 v188, vcc, v46, v136
	v_addc_co_u32_e32 v189, vcc, v43, v137, vcc
	global_load_dword v191, v[188:189], off
	v_add_co_u32_e32 v188, vcc, v48, v136
	v_addc_co_u32_e32 v189, vcc, v45, v137, vcc
	global_load_dword v190, v[188:189], off
.LBB51_54:                              ;   in Loop: Header=BB51_5 Depth=1
	s_or_b64 exec, exec, s[10:11]
	v_add_co_u32_e32 v188, vcc, 22, v138
	v_addc_co_u32_e32 v189, vcc, 0, v139, vcc
	v_cmp_gt_i64_e32 vcc, s[12:13], v[188:189]
	s_and_b64 s[36:37], s[2:3], vcc
	v_mov_b32_e32 v188, 0
	s_and_saveexec_b64 s[10:11], s[36:37]
	s_cbranch_execz .LBB51_56
; %bb.55:                               ;   in Loop: Header=BB51_5 Depth=1
	v_add_co_u32_e32 v188, vcc, v42, v136
	v_addc_co_u32_e32 v189, vcc, v39, v137, vcc
	global_load_dword v181, v[188:189], off
	v_add_co_u32_e32 v188, vcc, v44, v136
	v_addc_co_u32_e32 v189, vcc, v41, v137, vcc
	global_load_dword v188, v[188:189], off
.LBB51_56:                              ;   in Loop: Header=BB51_5 Depth=1
	s_or_b64 exec, exec, s[10:11]
	v_add_co_u32_e32 v192, vcc, 23, v138
	v_addc_co_u32_e32 v193, vcc, 0, v139, vcc
	v_cmp_gt_i64_e32 vcc, s[12:13], v[192:193]
	s_and_b64 s[36:37], s[2:3], vcc
	v_mov_b32_e32 v187, 0
	v_mov_b32_e32 v189, 0
	v_mov_b32_e32 v192, 0
	s_and_saveexec_b64 s[10:11], s[36:37]
	s_cbranch_execz .LBB51_58
; %bb.57:                               ;   in Loop: Header=BB51_5 Depth=1
	v_add_co_u32_e32 v192, vcc, v38, v136
	v_addc_co_u32_e32 v193, vcc, v35, v137, vcc
	global_load_dword v189, v[192:193], off
	v_add_co_u32_e32 v192, vcc, v40, v136
	v_addc_co_u32_e32 v193, vcc, v37, v137, vcc
	global_load_dword v192, v[192:193], off
.LBB51_58:                              ;   in Loop: Header=BB51_5 Depth=1
	;; [unrolled: 34-line block ×5, first 2 shown]
	s_or_b64 exec, exec, s[10:11]
	v_add_co_u32_e32 v208, vcc, 30, v138
	v_addc_co_u32_e32 v209, vcc, 0, v139, vcc
	v_cmp_gt_i64_e32 vcc, s[12:13], v[208:209]
	s_and_b64 s[36:37], s[2:3], vcc
	v_mov_b32_e32 v206, 0
	s_and_saveexec_b64 s[10:11], s[36:37]
	s_cbranch_execz .LBB51_72
; %bb.71:                               ;   in Loop: Header=BB51_5 Depth=1
	v_add_co_u32_e32 v208, vcc, v10, v136
	v_addc_co_u32_e32 v209, vcc, v7, v137, vcc
	global_load_dword v201, v[208:209], off
	v_add_co_u32_e32 v208, vcc, v12, v136
	v_addc_co_u32_e32 v209, vcc, v9, v137, vcc
	global_load_dword v206, v[208:209], off
.LBB51_72:                              ;   in Loop: Header=BB51_5 Depth=1
	s_or_b64 exec, exec, s[10:11]
	v_add_co_u32_e32 v208, vcc, 31, v138
	v_addc_co_u32_e32 v209, vcc, 0, v139, vcc
	v_cmp_gt_i64_e32 vcc, s[12:13], v[208:209]
	s_and_b64 s[36:37], s[2:3], vcc
	v_mov_b32_e32 v167, 0
	v_mov_b32_e32 v205, 0
	s_and_saveexec_b64 s[10:11], s[36:37]
	s_cbranch_execz .LBB51_74
; %bb.73:                               ;   in Loop: Header=BB51_5 Depth=1
	v_add_co_u32_e32 v208, vcc, v6, v136
	v_addc_co_u32_e32 v209, vcc, v1, v137, vcc
	global_load_dword v167, v[208:209], off
	v_add_co_u32_e32 v208, vcc, v8, v136
	v_addc_co_u32_e32 v209, vcc, v5, v137, vcc
	global_load_dword v205, v[208:209], off
.LBB51_74:                              ;   in Loop: Header=BB51_5 Depth=1
	s_or_b64 exec, exec, s[10:11]
	s_waitcnt vmcnt(1)
	ds_bpermute_b32 v144, v204, v166
	s_waitcnt vmcnt(0)
	ds_bpermute_b32 v164, v204, v134
	ds_bpermute_b32 v209, v204, v166 offset:4
	ds_bpermute_b32 v208, v204, v134 offset:4
	;; [unrolled: 1-line block ×3, first 2 shown]
	s_waitcnt lgkmcnt(4)
	v_sub_f32_e32 v140, v140, v144
	v_mul_f32_e32 v140, v141, v140
	s_waitcnt lgkmcnt(3)
	v_mul_f32_e32 v140, v140, v164
	ds_bpermute_b32 v164, v204, v134 offset:8
	s_waitcnt lgkmcnt(3)
	v_sub_f32_e32 v142, v142, v209
	v_mul_f32_e32 v142, v145, v142
	s_waitcnt lgkmcnt(2)
	v_mul_f32_e32 v144, v142, v208
	s_waitcnt lgkmcnt(1)
	v_sub_f32_e32 v142, v146, v210
	ds_bpermute_b32 v146, v204, v166 offset:12
	v_mul_f32_e32 v142, v143, v142
	s_waitcnt lgkmcnt(1)
	v_mul_f32_e32 v142, v142, v164
	ds_bpermute_b32 v164, v204, v134 offset:12
	ds_bpermute_b32 v208, v204, v166 offset:16
	s_waitcnt lgkmcnt(2)
	v_sub_f32_e32 v146, v148, v146
	v_mul_f32_e32 v146, v149, v146
	v_pk_add_f32 v[140:141], v[2:3], v[140:141]
	s_waitcnt lgkmcnt(1)
	v_mul_f32_e32 v148, v146, v164
	s_waitcnt lgkmcnt(0)
	v_sub_f32_e32 v146, v150, v208
	ds_bpermute_b32 v150, v204, v166 offset:20
	ds_bpermute_b32 v164, v204, v134 offset:20
	;; [unrolled: 1-line block ×3, first 2 shown]
	v_pk_add_f32 v[140:141], v[140:141], v[144:145]
	v_pk_add_f32 v[140:141], v[140:141], v[142:143]
	s_waitcnt lgkmcnt(2)
	v_sub_f32_e32 v150, v152, v150
	v_mul_f32_e32 v150, v153, v150
	s_waitcnt lgkmcnt(1)
	v_mul_f32_e32 v152, v150, v164
	s_waitcnt lgkmcnt(0)
	v_sub_f32_e32 v150, v154, v208
	ds_bpermute_b32 v154, v204, v166 offset:28
	ds_bpermute_b32 v164, v204, v134 offset:28
	;; [unrolled: 1-line block ×5, first 2 shown]
	s_waitcnt lgkmcnt(4)
	v_sub_f32_e32 v154, v156, v154
	v_mul_f32_e32 v154, v157, v154
	s_waitcnt lgkmcnt(3)
	v_mul_f32_e32 v156, v154, v164
	s_waitcnt lgkmcnt(2)
	v_sub_f32_e32 v154, v158, v208
	ds_bpermute_b32 v158, v204, v166 offset:36
	ds_bpermute_b32 v164, v204, v134 offset:36
	;; [unrolled: 1-line block ×3, first 2 shown]
	s_waitcnt lgkmcnt(4)
	v_sub_f32_e32 v142, v168, v142
	ds_bpermute_b32 v144, v204, v166 offset:48
	s_waitcnt lgkmcnt(3)
	v_sub_f32_e32 v158, v160, v158
	ds_bpermute_b32 v160, v204, v134 offset:40
	v_mul_f32_e32 v158, v165, v158
	s_waitcnt lgkmcnt(3)
	v_mul_f32_e32 v164, v158, v164
	s_waitcnt lgkmcnt(2)
	v_sub_f32_e32 v158, v162, v208
	v_mul_f32_e32 v158, v163, v158
	v_mul_f32_e32 v142, v161, v142
	s_waitcnt lgkmcnt(0)
	v_mul_f32_e32 v162, v158, v160
	v_mul_f32_e32 v160, v142, v143
	ds_bpermute_b32 v142, v204, v134 offset:48
	ds_bpermute_b32 v143, v204, v166 offset:52
	;; [unrolled: 1-line block ×3, first 2 shown]
	v_sub_f32_e32 v144, v170, v144
	v_mul_f32_e32 v144, v159, v144
	s_waitcnt lgkmcnt(2)
	v_mul_f32_e32 v158, v144, v142
	s_waitcnt lgkmcnt(1)
	v_sub_f32_e32 v142, v172, v143
	ds_bpermute_b32 v143, v204, v166 offset:56
	v_mul_f32_e32 v142, v171, v142
	s_waitcnt lgkmcnt(1)
	v_mul_f32_e32 v170, v142, v145
	ds_bpermute_b32 v142, v204, v134 offset:56
	ds_bpermute_b32 v144, v204, v166 offset:60
	ds_bpermute_b32 v145, v204, v134 offset:60
	s_waitcnt lgkmcnt(3)
	v_sub_f32_e32 v143, v174, v143
	v_mul_f32_e32 v143, v169, v143
	s_waitcnt lgkmcnt(2)
	v_mul_f32_e32 v168, v143, v142
	s_waitcnt lgkmcnt(1)
	v_sub_f32_e32 v142, v176, v144
	ds_bpermute_b32 v143, v204, v166 offset:64
	v_mul_f32_e32 v142, v175, v142
	s_waitcnt lgkmcnt(1)
	v_mul_f32_e32 v174, v142, v145
	ds_bpermute_b32 v142, v204, v134 offset:64
	ds_bpermute_b32 v144, v204, v166 offset:68
	ds_bpermute_b32 v145, v204, v134 offset:68
	s_waitcnt lgkmcnt(3)
	;; [unrolled: 14-line block ×4, first 2 shown]
	v_sub_f32_e32 v143, v186, v143
	v_mul_f32_e32 v143, v183, v143
	s_waitcnt lgkmcnt(2)
	v_mul_f32_e32 v182, v143, v142
	s_waitcnt lgkmcnt(1)
	v_sub_f32_e32 v142, v190, v144
	v_mul_f32_e32 v142, v191, v142
	s_waitcnt lgkmcnt(0)
	v_mul_f32_e32 v190, v142, v145
	ds_bpermute_b32 v142, v204, v166 offset:88
	ds_bpermute_b32 v209, v204, v134 offset:16
	;; [unrolled: 1-line block ×5, first 2 shown]
	v_mul_f32_e32 v146, v147, v146
	s_waitcnt lgkmcnt(4)
	v_sub_f32_e32 v142, v188, v142
	s_waitcnt lgkmcnt(3)
	v_mul_f32_e32 v146, v146, v209
	ds_bpermute_b32 v209, v204, v134 offset:24
	v_mul_f32_e32 v142, v181, v142
	s_waitcnt lgkmcnt(3)
	v_mul_f32_e32 v180, v142, v143
	s_waitcnt lgkmcnt(2)
	v_sub_f32_e32 v142, v192, v144
	ds_bpermute_b32 v143, v204, v166 offset:96
	v_mul_f32_e32 v142, v189, v142
	s_waitcnt lgkmcnt(2)
	v_mul_f32_e32 v188, v142, v145
	ds_bpermute_b32 v142, v204, v134 offset:96
	ds_bpermute_b32 v144, v204, v166 offset:100
	v_mul_f32_e32 v150, v151, v150
	s_waitcnt lgkmcnt(3)
	v_mul_f32_e32 v150, v150, v209
	ds_bpermute_b32 v209, v204, v134 offset:32
	ds_bpermute_b32 v145, v204, v134 offset:100
	v_pk_add_f32 v[140:141], v[140:141], v[148:149]
	s_waitcnt lgkmcnt(4)
	v_sub_f32_e32 v143, v194, v143
	v_pk_add_f32 v[140:141], v[140:141], v[146:147]
	v_mul_f32_e32 v143, v187, v143
	v_pk_add_f32 v[140:141], v[140:141], v[152:153]
	s_waitcnt lgkmcnt(3)
	v_mul_f32_e32 v186, v143, v142
	s_waitcnt lgkmcnt(2)
	v_sub_f32_e32 v142, v196, v144
	ds_bpermute_b32 v143, v204, v166 offset:104
	v_mul_f32_e32 v154, v155, v154
	v_pk_add_f32 v[140:141], v[140:141], v[150:151]
	v_mul_f32_e32 v142, v195, v142
	s_waitcnt lgkmcnt(2)
	v_mul_f32_e32 v154, v154, v209
	v_pk_add_f32 v[140:141], v[140:141], v[156:157]
	s_waitcnt lgkmcnt(1)
	v_mul_f32_e32 v194, v142, v145
	ds_bpermute_b32 v142, v204, v134 offset:104
	ds_bpermute_b32 v144, v204, v166 offset:108
	v_pk_add_f32 v[140:141], v[140:141], v[154:155]
	v_pk_add_f32 v[140:141], v[140:141], v[164:165]
	ds_bpermute_b32 v145, v204, v134 offset:108
	v_pk_add_f32 v[140:141], v[140:141], v[162:163]
	s_waitcnt lgkmcnt(3)
	v_sub_f32_e32 v143, v198, v143
	v_pk_add_f32 v[140:141], v[140:141], v[160:161]
	v_mul_f32_e32 v143, v193, v143
	v_pk_add_f32 v[140:141], v[140:141], v[158:159]
	s_waitcnt lgkmcnt(2)
	v_mul_f32_e32 v192, v143, v142
	s_waitcnt lgkmcnt(1)
	v_sub_f32_e32 v142, v200, v144
	ds_bpermute_b32 v143, v204, v166 offset:112
	v_pk_add_f32 v[140:141], v[140:141], v[170:171]
	v_mul_f32_e32 v142, v199, v142
	v_pk_add_f32 v[140:141], v[140:141], v[168:169]
	s_waitcnt lgkmcnt(1)
	v_mul_f32_e32 v198, v142, v145
	ds_bpermute_b32 v142, v204, v134 offset:112
	ds_bpermute_b32 v144, v204, v166 offset:116
	v_pk_add_f32 v[140:141], v[140:141], v[174:175]
	v_pk_add_f32 v[140:141], v[140:141], v[172:173]
	ds_bpermute_b32 v145, v204, v134 offset:116
	v_pk_add_f32 v[140:141], v[140:141], v[178:179]
	s_waitcnt lgkmcnt(3)
	v_sub_f32_e32 v143, v202, v143
	v_pk_add_f32 v[140:141], v[140:141], v[176:177]
	v_mul_f32_e32 v143, v197, v143
	v_pk_add_f32 v[140:141], v[140:141], v[184:185]
	s_waitcnt lgkmcnt(2)
	v_mul_f32_e32 v196, v143, v142
	s_waitcnt lgkmcnt(1)
	v_sub_f32_e32 v142, v207, v144
	v_pk_add_f32 v[140:141], v[140:141], v[182:183]
	v_mul_f32_e32 v142, v203, v142
	v_pk_add_f32 v[140:141], v[140:141], v[190:191]
	s_waitcnt lgkmcnt(0)
	v_mul_f32_e32 v202, v142, v145
	ds_bpermute_b32 v142, v204, v166 offset:120
	v_pk_add_f32 v[140:141], v[140:141], v[180:181]
	v_pk_add_f32 v[140:141], v[140:141], v[188:189]
	;; [unrolled: 1-line block ×3, first 2 shown]
	ds_bpermute_b32 v143, v204, v134 offset:120
	v_pk_add_f32 v[140:141], v[140:141], v[194:195]
	v_pk_add_f32 v[140:141], v[140:141], v[192:193]
	s_waitcnt lgkmcnt(1)
	v_sub_f32_e32 v144, v206, v142
	ds_bpermute_b32 v134, v204, v134 offset:124
	ds_bpermute_b32 v142, v204, v166 offset:124
	v_pk_add_f32 v[140:141], v[140:141], v[198:199]
	v_pk_add_f32 v[140:141], v[140:141], v[196:197]
	v_mul_f32_e32 v144, v201, v144
	v_pk_add_f32 v[140:141], v[140:141], v[202:203]
	s_waitcnt lgkmcnt(2)
	v_mul_f32_e32 v200, v144, v143
	v_pk_add_f32 v[140:141], v[140:141], v[200:201]
	s_branch .LBB51_4
.LBB51_75:                              ;   in Loop: Header=BB51_5 Depth=1
                                        ; implicit-def: $vgpr140_vgpr141
                                        ; implicit-def: $vgpr134
                                        ; implicit-def: $vgpr167
                                        ; implicit-def: $vgpr205
                                        ; implicit-def: $vgpr142
	s_cbranch_execz .LBB51_4
; %bb.76:                               ;   in Loop: Header=BB51_5 Depth=1
	s_load_dword s10, s[26:27], 0x0
	v_mov_b32_e32 v141, 0
	s_waitcnt lgkmcnt(0)
	v_mov_b32_e32 v134, 0
	v_mov_b32_e32 v166, 0
	s_cmp_lt_u32 s6, s10
	s_cselect_b32 s10, 12, 18
	s_add_u32 s10, s26, s10
	s_addc_u32 s11, s27, 0
	global_load_ushort v140, v135, s[10:11]
	s_waitcnt vmcnt(0)
	v_mad_u32_u24 v140, v0, v140, v133
	v_and_b32_e32 v140, 63, v140
	v_cmp_gt_u32_e32 vcc, 32, v140
	s_and_saveexec_b64 s[10:11], vcc
	s_cbranch_execz .LBB51_80
; %bb.77:                               ;   in Loop: Header=BB51_5 Depth=1
	v_add_co_u32_e32 v138, vcc, v138, v140
	v_addc_co_u32_e32 v139, vcc, 0, v139, vcc
	v_cmp_gt_i64_e32 vcc, s[12:13], v[138:139]
	v_mov_b32_e32 v166, 0
	v_mov_b32_e32 v134, 0
	s_and_saveexec_b64 s[36:37], vcc
	s_cbranch_execz .LBB51_79
; %bb.78:                               ;   in Loop: Header=BB51_5 Depth=1
	v_lshlrev_b64 v[138:139], 2, v[138:139]
	v_mov_b32_e32 v134, s23
	v_add_co_u32_e32 v142, vcc, s22, v138
	v_addc_co_u32_e32 v143, vcc, v134, v139, vcc
	v_mov_b32_e32 v134, s21
	v_add_co_u32_e32 v138, vcc, s20, v138
	v_addc_co_u32_e32 v139, vcc, v134, v139, vcc
	global_load_dword v166, v[138:139], off
	global_load_dword v134, v[142:143], off
.LBB51_79:                              ;   in Loop: Header=BB51_5 Depth=1
	s_or_b64 exec, exec, s[36:37]
.LBB51_80:                              ;   in Loop: Header=BB51_5 Depth=1
	s_or_b64 exec, exec, s[10:11]
	v_mov_b32_e32 v138, 0
	s_and_saveexec_b64 s[10:11], s[2:3]
	s_cbranch_execz .LBB51_82
; %bb.81:                               ;   in Loop: Header=BB51_5 Depth=1
	v_add_co_u32_e32 v138, vcc, v130, v136
	v_addc_co_u32_e32 v139, vcc, v127, v137, vcc
	global_load_dword v141, v[138:139], off
	v_add_co_u32_e32 v138, vcc, v132, v136
	v_addc_co_u32_e32 v139, vcc, v129, v137, vcc
	global_load_dword v138, v[138:139], off
.LBB51_82:                              ;   in Loop: Header=BB51_5 Depth=1
	s_or_b64 exec, exec, s[10:11]
	v_mov_b32_e32 v139, 0
	v_mov_b32_e32 v143, 0
	v_mov_b32_e32 v142, 0
	s_and_saveexec_b64 s[10:11], s[2:3]
	s_cbranch_execz .LBB51_84
; %bb.83:                               ;   in Loop: Header=BB51_5 Depth=1
	v_add_co_u32_e32 v142, vcc, v126, v136
	v_addc_co_u32_e32 v143, vcc, v123, v137, vcc
	v_add_co_u32_e32 v144, vcc, v128, v136
	v_addc_co_u32_e32 v145, vcc, v125, v137, vcc
	global_load_dword v143, v[142:143], off
	s_nop 0
	global_load_dword v142, v[144:145], off
.LBB51_84:                              ;   in Loop: Header=BB51_5 Depth=1
	s_or_b64 exec, exec, s[10:11]
	v_mov_b32_e32 v144, 0
	s_and_saveexec_b64 s[10:11], s[2:3]
	s_cbranch_execz .LBB51_86
; %bb.85:                               ;   in Loop: Header=BB51_5 Depth=1
	v_add_co_u32_e32 v144, vcc, v122, v136
	v_addc_co_u32_e32 v145, vcc, v119, v137, vcc
	global_load_dword v139, v[144:145], off
	v_add_co_u32_e32 v144, vcc, v124, v136
	v_addc_co_u32_e32 v145, vcc, v121, v137, vcc
	global_load_dword v144, v[144:145], off
.LBB51_86:                              ;   in Loop: Header=BB51_5 Depth=1
	s_or_b64 exec, exec, s[10:11]
	v_mov_b32_e32 v145, 0
	v_mov_b32_e32 v147, 0
	v_mov_b32_e32 v146, 0
	s_and_saveexec_b64 s[10:11], s[2:3]
	s_cbranch_execz .LBB51_88
; %bb.87:                               ;   in Loop: Header=BB51_5 Depth=1
	v_add_co_u32_e32 v146, vcc, v118, v136
	v_addc_co_u32_e32 v147, vcc, v115, v137, vcc
	v_add_co_u32_e32 v148, vcc, v120, v136
	v_addc_co_u32_e32 v149, vcc, v117, v137, vcc
	global_load_dword v147, v[146:147], off
	s_nop 0
	global_load_dword v146, v[148:149], off
.LBB51_88:                              ;   in Loop: Header=BB51_5 Depth=1
	;; [unrolled: 27-line block ×3, first 2 shown]
	s_or_b64 exec, exec, s[10:11]
	v_mov_b32_e32 v152, 0
	s_and_saveexec_b64 s[10:11], s[2:3]
	s_cbranch_execz .LBB51_94
; %bb.93:                               ;   in Loop: Header=BB51_5 Depth=1
	v_add_co_u32_e32 v152, vcc, v106, v136
	v_addc_co_u32_e32 v153, vcc, v103, v137, vcc
	global_load_dword v149, v[152:153], off
	v_add_co_u32_e32 v152, vcc, v108, v136
	v_addc_co_u32_e32 v153, vcc, v105, v137, vcc
	global_load_dword v152, v[152:153], off
.LBB51_94:                              ;   in Loop: Header=BB51_5 Depth=1
	s_or_b64 exec, exec, s[10:11]
	v_mov_b32_e32 v153, 0
	v_mov_b32_e32 v159, 0
	;; [unrolled: 1-line block ×3, first 2 shown]
	s_and_saveexec_b64 s[10:11], s[2:3]
	s_cbranch_execz .LBB51_96
; %bb.95:                               ;   in Loop: Header=BB51_5 Depth=1
	v_add_co_u32_e32 v154, vcc, v102, v136
	v_addc_co_u32_e32 v155, vcc, v99, v137, vcc
	global_load_dword v159, v[154:155], off
	v_add_co_u32_e32 v154, vcc, v104, v136
	v_addc_co_u32_e32 v155, vcc, v101, v137, vcc
	global_load_dword v154, v[154:155], off
.LBB51_96:                              ;   in Loop: Header=BB51_5 Depth=1
	s_or_b64 exec, exec, s[10:11]
	v_mov_b32_e32 v156, 0
	s_and_saveexec_b64 s[10:11], s[2:3]
	s_cbranch_execz .LBB51_98
; %bb.97:                               ;   in Loop: Header=BB51_5 Depth=1
	v_add_co_u32_e32 v156, vcc, v98, v136
	v_addc_co_u32_e32 v157, vcc, v95, v137, vcc
	global_load_dword v153, v[156:157], off
	v_add_co_u32_e32 v156, vcc, v100, v136
	v_addc_co_u32_e32 v157, vcc, v97, v137, vcc
	global_load_dword v156, v[156:157], off
.LBB51_98:                              ;   in Loop: Header=BB51_5 Depth=1
	s_or_b64 exec, exec, s[10:11]
	v_mov_b32_e32 v163, 0
	v_mov_b32_e32 v169, 0
	;; [unrolled: 1-line block ×3, first 2 shown]
	s_and_saveexec_b64 s[10:11], s[2:3]
	s_cbranch_execz .LBB51_100
; %bb.99:                               ;   in Loop: Header=BB51_5 Depth=1
	v_add_co_u32_e32 v160, vcc, v94, v136
	v_addc_co_u32_e32 v161, vcc, v91, v137, vcc
	global_load_dword v169, v[160:161], off
	v_add_co_u32_e32 v160, vcc, v96, v136
	v_addc_co_u32_e32 v161, vcc, v93, v137, vcc
	global_load_dword v160, v[160:161], off
.LBB51_100:                             ;   in Loop: Header=BB51_5 Depth=1
	s_or_b64 exec, exec, s[10:11]
	v_mov_b32_e32 v162, 0
	s_and_saveexec_b64 s[10:11], s[2:3]
	s_cbranch_execz .LBB51_102
; %bb.101:                              ;   in Loop: Header=BB51_5 Depth=1
	v_add_co_u32_e32 v162, vcc, v90, v136
	v_addc_co_u32_e32 v163, vcc, v87, v137, vcc
	v_add_co_u32_e32 v164, vcc, v92, v136
	v_addc_co_u32_e32 v165, vcc, v89, v137, vcc
	global_load_dword v163, v[162:163], off
	s_nop 0
	global_load_dword v162, v[164:165], off
.LBB51_102:                             ;   in Loop: Header=BB51_5 Depth=1
	s_or_b64 exec, exec, s[10:11]
	v_mov_b32_e32 v155, 0
	v_mov_b32_e32 v157, 0
	v_mov_b32_e32 v164, 0
	s_and_saveexec_b64 s[10:11], s[2:3]
	s_cbranch_execz .LBB51_104
; %bb.103:                              ;   in Loop: Header=BB51_5 Depth=1
	v_add_co_u32_e32 v164, vcc, v86, v136
	v_addc_co_u32_e32 v165, vcc, v83, v137, vcc
	global_load_dword v157, v[164:165], off
	v_add_co_u32_e32 v164, vcc, v88, v136
	v_addc_co_u32_e32 v165, vcc, v85, v137, vcc
	global_load_dword v164, v[164:165], off
.LBB51_104:                             ;   in Loop: Header=BB51_5 Depth=1
	s_or_b64 exec, exec, s[10:11]
	v_mov_b32_e32 v170, 0
	s_and_saveexec_b64 s[10:11], s[2:3]
	s_cbranch_execz .LBB51_106
; %bb.105:                              ;   in Loop: Header=BB51_5 Depth=1
	v_add_co_u32_e32 v170, vcc, v82, v136
	v_addc_co_u32_e32 v171, vcc, v79, v137, vcc
	global_load_dword v155, v[170:171], off
	v_add_co_u32_e32 v170, vcc, v84, v136
	v_addc_co_u32_e32 v171, vcc, v81, v137, vcc
	global_load_dword v170, v[170:171], off
.LBB51_106:                             ;   in Loop: Header=BB51_5 Depth=1
	s_or_b64 exec, exec, s[10:11]
	v_mov_b32_e32 v161, 0
	v_mov_b32_e32 v165, 0
	v_mov_b32_e32 v172, 0
	s_and_saveexec_b64 s[10:11], s[2:3]
	s_cbranch_execz .LBB51_108
; %bb.107:                              ;   in Loop: Header=BB51_5 Depth=1
	v_add_co_u32_e32 v172, vcc, v78, v136
	v_addc_co_u32_e32 v173, vcc, v75, v137, vcc
	global_load_dword v165, v[172:173], off
	v_add_co_u32_e32 v172, vcc, v80, v136
	v_addc_co_u32_e32 v173, vcc, v77, v137, vcc
	global_load_dword v172, v[172:173], off
.LBB51_108:                             ;   in Loop: Header=BB51_5 Depth=1
	s_or_b64 exec, exec, s[10:11]
	v_mov_b32_e32 v174, 0
	s_and_saveexec_b64 s[10:11], s[2:3]
	s_cbranch_execz .LBB51_110
; %bb.109:                              ;   in Loop: Header=BB51_5 Depth=1
	v_add_co_u32_e32 v174, vcc, v74, v136
	v_addc_co_u32_e32 v175, vcc, v71, v137, vcc
	global_load_dword v161, v[174:175], off
	v_add_co_u32_e32 v174, vcc, v76, v136
	v_addc_co_u32_e32 v175, vcc, v73, v137, vcc
	global_load_dword v174, v[174:175], off
.LBB51_110:                             ;   in Loop: Header=BB51_5 Depth=1
	;; [unrolled: 26-line block ×10, first 2 shown]
	s_or_b64 exec, exec, s[10:11]
	v_mov_b32_e32 v167, 0
	v_mov_b32_e32 v205, 0
	s_and_saveexec_b64 s[10:11], s[2:3]
	s_cbranch_execz .LBB51_3
; %bb.143:                              ;   in Loop: Header=BB51_5 Depth=1
	v_add_co_u32_e32 v208, vcc, v6, v136
	v_addc_co_u32_e32 v209, vcc, v1, v137, vcc
	global_load_dword v167, v[208:209], off
	v_add_co_u32_e32 v208, vcc, v8, v136
	v_addc_co_u32_e32 v209, vcc, v5, v137, vcc
	global_load_dword v205, v[208:209], off
	s_branch .LBB51_3
.LBB51_144:
                                        ; implicit-def: $vgpr3
	s_branch .LBB51_146
.LBB51_145:
	s_cbranch_execnz .LBB51_227
.LBB51_146:
	v_mov_b32_e32 v3, 0
	s_mov_b32 s7, 0
	s_and_b64 vcc, exec, s[0:1]
	v_mov_b32_e32 v2, v3
	s_cbranch_vccnz .LBB51_227
; %bb.147:
	v_bfe_u32 v208, v255, 10, 10
	s_add_u32 s2, s4, 64
	s_addc_u32 s3, s5, 0
	v_lshlrev_b32_e32 v0, 7, v208
	s_lshl_b64 s[0:1], s[24:25], 2
	v_mov_b32_e32 v1, s1
	v_add_co_u32_e32 v0, vcc, s0, v0
	v_addc_co_u32_e32 v1, vcc, 0, v1, vcc
	v_add_co_u32_e32 v24, vcc, 4, v0
	v_addc_co_u32_e32 v6, vcc, 0, v1, vcc
	;; [unrolled: 2-line block ×10, first 2 shown]
	v_add_co_u32_e32 v52, vcc, 40, v0
	v_pk_mov_b32 v[2:3], s[16:17], s[16:17] op_sel:[0,1]
	v_addc_co_u32_e32 v25, vcc, 0, v1, vcc
	v_pk_mov_b32 v[126:127], s[18:19], s[18:19] op_sel:[0,1]
	v_mad_u64_u32 v[4:5], s[0:1], s14, v24, v[2:3]
	v_mul_lo_u32 v26, s14, v6
	v_mul_lo_u32 v27, s15, v24
	;; [unrolled: 1-line block ×3, first 2 shown]
	v_mad_u64_u32 v[24:25], s[0:1], s14, v24, v[126:127]
	v_add3_u32 v5, v27, v5, v26
	v_mad_u64_u32 v[6:7], s[0:1], s14, v28, v[2:3]
	v_mul_lo_u32 v29, s14, v8
	v_mul_lo_u32 v30, s15, v28
	v_add3_u32 v25, v27, v25, v26
	v_mad_u64_u32 v[26:27], s[0:1], s14, v28, v[126:127]
	v_add3_u32 v7, v30, v7, v29
	v_mad_u64_u32 v[8:9], s[0:1], s14, v31, v[2:3]
	v_mul_lo_u32 v32, s14, v10
	v_mul_lo_u32 v33, s15, v31
	v_add3_u32 v27, v30, v27, v29
	v_mad_u64_u32 v[28:29], s[0:1], s14, v31, v[126:127]
	v_add3_u32 v9, v33, v9, v32
	v_mad_u64_u32 v[10:11], s[0:1], s14, v34, v[2:3]
	v_mul_lo_u32 v35, s14, v12
	v_mul_lo_u32 v36, s15, v34
	v_add_co_u32_e32 v55, vcc, 44, v0
	v_add3_u32 v29, v33, v29, v32
	v_mad_u64_u32 v[32:33], s[0:1], s14, v34, v[126:127]
	v_add3_u32 v11, v36, v11, v35
	v_mad_u64_u32 v[12:13], s[0:1], s14, v37, v[2:3]
	v_mul_lo_u32 v38, s14, v14
	v_mul_lo_u32 v39, s15, v37
	v_mad_u64_u32 v[14:15], s[0:1], s14, v40, v[2:3]
	v_mul_lo_u32 v41, s14, v16
	v_mul_lo_u32 v42, s15, v40
	v_addc_co_u32_e32 v56, vcc, 0, v1, vcc
	v_add3_u32 v33, v36, v33, v35
	v_mad_u64_u32 v[34:35], s[0:1], s14, v37, v[126:127]
	v_mad_u64_u32 v[36:37], s[0:1], s14, v40, v[126:127]
	v_add3_u32 v15, v42, v15, v41
	v_mul_lo_u32 v44, s14, v18
	v_mad_u64_u32 v[18:19], s[0:1], s14, v46, v[2:3]
	v_mul_lo_u32 v47, s14, v20
	v_mul_lo_u32 v48, s15, v46
	v_add3_u32 v37, v42, v37, v41
	v_add_co_u32_e32 v58, vcc, 48, v0
	v_mad_u64_u32 v[40:41], s[0:1], s14, v46, v[126:127]
	v_add3_u32 v19, v48, v19, v47
	v_mul_lo_u32 v50, s14, v22
	v_mad_u64_u32 v[22:23], s[0:1], s14, v52, v[2:3]
	v_mul_lo_u32 v54, s15, v52
	v_addc_co_u32_e32 v59, vcc, 0, v1, vcc
	v_add3_u32 v41, v48, v41, v47
	v_mad_u64_u32 v[46:47], s[0:1], s14, v52, v[126:127]
	v_add3_u32 v13, v39, v13, v38
	v_mad_u64_u32 v[16:17], s[0:1], s14, v43, v[2:3]
	v_mul_lo_u32 v45, s15, v43
	v_add3_u32 v23, v54, v23, v53
	v_add3_u32 v35, v39, v35, v38
	v_mad_u64_u32 v[38:39], s[0:1], s14, v43, v[126:127]
	v_add3_u32 v47, v54, v47, v53
	v_add_co_u32_e32 v54, vcc, 52, v0
	v_add3_u32 v17, v45, v17, v44
	v_mad_u64_u32 v[20:21], s[0:1], s14, v49, v[2:3]
	v_mul_lo_u32 v51, s15, v49
	v_mad_u64_u32 v[30:31], s[0:1], s14, v55, v[2:3]
	v_mul_lo_u32 v56, s14, v56
	v_mul_lo_u32 v57, s15, v55
	v_add3_u32 v39, v45, v39, v44
	v_mad_u64_u32 v[44:45], s[0:1], s14, v49, v[126:127]
	v_mad_u64_u32 v[48:49], s[0:1], s14, v55, v[126:127]
	v_addc_co_u32_e32 v55, vcc, 0, v1, vcc
	v_add3_u32 v21, v51, v21, v50
	v_add3_u32 v31, v57, v31, v56
	v_mad_u64_u32 v[42:43], s[0:1], s14, v58, v[2:3]
	v_add3_u32 v45, v51, v45, v50
	v_mul_lo_u32 v60, s15, v58
	v_add3_u32 v49, v57, v49, v56
	v_mad_u64_u32 v[50:51], s[0:1], s14, v58, v[126:127]
	v_mad_u64_u32 v[52:53], s[0:1], s14, v54, v[2:3]
	v_mul_lo_u32 v56, s14, v55
	v_mul_lo_u32 v57, s15, v54
	v_mad_u64_u32 v[54:55], s[0:1], s14, v54, v[126:127]
	v_add_co_u32_e32 v58, vcc, 56, v0
	v_mul_lo_u32 v59, s14, v59
	v_add3_u32 v53, v57, v53, v56
	v_add3_u32 v55, v57, v55, v56
	v_addc_co_u32_e32 v56, vcc, 0, v1, vcc
	v_add3_u32 v43, v60, v43, v59
	v_add3_u32 v51, v60, v51, v59
	v_mul_lo_u32 v60, s14, v56
	v_mul_lo_u32 v61, s15, v58
	v_mad_u64_u32 v[56:57], s[0:1], s14, v58, v[2:3]
	v_mad_u64_u32 v[58:59], s[0:1], s14, v58, v[126:127]
	v_add_co_u32_e32 v62, vcc, 60, v0
	v_add3_u32 v57, v61, v57, v60
	v_add3_u32 v59, v61, v59, v60
	v_addc_co_u32_e32 v60, vcc, 0, v1, vcc
	v_mul_lo_u32 v64, s14, v60
	v_mul_lo_u32 v65, s15, v62
	v_mad_u64_u32 v[60:61], s[0:1], s14, v62, v[2:3]
	v_mad_u64_u32 v[62:63], s[0:1], s14, v62, v[126:127]
	v_add_co_u32_e32 v66, vcc, 64, v0
	v_add3_u32 v61, v65, v61, v64
	v_add3_u32 v63, v65, v63, v64
	v_addc_co_u32_e32 v64, vcc, 0, v1, vcc
	v_mul_lo_u32 v68, s14, v64
	v_mul_lo_u32 v69, s15, v66
	v_mad_u64_u32 v[64:65], s[0:1], s14, v66, v[2:3]
	v_mad_u64_u32 v[66:67], s[0:1], s14, v66, v[126:127]
	s_movk_i32 s0, 0x44
	v_add_co_u32_e32 v70, vcc, s0, v0
	v_add3_u32 v65, v69, v65, v68
	v_add3_u32 v67, v69, v67, v68
	v_addc_co_u32_e32 v68, vcc, 0, v1, vcc
	v_mul_lo_u32 v72, s14, v68
	v_mul_lo_u32 v73, s15, v70
	v_mad_u64_u32 v[68:69], s[0:1], s14, v70, v[2:3]
	v_mad_u64_u32 v[70:71], s[0:1], s14, v70, v[126:127]
	s_movk_i32 s0, 0x48
	;; [unrolled: 9-line block ×15, first 2 shown]
	v_add_co_u32_e32 v0, vcc, s0, v0
	v_addc_co_u32_e32 v1, vcc, 0, v1, vcc
	v_add3_u32 v121, v125, v121, v124
	v_add3_u32 v123, v125, v123, v124
	v_mad_u64_u32 v[124:125], s[0:1], s14, v0, v[2:3]
	v_mul_lo_u32 v1, s14, v1
	v_mad_u64_u32 v[126:127], s[0:1], s14, v0, v[126:127]
	v_mul_lo_u32 v0, s15, v0
	v_lshlrev_b32_e32 v128, 5, v208
	v_add3_u32 v125, v0, v125, v1
	v_add3_u32 v127, v0, v127, v1
	v_mov_b32_e32 v1, s25
	v_add_co_u32_e32 v0, vcc, s24, v128
	v_addc_co_u32_e32 v1, vcc, 0, v1, vcc
	v_add_co_u32_e32 v2, vcc, 31, v0
	v_addc_co_u32_e32 v3, vcc, 0, v1, vcc
	v_mul_lo_u32 v129, s14, v3
	v_mul_lo_u32 v130, s15, v2
	v_mad_u64_u32 v[2:3], s[0:1], s14, v2, 0
	v_add3_u32 v3, v3, v129, v130
	v_add_co_u32_e32 v129, vcc, 30, v0
	v_addc_co_u32_e32 v130, vcc, 0, v1, vcc
	v_mul_lo_u32 v130, s14, v130
	v_mul_lo_u32 v131, s15, v129
	v_mad_u64_u32 v[134:135], s[0:1], s14, v129, 0
	v_add_co_u32_e32 v129, vcc, 29, v0
	v_add3_u32 v135, v135, v130, v131
	v_addc_co_u32_e32 v130, vcc, 0, v1, vcc
	v_mul_lo_u32 v130, s14, v130
	v_mul_lo_u32 v131, s15, v129
	v_mad_u64_u32 v[136:137], s[0:1], s14, v129, 0
	v_add_co_u32_e32 v129, vcc, 28, v0
	v_add3_u32 v137, v137, v130, v131
	;; [unrolled: 6-line block ×28, first 2 shown]
	v_addc_co_u32_e32 v130, vcc, 0, v1, vcc
	v_mul_lo_u32 v130, s14, v130
	v_mul_lo_u32 v131, s15, v129
	v_mad_u64_u32 v[190:191], s[0:1], s14, v129, 0
	v_add3_u32 v191, v191, v130, v131
	v_pk_mov_b32 v[130:131], s[14:15], s[14:15] op_sel:[0,1]
	v_mul_lo_u32 v129, s14, v1
	v_mad_u64_u32 v[192:193], s[0:1], s14, v0, v[130:131]
	v_mul_lo_u32 v130, s15, v0
	v_mad_u64_u32 v[0:1], s[0:1], s14, v0, 0
	v_add3_u32 v1, v1, v129, v130
	v_lshlrev_b64 v[132:133], 2, v[0:1]
	v_add3_u32 v193, v130, v193, v129
	v_mov_b32_e32 v0, s17
	v_add_co_u32_e32 v130, vcc, s16, v132
	v_addc_co_u32_e32 v1, vcc, v0, v133, vcc
	v_mov_b32_e32 v131, s19
	v_add_co_u32_e32 v132, vcc, s18, v132
	v_addc_co_u32_e32 v129, vcc, v131, v133, vcc
	v_lshlrev_b64 v[2:3], 2, v[2:3]
	v_add_co_u32_e32 v194, vcc, s16, v2
	v_addc_co_u32_e32 v133, vcc, v0, v3, vcc
	v_add_co_u32_e32 v2, vcc, s18, v2
	v_addc_co_u32_e32 v3, vcc, v131, v3, vcc
	v_accvgpr_write_b32 a4, v2
	v_accvgpr_write_b32 a3, v3
	v_lshlrev_b64 v[2:3], 2, v[134:135]
	v_add_co_u32_e32 v134, vcc, s16, v2
	v_accvgpr_write_b32 a1, v133
	v_addc_co_u32_e32 v133, vcc, v0, v3, vcc
	v_add_co_u32_e32 v2, vcc, s18, v2
	v_addc_co_u32_e32 v3, vcc, v131, v3, vcc
	v_accvgpr_write_b32 a8, v2
	v_accvgpr_write_b32 a7, v3
	v_lshlrev_b64 v[2:3], 2, v[136:137]
	v_accvgpr_write_b32 a6, v134
	v_add_co_u32_e32 v134, vcc, s16, v2
	v_accvgpr_write_b32 a5, v133
	v_addc_co_u32_e32 v133, vcc, v0, v3, vcc
	v_add_co_u32_e32 v2, vcc, s18, v2
	v_addc_co_u32_e32 v3, vcc, v131, v3, vcc
	v_accvgpr_write_b32 a12, v2
	v_accvgpr_write_b32 a11, v3
	v_lshlrev_b64 v[2:3], 2, v[138:139]
	v_accvgpr_write_b32 a10, v134
	;; [unrolled: 9-line block ×17, first 2 shown]
	v_add_co_u32_e32 v134, vcc, s16, v2
	v_accvgpr_write_b32 a69, v133
	v_addc_co_u32_e32 v133, vcc, v0, v3, vcc
	v_add_co_u32_e32 v2, vcc, s18, v2
	v_accvgpr_write_b32 a76, v2
	v_addc_co_u32_e32 v205, vcc, v131, v3, vcc
	v_lshlrev_b64 v[2:3], 2, v[170:171]
	v_add_co_u32_e32 v210, vcc, s16, v2
	v_addc_co_u32_e32 v207, vcc, v0, v3, vcc
	v_add_co_u32_e32 v212, vcc, s18, v2
	v_addc_co_u32_e32 v3, vcc, v131, v3, vcc
	v_accvgpr_write_b32 a75, v3
	v_lshlrev_b64 v[2:3], 2, v[172:173]
	v_add_co_u32_e32 v214, vcc, s16, v2
	v_addc_co_u32_e32 v211, vcc, v0, v3, vcc
	v_add_co_u32_e32 v216, vcc, s18, v2
	v_addc_co_u32_e32 v213, vcc, v131, v3, vcc
	v_lshlrev_b64 v[2:3], 2, v[174:175]
	v_add_co_u32_e32 v218, vcc, s16, v2
	v_addc_co_u32_e32 v215, vcc, v0, v3, vcc
	v_add_co_u32_e32 v220, vcc, s18, v2
	v_addc_co_u32_e32 v217, vcc, v131, v3, vcc
	;; [unrolled: 5-line block ×9, first 2 shown]
	v_lshlrev_b64 v[2:3], 2, v[190:191]
	v_add_co_u32_e32 v250, vcc, s16, v2
	s_load_dword s0, s[4:5], 0x44
	v_addc_co_u32_e32 v247, vcc, v0, v3, vcc
	v_add_co_u32_e32 v252, vcc, s18, v2
	v_addc_co_u32_e32 v249, vcc, v131, v3, vcc
	v_lshlrev_b64 v[2:3], 2, v[192:193]
	v_add_co_u32_e32 v254, vcc, s16, v2
	v_and_b32_e32 v209, 0x3ff, v255
	v_addc_co_u32_e32 v251, vcc, v0, v3, vcc
	v_add_u32_e32 v136, s9, v209
	s_waitcnt lgkmcnt(0)
	s_lshl_b32 s9, s0, 5
	v_mbcnt_lo_u32_b32 v0, -1, 0
	s_mul_i32 s0, s15, s9
	s_mul_hi_u32 s1, s14, s9
	v_mbcnt_hi_u32_b32 v0, -1, v0
	v_accvgpr_write_b32 a74, v134
	v_add_co_u32_e32 v134, vcc, s18, v2
	v_mov_b32_e32 v137, 0
	s_add_i32 s1, s1, s0
	s_mul_i32 s0, s14, s9
	v_lshlrev_b32_e32 v0, 2, v0
	v_accvgpr_write_b32 a2, v194
	v_accvgpr_write_b32 a73, v133
	v_addc_co_u32_e32 v253, vcc, v131, v3, vcc
	v_accvgpr_write_b32 a0, v255
	s_lshl_b64 s[10:11], s[0:1], 2
	s_mov_b64 s[16:17], 31
	v_and_b32_e32 v0, 0x100, v0
	v_mov_b32_e32 v2, 0
	v_mov_b32_e32 v3, v137
	s_mov_b64 s[18:19], s[24:25]
	v_mov_b32_e32 v255, v137
	v_accvgpr_write_b32 a77, v137
	v_lshlrev_b64 v[136:137], 2, v[136:137]
.LBB51_148:                             ; =>This Inner Loop Header: Depth=1
	s_add_u32 s0, s24, s16
	s_addc_u32 s1, 0, s17
	v_pk_mov_b32 v[138:139], s[12:13], s[12:13] op_sel:[0,1]
	v_cmp_ge_i64_e32 vcc, s[0:1], v[138:139]
	v_mov_b32_e32 v131, s25
	v_add_co_u32_e64 v138, s[0:1], s24, v128
	v_addc_co_u32_e64 v139, s[0:1], v131, v255, s[0:1]
	s_cbranch_vccz .LBB51_218
; %bb.149:                              ;   in Loop: Header=BB51_148 Depth=1
	s_load_dword s0, s[2:3], 0xc
	v_mov_b32_e32 v143, 0
	v_mov_b32_e32 v131, 0
	s_waitcnt lgkmcnt(0)
	s_and_b32 s0, s0, 0xffff
	v_mad_u32_u24 v133, v208, s0, v209
	v_and_b32_e32 v135, 63, v133
	v_cmp_gt_u32_e32 vcc, 32, v135
	v_mov_b32_e32 v133, 0
	s_and_saveexec_b64 s[0:1], vcc
	s_cbranch_execz .LBB51_153
; %bb.150:                              ;   in Loop: Header=BB51_148 Depth=1
	v_add_co_u32_e32 v140, vcc, v138, v135
	v_addc_co_u32_e32 v141, vcc, 0, v139, vcc
	v_cmp_gt_i64_e32 vcc, s[12:13], v[140:141]
	v_mov_b32_e32 v133, 0
	v_mov_b32_e32 v131, 0
	s_and_saveexec_b64 s[26:27], vcc
	s_cbranch_execz .LBB51_152
; %bb.151:                              ;   in Loop: Header=BB51_148 Depth=1
	v_lshlrev_b64 v[140:141], 2, v[140:141]
	v_mov_b32_e32 v131, s23
	v_add_co_u32_e32 v144, vcc, s22, v140
	v_addc_co_u32_e32 v145, vcc, v131, v141, vcc
	v_mov_b32_e32 v131, s21
	v_add_co_u32_e32 v140, vcc, s20, v140
	v_addc_co_u32_e32 v141, vcc, v131, v141, vcc
	global_load_dword v133, v[140:141], off
	global_load_dword v131, v[144:145], off
.LBB51_152:                             ;   in Loop: Header=BB51_148 Depth=1
	s_or_b64 exec, exec, s[26:27]
.LBB51_153:                             ;   in Loop: Header=BB51_148 Depth=1
	s_or_b64 exec, exec, s[0:1]
	v_cmp_gt_i64_e32 vcc, s[12:13], v[138:139]
	v_mov_b32_e32 v142, 0
	s_and_saveexec_b64 s[0:1], vcc
	s_cbranch_execz .LBB51_155
; %bb.154:                              ;   in Loop: Header=BB51_148 Depth=1
	v_add_co_u32_e32 v140, vcc, v130, v136
	v_addc_co_u32_e32 v141, vcc, v1, v137, vcc
	global_load_dword v143, v[140:141], off
	v_add_co_u32_e32 v140, vcc, v132, v136
	v_addc_co_u32_e32 v141, vcc, v129, v137, vcc
	global_load_dword v142, v[140:141], off
.LBB51_155:                             ;   in Loop: Header=BB51_148 Depth=1
	s_or_b64 exec, exec, s[0:1]
	v_add_co_u32_e32 v140, vcc, 1, v138
	v_addc_co_u32_e32 v141, vcc, 0, v139, vcc
	v_cmp_gt_i64_e32 vcc, s[12:13], v[140:141]
	v_mov_b32_e32 v149, 0
	v_mov_b32_e32 v151, 0
	v_mov_b32_e32 v148, 0
	s_and_saveexec_b64 s[0:1], vcc
	s_cbranch_execz .LBB51_157
; %bb.156:                              ;   in Loop: Header=BB51_148 Depth=1
	v_add_co_u32_e32 v140, vcc, v254, v136
	v_addc_co_u32_e32 v141, vcc, v251, v137, vcc
	global_load_dword v151, v[140:141], off
	v_add_co_u32_e32 v140, vcc, v134, v136
	v_addc_co_u32_e32 v141, vcc, v253, v137, vcc
	global_load_dword v148, v[140:141], off
.LBB51_157:                             ;   in Loop: Header=BB51_148 Depth=1
	s_or_b64 exec, exec, s[0:1]
	v_add_co_u32_e32 v140, vcc, 2, v138
	v_addc_co_u32_e32 v141, vcc, 0, v139, vcc
	v_cmp_gt_i64_e32 vcc, s[12:13], v[140:141]
	v_mov_b32_e32 v146, 0
	s_and_saveexec_b64 s[0:1], vcc
	s_cbranch_execz .LBB51_159
; %bb.158:                              ;   in Loop: Header=BB51_148 Depth=1
	v_add_co_u32_e32 v140, vcc, v250, v136
	v_addc_co_u32_e32 v141, vcc, v247, v137, vcc
	global_load_dword v149, v[140:141], off
	v_add_co_u32_e32 v140, vcc, v252, v136
	v_addc_co_u32_e32 v141, vcc, v249, v137, vcc
	global_load_dword v146, v[140:141], off
.LBB51_159:                             ;   in Loop: Header=BB51_148 Depth=1
	s_or_b64 exec, exec, s[0:1]
	v_add_co_u32_e32 v140, vcc, 3, v138
	v_addc_co_u32_e32 v141, vcc, 0, v139, vcc
	v_cmp_gt_i64_e32 vcc, s[12:13], v[140:141]
	v_mov_b32_e32 v159, 0
	v_mov_b32_e32 v161, 0
	v_mov_b32_e32 v158, 0
	s_and_saveexec_b64 s[0:1], vcc
	s_cbranch_execz .LBB51_161
; %bb.160:                              ;   in Loop: Header=BB51_148 Depth=1
	v_add_co_u32_e32 v140, vcc, v246, v136
	v_addc_co_u32_e32 v141, vcc, v243, v137, vcc
	global_load_dword v161, v[140:141], off
	v_add_co_u32_e32 v140, vcc, v248, v136
	v_addc_co_u32_e32 v141, vcc, v245, v137, vcc
	global_load_dword v158, v[140:141], off
.LBB51_161:                             ;   in Loop: Header=BB51_148 Depth=1
	s_or_b64 exec, exec, s[0:1]
	v_add_co_u32_e32 v140, vcc, 4, v138
	v_addc_co_u32_e32 v141, vcc, 0, v139, vcc
	;; [unrolled: 32-line block ×6, first 2 shown]
	v_cmp_gt_i64_e32 vcc, s[12:13], v[140:141]
	v_mov_b32_e32 v156, 0
	s_and_saveexec_b64 s[0:1], vcc
	s_cbranch_execz .LBB51_179
; %bb.178:                              ;   in Loop: Header=BB51_148 Depth=1
	v_add_co_u32_e32 v140, vcc, v210, v136
	v_addc_co_u32_e32 v141, vcc, v207, v137, vcc
	global_load_dword v145, v[140:141], off
	v_add_co_u32_e32 v140, vcc, v212, v136
	v_accvgpr_read_b32 v135, a75
	v_addc_co_u32_e32 v141, vcc, v135, v137, vcc
	global_load_dword v156, v[140:141], off
.LBB51_179:                             ;   in Loop: Header=BB51_148 Depth=1
	s_or_b64 exec, exec, s[0:1]
	v_add_co_u32_e32 v140, vcc, 13, v138
	v_addc_co_u32_e32 v141, vcc, 0, v139, vcc
	v_cmp_gt_i64_e32 vcc, s[12:13], v[140:141]
	v_mov_b32_e32 v153, 0
	v_mov_b32_e32 v157, 0
	v_mov_b32_e32 v152, 0
	s_and_saveexec_b64 s[0:1], vcc
	s_cbranch_execz .LBB51_181
; %bb.180:                              ;   in Loop: Header=BB51_148 Depth=1
	v_accvgpr_read_b32 v140, a74
	v_add_co_u32_e32 v140, vcc, v140, v136
	v_accvgpr_read_b32 v135, a73
	v_addc_co_u32_e32 v141, vcc, v135, v137, vcc
	global_load_dword v157, v[140:141], off
	v_accvgpr_read_b32 v140, a76
	v_add_co_u32_e32 v140, vcc, v140, v136
	v_addc_co_u32_e32 v141, vcc, v205, v137, vcc
	global_load_dword v152, v[140:141], off
.LBB51_181:                             ;   in Loop: Header=BB51_148 Depth=1
	s_or_b64 exec, exec, s[0:1]
	v_add_co_u32_e32 v140, vcc, 14, v138
	v_addc_co_u32_e32 v141, vcc, 0, v139, vcc
	v_cmp_gt_i64_e32 vcc, s[12:13], v[140:141]
	v_mov_b32_e32 v178, 0
	s_and_saveexec_b64 s[0:1], vcc
	s_cbranch_execz .LBB51_183
; %bb.182:                              ;   in Loop: Header=BB51_148 Depth=1
	v_accvgpr_read_b32 v140, a70
	v_add_co_u32_e32 v140, vcc, v140, v136
	v_accvgpr_read_b32 v135, a69
	v_addc_co_u32_e32 v141, vcc, v135, v137, vcc
	global_load_dword v153, v[140:141], off
	v_accvgpr_read_b32 v140, a72
	v_add_co_u32_e32 v140, vcc, v140, v136
	v_accvgpr_read_b32 v135, a71
	v_addc_co_u32_e32 v141, vcc, v135, v137, vcc
	global_load_dword v178, v[140:141], off
.LBB51_183:                             ;   in Loop: Header=BB51_148 Depth=1
	s_or_b64 exec, exec, s[0:1]
	v_add_co_u32_e32 v140, vcc, 15, v138
	v_addc_co_u32_e32 v141, vcc, 0, v139, vcc
	v_cmp_gt_i64_e32 vcc, s[12:13], v[140:141]
	v_mov_b32_e32 v163, 0
	v_mov_b32_e32 v167, 0
	v_mov_b32_e32 v162, 0
	s_and_saveexec_b64 s[0:1], vcc
	s_cbranch_execz .LBB51_185
; %bb.184:                              ;   in Loop: Header=BB51_148 Depth=1
	v_accvgpr_read_b32 v140, a66
	v_add_co_u32_e32 v140, vcc, v140, v136
	v_accvgpr_read_b32 v135, a65
	v_addc_co_u32_e32 v141, vcc, v135, v137, vcc
	global_load_dword v167, v[140:141], off
	v_accvgpr_read_b32 v140, a68
	v_add_co_u32_e32 v140, vcc, v140, v136
	v_accvgpr_read_b32 v135, a67
	v_addc_co_u32_e32 v141, vcc, v135, v137, vcc
	global_load_dword v162, v[140:141], off
.LBB51_185:                             ;   in Loop: Header=BB51_148 Depth=1
	s_or_b64 exec, exec, s[0:1]
	v_add_co_u32_e32 v140, vcc, 16, v138
	v_addc_co_u32_e32 v141, vcc, 0, v139, vcc
	v_cmp_gt_i64_e32 vcc, s[12:13], v[140:141]
	v_mov_b32_e32 v188, 0
	s_and_saveexec_b64 s[0:1], vcc
	s_cbranch_execz .LBB51_187
; %bb.186:                              ;   in Loop: Header=BB51_148 Depth=1
	v_accvgpr_read_b32 v140, a62
	v_add_co_u32_e32 v140, vcc, v140, v136
	v_accvgpr_read_b32 v135, a61
	v_addc_co_u32_e32 v141, vcc, v135, v137, vcc
	global_load_dword v163, v[140:141], off
	v_accvgpr_read_b32 v140, a64
	v_add_co_u32_e32 v140, vcc, v140, v136
	v_accvgpr_read_b32 v135, a63
	v_addc_co_u32_e32 v141, vcc, v135, v137, vcc
	global_load_dword v188, v[140:141], off
.LBB51_187:                             ;   in Loop: Header=BB51_148 Depth=1
	s_or_b64 exec, exec, s[0:1]
	v_add_co_u32_e32 v140, vcc, 17, v138
	v_addc_co_u32_e32 v141, vcc, 0, v139, vcc
	v_cmp_gt_i64_e32 vcc, s[12:13], v[140:141]
	v_mov_b32_e32 v175, 0
	v_mov_b32_e32 v179, 0
	v_mov_b32_e32 v174, 0
	s_and_saveexec_b64 s[0:1], vcc
	s_cbranch_execz .LBB51_189
; %bb.188:                              ;   in Loop: Header=BB51_148 Depth=1
	v_accvgpr_read_b32 v140, a58
	v_add_co_u32_e32 v140, vcc, v140, v136
	v_accvgpr_read_b32 v135, a57
	v_addc_co_u32_e32 v141, vcc, v135, v137, vcc
	global_load_dword v179, v[140:141], off
	v_accvgpr_read_b32 v140, a60
	v_add_co_u32_e32 v140, vcc, v140, v136
	v_accvgpr_read_b32 v135, a59
	v_addc_co_u32_e32 v141, vcc, v135, v137, vcc
	global_load_dword v174, v[140:141], off
.LBB51_189:                             ;   in Loop: Header=BB51_148 Depth=1
	;; [unrolled: 40-line block ×8, first 2 shown]
	s_or_b64 exec, exec, s[0:1]
	v_add_co_u32_e32 v140, vcc, 30, v138
	v_addc_co_u32_e32 v141, vcc, 0, v139, vcc
	v_cmp_gt_i64_e32 vcc, s[12:13], v[140:141]
	v_mov_b32_e32 v194, 0
	s_and_saveexec_b64 s[0:1], vcc
	s_cbranch_execz .LBB51_215
; %bb.214:                              ;   in Loop: Header=BB51_148 Depth=1
	v_accvgpr_read_b32 v140, a6
	v_add_co_u32_e32 v140, vcc, v140, v136
	v_accvgpr_read_b32 v141, a5
	v_addc_co_u32_e32 v141, vcc, v141, v137, vcc
	global_load_dword v195, v[140:141], off
	v_accvgpr_read_b32 v140, a8
	v_add_co_u32_e32 v140, vcc, v140, v136
	v_accvgpr_read_b32 v141, a7
	v_addc_co_u32_e32 v141, vcc, v141, v137, vcc
	global_load_dword v194, v[140:141], off
.LBB51_215:                             ;   in Loop: Header=BB51_148 Depth=1
	s_or_b64 exec, exec, s[0:1]
	v_add_co_u32_e32 v140, vcc, 31, v138
	v_addc_co_u32_e32 v141, vcc, 0, v139, vcc
	v_cmp_gt_i64_e32 vcc, s[12:13], v[140:141]
	v_mov_b32_e32 v141, 0
	v_mov_b32_e32 v140, 0
	s_and_saveexec_b64 s[0:1], vcc
	s_cbranch_execz .LBB51_217
; %bb.216:                              ;   in Loop: Header=BB51_148 Depth=1
	v_accvgpr_read_b32 v140, a2
	v_add_co_u32_e32 v140, vcc, v140, v136
	v_accvgpr_read_b32 v141, a1
	v_addc_co_u32_e32 v141, vcc, v141, v137, vcc
	global_load_dword v141, v[140:141], off
	v_accvgpr_read_b32 v140, a4
	v_mov_b32_e32 v150, v208
	v_add_co_u32_e32 v208, vcc, v140, v136
	v_mov_b32_e32 v160, v209
	v_accvgpr_read_b32 v209, a3
	v_addc_co_u32_e32 v209, vcc, v209, v137, vcc
	global_load_dword v140, v[208:209], off
	v_mov_b32_e32 v209, v160
	v_mov_b32_e32 v208, v150
.LBB51_217:                             ;   in Loop: Header=BB51_148 Depth=1
	s_or_b64 exec, exec, s[0:1]
	s_waitcnt vmcnt(1)
	ds_bpermute_b32 v160, v0, v133
	s_waitcnt vmcnt(0)
	ds_bpermute_b32 v150, v0, v131
	s_waitcnt lgkmcnt(1)
	v_sub_f32_e32 v142, v142, v160
	ds_bpermute_b32 v160, v0, v133 offset:4
	v_mul_f32_e32 v142, v143, v142
	s_waitcnt lgkmcnt(1)
	v_mul_f32_e32 v142, v142, v150
	ds_bpermute_b32 v150, v0, v131 offset:4
	v_pk_add_f32 v[142:143], v[2:3], v[142:143]
	s_waitcnt lgkmcnt(1)
	v_sub_f32_e32 v148, v148, v160
	ds_bpermute_b32 v160, v0, v133 offset:8
	v_mul_f32_e32 v148, v151, v148
	s_waitcnt lgkmcnt(1)
	v_mul_f32_e32 v150, v148, v150
	ds_bpermute_b32 v148, v0, v131 offset:8
	v_pk_add_f32 v[142:143], v[142:143], v[150:151]
	s_waitcnt lgkmcnt(1)
	v_sub_f32_e32 v146, v146, v160
	ds_bpermute_b32 v160, v0, v133 offset:12
	v_mul_f32_e32 v146, v149, v146
	s_waitcnt lgkmcnt(1)
	v_mul_f32_e32 v148, v146, v148
	ds_bpermute_b32 v146, v0, v131 offset:12
	v_pk_add_f32 v[142:143], v[142:143], v[148:149]
	s_waitcnt lgkmcnt(1)
	v_sub_f32_e32 v158, v158, v160
	v_mul_f32_e32 v158, v161, v158
	ds_bpermute_b32 v148, v0, v133 offset:44
	s_waitcnt lgkmcnt(1)
	v_mul_f32_e32 v160, v158, v146
	ds_bpermute_b32 v158, v0, v133 offset:16
	ds_bpermute_b32 v146, v0, v131 offset:16
	;; [unrolled: 1-line block ×3, first 2 shown]
	s_waitcnt lgkmcnt(3)
	v_sub_f32_e32 v144, v144, v148
	ds_bpermute_b32 v148, v0, v133 offset:48
	s_waitcnt lgkmcnt(3)
	v_sub_f32_e32 v154, v154, v158
	v_mul_f32_e32 v154, v159, v154
	s_waitcnt lgkmcnt(2)
	v_mul_f32_e32 v158, v154, v146
	ds_bpermute_b32 v154, v0, v133 offset:20
	ds_bpermute_b32 v146, v0, v131 offset:20
	v_mul_f32_e32 v144, v147, v144
	s_waitcnt lgkmcnt(2)
	v_sub_f32_e32 v148, v156, v148
	v_mul_f32_e32 v148, v145, v148
	s_waitcnt lgkmcnt(1)
	v_sub_f32_e32 v154, v170, v154
	v_mul_f32_e32 v154, v173, v154
	s_waitcnt lgkmcnt(0)
	v_mul_f32_e32 v172, v154, v146
	ds_bpermute_b32 v154, v0, v133 offset:24
	ds_bpermute_b32 v146, v0, v131 offset:24
	v_sub_f32_e32 v149, v152, v149
	v_mul_f32_e32 v149, v157, v149
	v_pk_add_f32 v[142:143], v[142:143], v[160:161]
	s_waitcnt lgkmcnt(1)
	v_sub_f32_e32 v154, v166, v154
	v_mul_f32_e32 v154, v171, v154
	s_waitcnt lgkmcnt(0)
	v_mul_f32_e32 v170, v154, v146
	ds_bpermute_b32 v154, v0, v133 offset:28
	ds_bpermute_b32 v146, v0, v131 offset:28
	v_pk_add_f32 v[142:143], v[142:143], v[158:159]
	v_pk_add_f32 v[142:143], v[142:143], v[172:173]
	;; [unrolled: 1-line block ×3, first 2 shown]
	s_waitcnt lgkmcnt(1)
	v_sub_f32_e32 v154, v184, v154
	v_mul_f32_e32 v154, v185, v154
	s_waitcnt lgkmcnt(0)
	v_mul_f32_e32 v184, v154, v146
	ds_bpermute_b32 v154, v0, v133 offset:32
	ds_bpermute_b32 v146, v0, v131 offset:32
	v_pk_add_f32 v[142:143], v[142:143], v[184:185]
	s_waitcnt lgkmcnt(1)
	v_sub_f32_e32 v154, v182, v154
	v_mul_f32_e32 v154, v183, v154
	s_waitcnt lgkmcnt(0)
	v_mul_f32_e32 v182, v154, v146
	ds_bpermute_b32 v154, v0, v133 offset:36
	ds_bpermute_b32 v146, v0, v131 offset:36
	v_pk_add_f32 v[142:143], v[142:143], v[182:183]
	;; [unrolled: 8-line block ×3, first 2 shown]
	s_waitcnt lgkmcnt(1)
	v_sub_f32_e32 v154, v196, v154
	v_mul_f32_e32 v154, v197, v154
	s_waitcnt lgkmcnt(0)
	v_mul_f32_e32 v196, v154, v146
	ds_bpermute_b32 v146, v0, v131 offset:44
	v_pk_add_f32 v[142:143], v[142:143], v[196:197]
	s_waitcnt lgkmcnt(0)
	v_mul_f32_e32 v146, v144, v146
	ds_bpermute_b32 v144, v0, v131 offset:48
	v_pk_add_f32 v[142:143], v[142:143], v[146:147]
	;; [unrolled: 4-line block ×3, first 2 shown]
	ds_bpermute_b32 v144, v0, v133 offset:88
	s_waitcnt lgkmcnt(1)
	v_mul_f32_e32 v156, v149, v148
	ds_bpermute_b32 v149, v0, v133 offset:56
	ds_bpermute_b32 v148, v0, v131 offset:56
	s_waitcnt lgkmcnt(2)
	v_sub_f32_e32 v144, v168, v144
	v_mul_f32_e32 v144, v155, v144
	v_pk_add_f32 v[142:143], v[142:143], v[156:157]
	s_waitcnt lgkmcnt(1)
	v_sub_f32_e32 v149, v178, v149
	v_mul_f32_e32 v149, v153, v149
	s_waitcnt lgkmcnt(0)
	v_mul_f32_e32 v152, v149, v148
	ds_bpermute_b32 v149, v0, v133 offset:60
	ds_bpermute_b32 v148, v0, v131 offset:60
	v_pk_add_f32 v[142:143], v[142:143], v[152:153]
	s_waitcnt lgkmcnt(1)
	v_sub_f32_e32 v149, v162, v149
	v_mul_f32_e32 v149, v167, v149
	s_waitcnt lgkmcnt(0)
	v_mul_f32_e32 v166, v149, v148
	ds_bpermute_b32 v149, v0, v133 offset:64
	ds_bpermute_b32 v148, v0, v131 offset:64
	;; [unrolled: 8-line block ×7, first 2 shown]
	v_pk_add_f32 v[142:143], v[142:143], v[186:187]
	s_waitcnt lgkmcnt(1)
	v_sub_f32_e32 v148, v200, v148
	v_mul_f32_e32 v148, v201, v148
	s_waitcnt lgkmcnt(0)
	v_mul_f32_e32 v200, v148, v135
	ds_bpermute_b32 v135, v0, v131 offset:88
	v_pk_add_f32 v[142:143], v[142:143], v[200:201]
	s_waitcnt lgkmcnt(0)
	v_mul_f32_e32 v154, v144, v135
	ds_bpermute_b32 v144, v0, v133 offset:92
	ds_bpermute_b32 v135, v0, v131 offset:92
	v_pk_add_f32 v[142:143], v[142:143], v[154:155]
	s_waitcnt lgkmcnt(1)
	v_sub_f32_e32 v144, v164, v144
	v_mul_f32_e32 v144, v169, v144
	s_waitcnt lgkmcnt(0)
	v_mul_f32_e32 v168, v144, v135
	ds_bpermute_b32 v144, v0, v133 offset:96
	ds_bpermute_b32 v135, v0, v131 offset:96
	v_pk_add_f32 v[142:143], v[142:143], v[168:169]
	s_waitcnt lgkmcnt(1)
	v_sub_f32_e32 v144, v180, v144
	v_mul_f32_e32 v144, v165, v144
	;; [unrolled: 8-line block ×7, first 2 shown]
	s_waitcnt lgkmcnt(0)
	v_mul_f32_e32 v202, v144, v135
	ds_bpermute_b32 v144, v0, v133 offset:120
	ds_bpermute_b32 v135, v0, v131 offset:120
	;; [unrolled: 1-line block ×4, first 2 shown]
	v_pk_add_f32 v[142:143], v[142:143], v[202:203]
	s_waitcnt lgkmcnt(3)
	v_sub_f32_e32 v144, v194, v144
	v_mul_f32_e32 v144, v195, v144
	s_waitcnt lgkmcnt(2)
	v_mul_f32_e32 v194, v144, v135
	v_pk_add_f32 v[142:143], v[142:143], v[194:195]
	s_branch .LBB51_224
.LBB51_218:                             ;   in Loop: Header=BB51_148 Depth=1
                                        ; implicit-def: $vgpr142_vgpr143
                                        ; implicit-def: $vgpr131
                                        ; implicit-def: $vgpr141
                                        ; implicit-def: $vgpr140
                                        ; implicit-def: $vgpr133
	s_cbranch_execz .LBB51_224
; %bb.219:                              ;   in Loop: Header=BB51_148 Depth=1
	s_load_dword s0, s[2:3], 0x0
	s_waitcnt lgkmcnt(0)
	v_accvgpr_read_b32 v131, a77
	s_cmp_lt_u32 s6, s0
	s_cselect_b32 s0, 12, 18
	s_add_u32 s0, s2, s0
	s_addc_u32 s1, s3, 0
	global_load_ushort v133, v131, s[0:1]
	v_mov_b32_e32 v131, 0
	s_waitcnt vmcnt(0)
	v_mad_u32_u24 v133, v208, v133, v209
	v_and_b32_e32 v135, 63, v133
	v_cmp_gt_u32_e32 vcc, 32, v135
	v_mov_b32_e32 v133, 0
	s_and_saveexec_b64 s[0:1], vcc
	s_cbranch_execz .LBB51_223
; %bb.220:                              ;   in Loop: Header=BB51_148 Depth=1
	v_add_co_u32_e32 v138, vcc, v138, v135
	v_addc_co_u32_e32 v139, vcc, 0, v139, vcc
	v_cmp_gt_i64_e32 vcc, s[12:13], v[138:139]
	v_mov_b32_e32 v133, 0
	v_mov_b32_e32 v131, 0
	s_and_saveexec_b64 s[26:27], vcc
	s_cbranch_execz .LBB51_222
; %bb.221:                              ;   in Loop: Header=BB51_148 Depth=1
	v_lshlrev_b64 v[138:139], 2, v[138:139]
	v_mov_b32_e32 v131, s23
	v_add_co_u32_e32 v140, vcc, s22, v138
	v_addc_co_u32_e32 v141, vcc, v131, v139, vcc
	v_mov_b32_e32 v131, s21
	v_add_co_u32_e32 v138, vcc, s20, v138
	v_addc_co_u32_e32 v139, vcc, v131, v139, vcc
	global_load_dword v133, v[138:139], off
	global_load_dword v131, v[140:141], off
.LBB51_222:                             ;   in Loop: Header=BB51_148 Depth=1
	s_or_b64 exec, exec, s[26:27]
.LBB51_223:                             ;   in Loop: Header=BB51_148 Depth=1
	s_or_b64 exec, exec, s[0:1]
	v_add_co_u32_e32 v138, vcc, v130, v136
	v_addc_co_u32_e32 v139, vcc, v1, v137, vcc
	global_load_dword v181, v[138:139], off
	v_add_co_u32_e32 v138, vcc, v132, v136
	v_addc_co_u32_e32 v139, vcc, v129, v137, vcc
	global_load_dword v178, v[138:139], off
	;; [unrolled: 3-line block ×44, first 2 shown]
	v_add_co_u32_e32 v138, vcc, v88, v136
	v_addc_co_u32_e32 v139, vcc, v89, v137, vcc
	v_add_co_u32_e32 v140, vcc, v90, v136
	v_addc_co_u32_e32 v141, vcc, v91, v137, vcc
	global_load_dword v139, v[138:139], off
	s_waitcnt vmcnt(45)
	ds_bpermute_b32 v180, v0, v131
	global_load_dword v138, v[140:141], off
	v_add_co_u32_e32 v140, vcc, v92, v136
	v_addc_co_u32_e32 v141, vcc, v93, v137, vcc
	global_load_dword v143, v[140:141], off
	v_add_co_u32_e32 v140, vcc, v94, v136
	v_addc_co_u32_e32 v141, vcc, v95, v137, vcc
	;; [unrolled: 3-line block ×17, first 2 shown]
	v_add_co_u32_e32 v202, vcc, v126, v136
	v_addc_co_u32_e32 v203, vcc, v127, v137, vcc
	global_load_dword v141, v[140:141], off
	s_nop 0
	global_load_dword v140, v[202:203], off
	ds_bpermute_b32 v202, v0, v133
	s_waitcnt vmcnt(62) lgkmcnt(0)
	v_sub_f32_e32 v178, v178, v202
	ds_bpermute_b32 v202, v0, v133 offset:4
	v_mul_f32_e32 v178, v181, v178
	v_mul_f32_e32 v180, v178, v180
	ds_bpermute_b32 v178, v0, v131 offset:4
	v_pk_add_f32 v[2:3], v[2:3], v[180:181]
	s_waitcnt vmcnt(60) lgkmcnt(1)
	v_sub_f32_e32 v182, v182, v202
	ds_bpermute_b32 v202, v0, v133 offset:8
	v_mul_f32_e32 v182, v183, v182
	s_waitcnt lgkmcnt(1)
	v_mul_f32_e32 v182, v182, v178
	ds_bpermute_b32 v178, v0, v131 offset:8
	ds_bpermute_b32 v180, v0, v133 offset:44
	s_waitcnt vmcnt(58) lgkmcnt(2)
	v_sub_f32_e32 v184, v184, v202
	ds_bpermute_b32 v202, v0, v133 offset:12
	v_mul_f32_e32 v184, v185, v184
	s_waitcnt lgkmcnt(2)
	v_mul_f32_e32 v184, v184, v178
	ds_bpermute_b32 v178, v0, v131 offset:12
	s_waitcnt vmcnt(40) lgkmcnt(2)
	v_sub_f32_e32 v158, v158, v180
	s_waitcnt lgkmcnt(1)
	v_sub_f32_e32 v186, v186, v202
	ds_bpermute_b32 v202, v0, v133 offset:16
	v_mul_f32_e32 v186, v187, v186
	s_waitcnt lgkmcnt(1)
	v_mul_f32_e32 v186, v186, v178
	ds_bpermute_b32 v178, v0, v131 offset:16
	ds_bpermute_b32 v180, v0, v133 offset:48
	s_waitcnt lgkmcnt(2)
	v_sub_f32_e32 v188, v188, v202
	ds_bpermute_b32 v202, v0, v133 offset:20
	v_mul_f32_e32 v188, v189, v188
	s_waitcnt lgkmcnt(2)
	v_mul_f32_e32 v188, v188, v178
	ds_bpermute_b32 v178, v0, v131 offset:20
	v_mul_f32_e32 v158, v159, v158
	s_waitcnt lgkmcnt(1)
	v_sub_f32_e32 v190, v190, v202
	ds_bpermute_b32 v202, v0, v133 offset:24
	v_mul_f32_e32 v190, v191, v190
	s_waitcnt lgkmcnt(1)
	v_mul_f32_e32 v190, v190, v178
	ds_bpermute_b32 v178, v0, v131 offset:24
	s_waitcnt vmcnt(38)
	v_sub_f32_e32 v160, v160, v180
	s_waitcnt lgkmcnt(1)
	v_sub_f32_e32 v192, v192, v202
	ds_bpermute_b32 v202, v0, v133 offset:28
	v_mul_f32_e32 v192, v193, v192
	s_waitcnt lgkmcnt(1)
	v_mul_f32_e32 v192, v192, v178
	ds_bpermute_b32 v178, v0, v131 offset:28
	ds_bpermute_b32 v180, v0, v133 offset:52
	s_waitcnt lgkmcnt(2)
	v_sub_f32_e32 v194, v194, v202
	ds_bpermute_b32 v202, v0, v133 offset:32
	v_mul_f32_e32 v194, v195, v194
	s_waitcnt lgkmcnt(2)
	v_mul_f32_e32 v194, v194, v178
	ds_bpermute_b32 v178, v0, v131 offset:32
	v_mul_f32_e32 v160, v161, v160
	s_waitcnt lgkmcnt(1)
	v_sub_f32_e32 v196, v196, v202
	ds_bpermute_b32 v202, v0, v133 offset:36
	v_mul_f32_e32 v196, v197, v196
	s_waitcnt lgkmcnt(1)
	v_mul_f32_e32 v196, v196, v178
	ds_bpermute_b32 v178, v0, v131 offset:36
	s_waitcnt vmcnt(36)
	v_sub_f32_e32 v162, v162, v180
	s_waitcnt lgkmcnt(1)
	v_sub_f32_e32 v198, v198, v202
	ds_bpermute_b32 v202, v0, v133 offset:40
	v_mul_f32_e32 v198, v199, v198
	s_waitcnt lgkmcnt(1)
	v_mul_f32_e32 v198, v198, v178
	ds_bpermute_b32 v178, v0, v131 offset:40
	ds_bpermute_b32 v180, v0, v133 offset:56
	s_waitcnt lgkmcnt(2)
	v_sub_f32_e32 v200, v200, v202
	v_mul_f32_e32 v200, v201, v200
	v_mul_f32_e32 v162, v163, v162
	s_waitcnt lgkmcnt(1)
	v_mul_f32_e32 v200, v200, v178
	ds_bpermute_b32 v178, v0, v131 offset:44
	s_waitcnt vmcnt(34) lgkmcnt(1)
	v_sub_f32_e32 v164, v164, v180
	ds_bpermute_b32 v180, v0, v133 offset:60
	v_mul_f32_e32 v164, v165, v164
	v_pk_add_f32 v[2:3], v[2:3], v[182:183]
	s_waitcnt lgkmcnt(1)
	v_mul_f32_e32 v158, v158, v178
	ds_bpermute_b32 v178, v0, v131 offset:48
	s_waitcnt vmcnt(32) lgkmcnt(1)
	v_sub_f32_e32 v166, v166, v180
	ds_bpermute_b32 v180, v0, v133 offset:64
	v_mul_f32_e32 v166, v167, v166
	v_pk_add_f32 v[2:3], v[2:3], v[184:185]
	;; [unrolled: 8-line block ×6, first 2 shown]
	s_waitcnt lgkmcnt(1)
	v_mul_f32_e32 v168, v168, v178
	ds_bpermute_b32 v178, v0, v131 offset:68
	s_waitcnt vmcnt(22) lgkmcnt(1)
	v_sub_f32_e32 v176, v176, v180
	ds_bpermute_b32 v180, v0, v133 offset:84
	v_pk_add_f32 v[2:3], v[2:3], v[194:195]
	v_mul_f32_e32 v176, v177, v176
	s_waitcnt lgkmcnt(1)
	v_mul_f32_e32 v170, v170, v178
	ds_bpermute_b32 v178, v0, v131 offset:72
	v_pk_add_f32 v[2:3], v[2:3], v[196:197]
	v_pk_add_f32 v[2:3], v[2:3], v[198:199]
	v_pk_add_f32 v[2:3], v[2:3], v[200:201]
	s_waitcnt vmcnt(20) lgkmcnt(1)
	v_sub_f32_e32 v156, v156, v180
	s_waitcnt lgkmcnt(0)
	v_mul_f32_e32 v172, v172, v178
	ds_bpermute_b32 v178, v0, v131 offset:76
	v_pk_add_f32 v[2:3], v[2:3], v[158:159]
	ds_bpermute_b32 v158, v0, v133 offset:88
	v_mul_f32_e32 v156, v179, v156
	v_pk_add_f32 v[2:3], v[2:3], v[160:161]
	s_waitcnt lgkmcnt(1)
	v_mul_f32_e32 v174, v174, v178
	ds_bpermute_b32 v178, v0, v131 offset:80
	s_waitcnt vmcnt(18) lgkmcnt(1)
	v_sub_f32_e32 v138, v138, v158
	ds_bpermute_b32 v158, v0, v133 offset:92
	v_mul_f32_e32 v138, v139, v138
	v_pk_add_f32 v[2:3], v[2:3], v[162:163]
	s_waitcnt lgkmcnt(1)
	v_mul_f32_e32 v176, v176, v178
	ds_bpermute_b32 v178, v0, v131 offset:84
	s_waitcnt vmcnt(16) lgkmcnt(1)
	v_sub_f32_e32 v142, v142, v158
	;; [unrolled: 8-line block ×6, first 2 shown]
	ds_bpermute_b32 v158, v0, v133 offset:112
	v_mul_f32_e32 v150, v151, v150
	v_pk_add_f32 v[2:3], v[2:3], v[172:173]
	s_waitcnt lgkmcnt(1)
	v_mul_f32_e32 v146, v146, v156
	ds_bpermute_b32 v156, v0, v131 offset:104
	v_pk_add_f32 v[2:3], v[2:3], v[174:175]
	v_pk_add_f32 v[2:3], v[2:3], v[176:177]
	;; [unrolled: 1-line block ×3, first 2 shown]
	s_waitcnt vmcnt(6) lgkmcnt(1)
	v_sub_f32_e32 v152, v152, v158
	s_waitcnt lgkmcnt(0)
	v_mul_f32_e32 v148, v148, v156
	ds_bpermute_b32 v156, v0, v131 offset:108
	ds_bpermute_b32 v158, v0, v133 offset:116
	v_mul_f32_e32 v152, v153, v152
	v_pk_add_f32 v[2:3], v[2:3], v[138:139]
	ds_bpermute_b32 v139, v0, v133 offset:120
	s_waitcnt lgkmcnt(2)
	v_mul_f32_e32 v150, v150, v156
	ds_bpermute_b32 v156, v0, v131 offset:112
	v_pk_add_f32 v[2:3], v[2:3], v[142:143]
	v_pk_add_f32 v[2:3], v[2:3], v[144:145]
	ds_bpermute_b32 v138, v0, v131 offset:120
	v_pk_add_f32 v[2:3], v[2:3], v[146:147]
	s_waitcnt lgkmcnt(1)
	v_mul_f32_e32 v152, v152, v156
	ds_bpermute_b32 v156, v0, v131 offset:116
	s_waitcnt vmcnt(4)
	v_sub_f32_e32 v154, v154, v158
	v_pk_add_f32 v[2:3], v[2:3], v[148:149]
	v_mul_f32_e32 v154, v157, v154
	v_pk_add_f32 v[2:3], v[2:3], v[150:151]
	s_waitcnt vmcnt(2)
	v_sub_f32_e32 v135, v135, v139
	s_waitcnt lgkmcnt(0)
	v_mul_f32_e32 v156, v154, v156
	v_pk_add_f32 v[2:3], v[2:3], v[152:153]
	v_mul_f32_e32 v135, v155, v135
	v_pk_add_f32 v[2:3], v[2:3], v[156:157]
	;; [unrolled: 2-line block ×3, first 2 shown]
	ds_bpermute_b32 v131, v0, v131 offset:124
	ds_bpermute_b32 v133, v0, v133 offset:124
.LBB51_224:                             ;   in Loop: Header=BB51_148 Depth=1
	s_waitcnt vmcnt(0) lgkmcnt(0)
	v_sub_f32_e32 v2, v140, v133
	v_mul_f32_e32 v2, v141, v2
	v_mul_f32_e32 v140, v2, v131
	v_add_co_u32_e32 v128, vcc, s9, v128
	v_mov_b32_e32 v131, s7
	v_addc_co_u32_e32 v255, vcc, v255, v131, vcc
	v_add_co_u32_e32 v4, vcc, s10, v4
	v_mov_b32_e32 v131, s11
	v_addc_co_u32_e32 v5, vcc, v5, v131, vcc
	v_add_co_u32_e32 v6, vcc, s10, v6
	v_addc_co_u32_e32 v7, vcc, v7, v131, vcc
	v_add_co_u32_e32 v8, vcc, s10, v8
	;; [unrolled: 2-line block ×63, first 2 shown]
	v_addc_co_u32_e32 v129, vcc, v129, v131, vcc
	v_accvgpr_read_b32 v138, a2
	v_add_co_u32_e32 v138, vcc, s10, v138
	v_accvgpr_read_b32 v133, a1
	v_accvgpr_write_b32 a2, v138
	v_addc_co_u32_e32 v133, vcc, v133, v131, vcc
	v_accvgpr_read_b32 v138, a4
	v_accvgpr_write_b32 a1, v133
	v_add_co_u32_e32 v138, vcc, s10, v138
	v_accvgpr_read_b32 v133, a3
	v_accvgpr_write_b32 a4, v138
	v_addc_co_u32_e32 v133, vcc, v133, v131, vcc
	v_accvgpr_read_b32 v138, a6
	v_accvgpr_write_b32 a3, v133
	;; [unrolled: 6-line block ×36, first 2 shown]
	v_add_co_u32_e32 v138, vcc, s10, v138
	v_accvgpr_read_b32 v133, a73
	v_accvgpr_write_b32 a74, v138
	v_addc_co_u32_e32 v133, vcc, v133, v131, vcc
	v_accvgpr_read_b32 v138, a76
	v_add_co_u32_e32 v138, vcc, s10, v138
	v_addc_co_u32_e32 v205, vcc, v205, v131, vcc
	v_add_co_u32_e32 v210, vcc, s10, v210
	v_addc_co_u32_e32 v207, vcc, v207, v131, vcc
	v_accvgpr_write_b32 a73, v133
	v_add_co_u32_e32 v212, vcc, s10, v212
	v_accvgpr_read_b32 v133, a75
	v_addc_co_u32_e32 v133, vcc, v133, v131, vcc
	v_add_co_u32_e32 v214, vcc, s10, v214
	v_addc_co_u32_e32 v211, vcc, v211, v131, vcc
	v_add_co_u32_e32 v216, vcc, s10, v216
	;; [unrolled: 2-line block ×21, first 2 shown]
	v_addc_co_u32_e32 v251, vcc, v251, v131, vcc
	s_add_u32 s18, s18, s9
	v_add_co_u32_e32 v134, vcc, s10, v134
	s_addc_u32 s19, s19, 0
	v_accvgpr_write_b32 a76, v138
	v_addc_co_u32_e32 v253, vcc, v253, v131, vcc
	v_pk_mov_b32 v[138:139], s[12:13], s[12:13] op_sel:[0,1]
	s_add_u32 s16, s16, s9
	v_cmp_ge_i64_e32 vcc, s[18:19], v[138:139]
	v_pk_add_f32 v[2:3], v[142:143], v[140:141]
	s_addc_u32 s17, s17, 0
	s_cbranch_vccnz .LBB51_226
; %bb.225:                              ;   in Loop: Header=BB51_148 Depth=1
	v_accvgpr_write_b32 a75, v133
	s_branch .LBB51_148
.LBB51_226:
	v_accvgpr_read_b32 v255, a0
.LBB51_227:
	s_mov_b32 s7, 0
	s_lshl_b64 s[0:1], s[6:7], 6
	v_and_b32_e32 v0, 0x3ff, v255
	v_or_b32_e32 v6, s0, v0
	v_mov_b32_e32 v7, s1
	v_cmp_gt_i64_e32 vcc, s[14:15], v[6:7]
	s_and_saveexec_b64 s[0:1], vcc
	s_cbranch_execz .LBB51_232
; %bb.228:
	s_load_dword s6, s[4:5], 0x4c
	s_load_dwordx4 s[0:3], s[4:5], 0x30
	v_bfe_u32 v0, v255, 10, 10
	v_mov_b32_e32 v1, 0
	v_mov_b32_e32 v4, s8
	s_waitcnt lgkmcnt(0)
	s_lshr_b32 s4, s6, 16
	v_mad_u64_u32 v[4:5], s[4:5], s4, v4, v[0:1]
	s_cmp_eq_u64 s[0:1], 0
	v_mul_lo_u32 v5, v5, s14
	v_mul_lo_u32 v8, v4, s15
	v_lshlrev_b64 v[0:1], 2, v[6:7]
	s_cbranch_scc1 .LBB51_230
; %bb.229:
	v_mad_u64_u32 v[6:7], s[4:5], v4, s14, 0
	v_add3_u32 v7, v7, v8, v5
	v_lshlrev_b64 v[6:7], 2, v[6:7]
	v_mov_b32_e32 v9, s1
	v_add_co_u32_e32 v6, vcc, s0, v6
	v_addc_co_u32_e32 v7, vcc, v9, v7, vcc
	v_add_co_u32_e32 v6, vcc, v6, v0
	v_addc_co_u32_e32 v7, vcc, v7, v1, vcc
	global_store_dword v[6:7], v2, off
.LBB51_230:
	s_cmp_eq_u64 s[2:3], 0
	s_cbranch_scc1 .LBB51_232
; %bb.231:
	v_mad_u64_u32 v[6:7], s[0:1], v4, s14, 0
	v_add3_u32 v7, v7, v8, v5
	v_lshlrev_b64 v[4:5], 2, v[6:7]
	v_mov_b32_e32 v2, s3
	v_add_co_u32_e32 v4, vcc, s2, v4
	v_addc_co_u32_e32 v2, vcc, v2, v5, vcc
	v_add_co_u32_e32 v0, vcc, v4, v0
	v_addc_co_u32_e32 v1, vcc, v2, v1, vcc
	global_store_dword v[0:1], v3, off
.LBB51_232:
	s_endpgm
	.section	.rodata,"a",@progbits
	.p2align	6, 0x0
	.amdhsa_kernel _ZN2at6native12_GLOBAL__N_135GammaBetaBackwardCUDAKernelTemplateIffLj64ELj1ELj32ELb1ELb0ELb0EEEvllPKT_S5_PKT0_S8_PS3_S9_
		.amdhsa_group_segment_fixed_size 0
		.amdhsa_private_segment_fixed_size 0
		.amdhsa_kernarg_size 320
		.amdhsa_user_sgpr_count 6
		.amdhsa_user_sgpr_private_segment_buffer 1
		.amdhsa_user_sgpr_dispatch_ptr 0
		.amdhsa_user_sgpr_queue_ptr 0
		.amdhsa_user_sgpr_kernarg_segment_ptr 1
		.amdhsa_user_sgpr_dispatch_id 0
		.amdhsa_user_sgpr_flat_scratch_init 0
		.amdhsa_user_sgpr_kernarg_preload_length 0
		.amdhsa_user_sgpr_kernarg_preload_offset 0
		.amdhsa_user_sgpr_private_segment_size 0
		.amdhsa_uses_dynamic_stack 0
		.amdhsa_system_sgpr_private_segment_wavefront_offset 0
		.amdhsa_system_sgpr_workgroup_id_x 1
		.amdhsa_system_sgpr_workgroup_id_y 1
		.amdhsa_system_sgpr_workgroup_id_z 0
		.amdhsa_system_sgpr_workgroup_info 0
		.amdhsa_system_vgpr_workitem_id 1
		.amdhsa_next_free_vgpr 334
		.amdhsa_next_free_sgpr 38
		.amdhsa_accum_offset 256
		.amdhsa_reserve_vcc 1
		.amdhsa_reserve_flat_scratch 0
		.amdhsa_float_round_mode_32 0
		.amdhsa_float_round_mode_16_64 0
		.amdhsa_float_denorm_mode_32 3
		.amdhsa_float_denorm_mode_16_64 3
		.amdhsa_dx10_clamp 1
		.amdhsa_ieee_mode 1
		.amdhsa_fp16_overflow 0
		.amdhsa_tg_split 0
		.amdhsa_exception_fp_ieee_invalid_op 0
		.amdhsa_exception_fp_denorm_src 0
		.amdhsa_exception_fp_ieee_div_zero 0
		.amdhsa_exception_fp_ieee_overflow 0
		.amdhsa_exception_fp_ieee_underflow 0
		.amdhsa_exception_fp_ieee_inexact 0
		.amdhsa_exception_int_div_zero 0
	.end_amdhsa_kernel
	.section	.text._ZN2at6native12_GLOBAL__N_135GammaBetaBackwardCUDAKernelTemplateIffLj64ELj1ELj32ELb1ELb0ELb0EEEvllPKT_S5_PKT0_S8_PS3_S9_,"axG",@progbits,_ZN2at6native12_GLOBAL__N_135GammaBetaBackwardCUDAKernelTemplateIffLj64ELj1ELj32ELb1ELb0ELb0EEEvllPKT_S5_PKT0_S8_PS3_S9_,comdat
.Lfunc_end51:
	.size	_ZN2at6native12_GLOBAL__N_135GammaBetaBackwardCUDAKernelTemplateIffLj64ELj1ELj32ELb1ELb0ELb0EEEvllPKT_S5_PKT0_S8_PS3_S9_, .Lfunc_end51-_ZN2at6native12_GLOBAL__N_135GammaBetaBackwardCUDAKernelTemplateIffLj64ELj1ELj32ELb1ELb0ELb0EEEvllPKT_S5_PKT0_S8_PS3_S9_
                                        ; -- End function
	.section	.AMDGPU.csdata,"",@progbits
; Kernel info:
; codeLenInByte = 24388
; NumSgprs: 42
; NumVgprs: 256
; NumAgprs: 78
; TotalNumVgprs: 334
; ScratchSize: 0
; MemoryBound: 0
; FloatMode: 240
; IeeeMode: 1
; LDSByteSize: 0 bytes/workgroup (compile time only)
; SGPRBlocks: 5
; VGPRBlocks: 41
; NumSGPRsForWavesPerEU: 42
; NumVGPRsForWavesPerEU: 334
; AccumOffset: 256
; Occupancy: 1
; WaveLimiterHint : 0
; COMPUTE_PGM_RSRC2:SCRATCH_EN: 0
; COMPUTE_PGM_RSRC2:USER_SGPR: 6
; COMPUTE_PGM_RSRC2:TRAP_HANDLER: 0
; COMPUTE_PGM_RSRC2:TGID_X_EN: 1
; COMPUTE_PGM_RSRC2:TGID_Y_EN: 1
; COMPUTE_PGM_RSRC2:TGID_Z_EN: 0
; COMPUTE_PGM_RSRC2:TIDIG_COMP_CNT: 1
; COMPUTE_PGM_RSRC3_GFX90A:ACCUM_OFFSET: 63
; COMPUTE_PGM_RSRC3_GFX90A:TG_SPLIT: 0
	.section	.text._ZN2at6native12_GLOBAL__N_135GammaBetaBackwardCUDAKernelTemplateIffLj64ELj1ELj8ELb1ELb1ELb0EEEvllPKT_S5_PKT0_S8_PS3_S9_,"axG",@progbits,_ZN2at6native12_GLOBAL__N_135GammaBetaBackwardCUDAKernelTemplateIffLj64ELj1ELj8ELb1ELb1ELb0EEEvllPKT_S5_PKT0_S8_PS3_S9_,comdat
	.globl	_ZN2at6native12_GLOBAL__N_135GammaBetaBackwardCUDAKernelTemplateIffLj64ELj1ELj8ELb1ELb1ELb0EEEvllPKT_S5_PKT0_S8_PS3_S9_ ; -- Begin function _ZN2at6native12_GLOBAL__N_135GammaBetaBackwardCUDAKernelTemplateIffLj64ELj1ELj8ELb1ELb1ELb0EEEvllPKT_S5_PKT0_S8_PS3_S9_
	.p2align	8
	.type	_ZN2at6native12_GLOBAL__N_135GammaBetaBackwardCUDAKernelTemplateIffLj64ELj1ELj8ELb1ELb1ELb0EEEvllPKT_S5_PKT0_S8_PS3_S9_,@function
_ZN2at6native12_GLOBAL__N_135GammaBetaBackwardCUDAKernelTemplateIffLj64ELj1ELj8ELb1ELb1ELb0EEEvllPKT_S5_PKT0_S8_PS3_S9_: ; @_ZN2at6native12_GLOBAL__N_135GammaBetaBackwardCUDAKernelTemplateIffLj64ELj1ELj8ELb1ELb1ELb0EEEvllPKT_S5_PKT0_S8_PS3_S9_
; %bb.0:
	s_load_dwordx4 s[16:19], s[4:5], 0x0
	s_lshl_b32 s24, s7, 3
	s_mov_b32 s25, 0
	s_mov_b32 s2, s7
	v_bfe_u32 v10, v0, 10, 10
	s_waitcnt lgkmcnt(0)
	v_pk_mov_b32 v[2:3], s[16:17], s[16:17] op_sel:[0,1]
	v_cmp_lt_i64_e32 vcc, s[24:25], v[2:3]
	s_cbranch_vccnz .LBB52_2
; %bb.1:
	s_add_u32 s26, s4, 64
	s_addc_u32 s27, s5, 0
	s_mov_b64 s[0:1], 0
	v_bfe_u32 v2, v0, 10, 10
	s_branch .LBB52_3
.LBB52_2:
	s_mov_b64 s[0:1], -1
                                        ; implicit-def: $sgpr26_sgpr27
                                        ; implicit-def: $vgpr2
.LBB52_3:
	s_load_dwordx4 s[20:23], s[4:5], 0x30
	v_and_b32_e32 v11, 0x3ff, v0
	s_andn2_b64 vcc, exec, s[0:1]
	v_mov_b32_e32 v1, s25
	v_mov_b32_e32 v0, s25
	s_cbranch_vccnz .LBB52_11
; %bb.4:
	s_load_dword s0, s[4:5], 0x4c
	s_load_dword s3, s[4:5], 0x44
	s_load_dwordx8 s[8:15], s[4:5], 0x10
	v_mbcnt_lo_u32_b32 v4, -1, 0
	s_add_u32 s26, s4, 64
	v_mbcnt_hi_u32_b32 v4, -1, v4
	s_addc_u32 s27, s5, 0
	s_waitcnt lgkmcnt(0)
	s_and_b32 s0, s0, 0xffff
	v_lshlrev_b32_e32 v3, 3, v10
	v_lshlrev_b32_e32 v4, 2, v4
	v_mad_u32_u24 v0, v10, s0, v11
	v_and_b32_e32 v12, 0x100, v4
	v_mov_b32_e32 v4, s25
	v_add_co_u32_e32 v6, vcc, s24, v3
	v_and_b32_e32 v2, 63, v0
	v_addc_co_u32_e32 v7, vcc, 0, v4, vcc
	v_cmp_gt_u32_e64 s[0:1], 8, v2
	v_add_co_u32_e32 v2, vcc, v6, v2
	s_lshl_b32 s4, s3, 3
	v_addc_co_u32_e32 v3, vcc, 0, v7, vcc
	v_mul_lo_u32 v8, s19, v6
	v_mul_lo_u32 v9, s18, v7
	v_mad_u64_u32 v[6:7], s[30:31], s18, v6, 0
	v_mov_b32_e32 v1, 0
	v_lshl_add_u32 v0, s6, 6, v11
	v_add3_u32 v7, v7, v9, v8
	s_mul_i32 s3, s19, s4
	s_mul_hi_u32 s7, s18, s4
	s_mov_b32 s5, 0
	v_lshlrev_b64 v[6:7], 2, v[6:7]
	v_lshlrev_b64 v[8:9], 2, v[0:1]
	s_add_i32 s31, s7, s3
	s_mul_i32 s30, s18, s4
	s_lshl_b64 s[28:29], s[4:5], 2
	v_add_co_u32_e32 v6, vcc, v6, v8
	s_lshl_b64 s[30:31], s[30:31], 2
	s_lshl_b64 s[34:35], s[18:19], 2
	v_or_b32_e32 v13, 4, v12
	v_or_b32_e32 v14, 8, v12
	;; [unrolled: 1-line block ×7, first 2 shown]
	v_lshlrev_b64 v[4:5], 2, v[2:3]
	v_addc_co_u32_e32 v7, vcc, v7, v9, vcc
	v_mov_b32_e32 v20, s9
	v_mov_b32_e32 v21, s11
	;; [unrolled: 1-line block ×6, first 2 shown]
	v_pk_mov_b32 v[8:9], s[16:17], s[16:17] op_sel:[0,1]
	v_mov_b32_e32 v0, v1
	s_branch .LBB52_7
.LBB52_5:                               ;   in Loop: Header=BB52_7 Depth=1
	s_or_b64 exec, exec, s[38:39]
.LBB52_6:                               ;   in Loop: Header=BB52_7 Depth=1
	s_or_b64 exec, exec, s[36:37]
	v_add_co_u32_e32 v28, vcc, s8, v6
	v_addc_co_u32_e32 v29, vcc, v20, v7, vcc
	v_add_co_u32_e32 v32, vcc, s10, v6
	v_addc_co_u32_e32 v33, vcc, v21, v7, vcc
	global_load_dword v31, v[28:29], off
	v_add_co_u32_e32 v28, vcc, s34, v28
	v_addc_co_u32_e32 v29, vcc, v29, v22, vcc
	global_load_dword v30, v[32:33], off
	;; [unrolled: 3-line block ×13, first 2 shown]
	global_load_dword v45, v[28:29], off
	v_add_co_u32_e32 v28, vcc, s34, v28
	v_addc_co_u32_e32 v29, vcc, v29, v22, vcc
	v_add_co_u32_e32 v32, vcc, s34, v32
	v_addc_co_u32_e32 v33, vcc, v33, v22, vcc
	global_load_dword v46, v[32:33], off
	global_load_dword v47, v[28:29], off
	s_waitcnt vmcnt(17)
	ds_bpermute_b32 v28, v12, v27
	s_waitcnt vmcnt(16)
	ds_bpermute_b32 v29, v12, v26
	ds_bpermute_b32 v32, v13, v27
	;; [unrolled: 1-line block ×3, first 2 shown]
	v_add_co_u32_e32 v4, vcc, s28, v4
	v_addc_co_u32_e32 v5, vcc, v5, v23, vcc
	v_add_co_u32_e32 v2, vcc, s4, v2
	v_addc_co_u32_e32 v3, vcc, v3, v24, vcc
	s_add_u32 s24, s24, s4
	v_add_co_u32_e32 v6, vcc, s30, v6
	s_waitcnt vmcnt(14) lgkmcnt(3)
	v_sub_f32_e32 v28, v30, v28
	v_mul_f32_e32 v28, v31, v28
	s_waitcnt lgkmcnt(2)
	v_mul_f32_e32 v30, v28, v29
	ds_bpermute_b32 v28, v13, v26
	ds_bpermute_b32 v29, v14, v27
	v_pk_add_f32 v[0:1], v[0:1], v[30:31]
	s_addc_u32 s25, s25, 0
	v_addc_co_u32_e32 v7, vcc, v7, v25, vcc
	v_cmp_lt_i64_e32 vcc, s[24:25], v[8:9]
	s_waitcnt vmcnt(12) lgkmcnt(3)
	v_sub_f32_e32 v32, v34, v32
	v_mul_f32_e32 v32, v35, v32
	s_waitcnt lgkmcnt(1)
	v_mul_f32_e32 v34, v32, v28
	ds_bpermute_b32 v32, v16, v27
	v_pk_add_f32 v[0:1], v[0:1], v[34:35]
	s_and_b64 vcc, exec, vcc
	s_waitcnt vmcnt(10) lgkmcnt(1)
	v_sub_f32_e32 v28, v36, v29
	ds_bpermute_b32 v29, v15, v27
	v_mul_f32_e32 v28, v37, v28
	v_mul_f32_e32 v36, v28, v33
	ds_bpermute_b32 v28, v15, v26
	ds_bpermute_b32 v33, v16, v26
	v_pk_add_f32 v[0:1], v[0:1], v[36:37]
	s_waitcnt vmcnt(8) lgkmcnt(2)
	v_sub_f32_e32 v29, v38, v29
	v_mul_f32_e32 v29, v39, v29
	s_waitcnt lgkmcnt(1)
	v_mul_f32_e32 v38, v29, v28
	ds_bpermute_b32 v29, v17, v27
	v_pk_add_f32 v[0:1], v[0:1], v[38:39]
	s_waitcnt vmcnt(6)
	v_sub_f32_e32 v28, v40, v32
	v_mul_f32_e32 v28, v41, v28
	s_waitcnt lgkmcnt(1)
	v_mul_f32_e32 v40, v28, v33
	ds_bpermute_b32 v28, v17, v26
	ds_bpermute_b32 v32, v18, v27
	ds_bpermute_b32 v27, v19, v27
	ds_bpermute_b32 v33, v18, v26
	ds_bpermute_b32 v26, v19, v26
	v_pk_add_f32 v[0:1], v[0:1], v[40:41]
	s_waitcnt vmcnt(4) lgkmcnt(5)
	v_sub_f32_e32 v29, v42, v29
	v_mul_f32_e32 v29, v43, v29
	s_waitcnt lgkmcnt(4)
	v_mul_f32_e32 v42, v29, v28
	v_pk_add_f32 v[0:1], v[0:1], v[42:43]
	s_waitcnt vmcnt(3) lgkmcnt(3)
	v_sub_f32_e32 v28, v44, v32
	s_waitcnt vmcnt(2)
	v_mul_f32_e32 v28, v45, v28
	s_waitcnt lgkmcnt(1)
	v_mul_f32_e32 v44, v28, v33
	v_pk_add_f32 v[0:1], v[0:1], v[44:45]
	s_waitcnt vmcnt(1)
	v_sub_f32_e32 v27, v46, v27
	s_waitcnt vmcnt(0)
	v_mul_f32_e32 v27, v47, v27
	s_waitcnt lgkmcnt(0)
	v_mul_f32_e32 v46, v27, v26
	v_pk_add_f32 v[0:1], v[0:1], v[46:47]
	s_cbranch_vccz .LBB52_10
.LBB52_7:                               ; =>This Inner Loop Header: Depth=1
	v_mov_b32_e32 v26, 0
	v_mov_b32_e32 v27, 0
	s_and_saveexec_b64 s[36:37], s[0:1]
	s_cbranch_execz .LBB52_6
; %bb.8:                                ;   in Loop: Header=BB52_7 Depth=1
	v_cmp_gt_i64_e32 vcc, s[16:17], v[2:3]
	v_mov_b32_e32 v27, 0
	v_mov_b32_e32 v26, 0
	s_and_saveexec_b64 s[38:39], vcc
	s_cbranch_execz .LBB52_5
; %bb.9:                                ;   in Loop: Header=BB52_7 Depth=1
	v_mov_b32_e32 v26, s15
	v_add_co_u32_e32 v28, vcc, s14, v4
	v_addc_co_u32_e32 v29, vcc, v26, v5, vcc
	v_mov_b32_e32 v26, s13
	v_add_co_u32_e32 v30, vcc, s12, v4
	v_addc_co_u32_e32 v31, vcc, v26, v5, vcc
	global_load_dword v27, v[30:31], off
	global_load_dword v26, v[28:29], off
	s_branch .LBB52_5
.LBB52_10:
	v_mov_b32_e32 v2, v10
.LBB52_11:
	s_mov_b32 s7, 0
	s_lshl_b64 s[0:1], s[6:7], 6
	v_mov_b32_e32 v4, s1
	s_load_dword s1, s[26:27], 0xc
	v_add_co_u32_e32 v8, vcc, s0, v11
	v_mov_b32_e32 v3, 0
	v_addc_co_u32_e32 v9, vcc, 0, v4, vcc
	s_waitcnt lgkmcnt(0)
	s_lshr_b32 s0, s1, 16
	v_mov_b32_e32 v4, s2
	v_mad_u64_u32 v[4:5], s[0:1], s0, v4, v[2:3]
	s_cmp_eq_u64 s[20:21], 0
	v_mul_lo_u32 v5, v5, s18
	v_mul_lo_u32 v6, v4, s19
	v_lshlrev_b64 v[2:3], 2, v[8:9]
	s_cbranch_scc1 .LBB52_13
; %bb.12:
	v_mad_u64_u32 v[8:9], s[0:1], v4, s18, 0
	v_add3_u32 v9, v9, v6, v5
	v_lshlrev_b64 v[8:9], 2, v[8:9]
	v_mov_b32_e32 v7, s21
	v_add_co_u32_e32 v8, vcc, s20, v8
	v_addc_co_u32_e32 v7, vcc, v7, v9, vcc
	v_add_co_u32_e32 v8, vcc, v8, v2
	v_addc_co_u32_e32 v9, vcc, v7, v3, vcc
	global_store_dword v[8:9], v0, off
.LBB52_13:
	s_cmp_eq_u64 s[22:23], 0
	s_cbranch_scc1 .LBB52_15
; %bb.14:
	v_mad_u64_u32 v[8:9], s[0:1], v4, s18, 0
	v_add3_u32 v9, v9, v6, v5
	v_lshlrev_b64 v[4:5], 2, v[8:9]
	v_mov_b32_e32 v0, s23
	v_add_co_u32_e32 v4, vcc, s22, v4
	v_addc_co_u32_e32 v0, vcc, v0, v5, vcc
	v_add_co_u32_e32 v2, vcc, v4, v2
	v_addc_co_u32_e32 v3, vcc, v0, v3, vcc
	global_store_dword v[2:3], v1, off
.LBB52_15:
	s_endpgm
	.section	.rodata,"a",@progbits
	.p2align	6, 0x0
	.amdhsa_kernel _ZN2at6native12_GLOBAL__N_135GammaBetaBackwardCUDAKernelTemplateIffLj64ELj1ELj8ELb1ELb1ELb0EEEvllPKT_S5_PKT0_S8_PS3_S9_
		.amdhsa_group_segment_fixed_size 0
		.amdhsa_private_segment_fixed_size 0
		.amdhsa_kernarg_size 320
		.amdhsa_user_sgpr_count 6
		.amdhsa_user_sgpr_private_segment_buffer 1
		.amdhsa_user_sgpr_dispatch_ptr 0
		.amdhsa_user_sgpr_queue_ptr 0
		.amdhsa_user_sgpr_kernarg_segment_ptr 1
		.amdhsa_user_sgpr_dispatch_id 0
		.amdhsa_user_sgpr_flat_scratch_init 0
		.amdhsa_user_sgpr_kernarg_preload_length 0
		.amdhsa_user_sgpr_kernarg_preload_offset 0
		.amdhsa_user_sgpr_private_segment_size 0
		.amdhsa_uses_dynamic_stack 0
		.amdhsa_system_sgpr_private_segment_wavefront_offset 0
		.amdhsa_system_sgpr_workgroup_id_x 1
		.amdhsa_system_sgpr_workgroup_id_y 1
		.amdhsa_system_sgpr_workgroup_id_z 0
		.amdhsa_system_sgpr_workgroup_info 0
		.amdhsa_system_vgpr_workitem_id 1
		.amdhsa_next_free_vgpr 48
		.amdhsa_next_free_sgpr 40
		.amdhsa_accum_offset 48
		.amdhsa_reserve_vcc 1
		.amdhsa_reserve_flat_scratch 0
		.amdhsa_float_round_mode_32 0
		.amdhsa_float_round_mode_16_64 0
		.amdhsa_float_denorm_mode_32 3
		.amdhsa_float_denorm_mode_16_64 3
		.amdhsa_dx10_clamp 1
		.amdhsa_ieee_mode 1
		.amdhsa_fp16_overflow 0
		.amdhsa_tg_split 0
		.amdhsa_exception_fp_ieee_invalid_op 0
		.amdhsa_exception_fp_denorm_src 0
		.amdhsa_exception_fp_ieee_div_zero 0
		.amdhsa_exception_fp_ieee_overflow 0
		.amdhsa_exception_fp_ieee_underflow 0
		.amdhsa_exception_fp_ieee_inexact 0
		.amdhsa_exception_int_div_zero 0
	.end_amdhsa_kernel
	.section	.text._ZN2at6native12_GLOBAL__N_135GammaBetaBackwardCUDAKernelTemplateIffLj64ELj1ELj8ELb1ELb1ELb0EEEvllPKT_S5_PKT0_S8_PS3_S9_,"axG",@progbits,_ZN2at6native12_GLOBAL__N_135GammaBetaBackwardCUDAKernelTemplateIffLj64ELj1ELj8ELb1ELb1ELb0EEEvllPKT_S5_PKT0_S8_PS3_S9_,comdat
.Lfunc_end52:
	.size	_ZN2at6native12_GLOBAL__N_135GammaBetaBackwardCUDAKernelTemplateIffLj64ELj1ELj8ELb1ELb1ELb0EEEvllPKT_S5_PKT0_S8_PS3_S9_, .Lfunc_end52-_ZN2at6native12_GLOBAL__N_135GammaBetaBackwardCUDAKernelTemplateIffLj64ELj1ELj8ELb1ELb1ELb0EEEvllPKT_S5_PKT0_S8_PS3_S9_
                                        ; -- End function
	.section	.AMDGPU.csdata,"",@progbits
; Kernel info:
; codeLenInByte = 1360
; NumSgprs: 44
; NumVgprs: 48
; NumAgprs: 0
; TotalNumVgprs: 48
; ScratchSize: 0
; MemoryBound: 0
; FloatMode: 240
; IeeeMode: 1
; LDSByteSize: 0 bytes/workgroup (compile time only)
; SGPRBlocks: 5
; VGPRBlocks: 5
; NumSGPRsForWavesPerEU: 44
; NumVGPRsForWavesPerEU: 48
; AccumOffset: 48
; Occupancy: 8
; WaveLimiterHint : 0
; COMPUTE_PGM_RSRC2:SCRATCH_EN: 0
; COMPUTE_PGM_RSRC2:USER_SGPR: 6
; COMPUTE_PGM_RSRC2:TRAP_HANDLER: 0
; COMPUTE_PGM_RSRC2:TGID_X_EN: 1
; COMPUTE_PGM_RSRC2:TGID_Y_EN: 1
; COMPUTE_PGM_RSRC2:TGID_Z_EN: 0
; COMPUTE_PGM_RSRC2:TIDIG_COMP_CNT: 1
; COMPUTE_PGM_RSRC3_GFX90A:ACCUM_OFFSET: 11
; COMPUTE_PGM_RSRC3_GFX90A:TG_SPLIT: 0
	.section	.text._ZN2at6native12_GLOBAL__N_135GammaBetaBackwardCUDAKernelTemplateIffLj64ELj1ELj8ELb1ELb0ELb0EEEvllPKT_S5_PKT0_S8_PS3_S9_,"axG",@progbits,_ZN2at6native12_GLOBAL__N_135GammaBetaBackwardCUDAKernelTemplateIffLj64ELj1ELj8ELb1ELb0ELb0EEEvllPKT_S5_PKT0_S8_PS3_S9_,comdat
	.globl	_ZN2at6native12_GLOBAL__N_135GammaBetaBackwardCUDAKernelTemplateIffLj64ELj1ELj8ELb1ELb0ELb0EEEvllPKT_S5_PKT0_S8_PS3_S9_ ; -- Begin function _ZN2at6native12_GLOBAL__N_135GammaBetaBackwardCUDAKernelTemplateIffLj64ELj1ELj8ELb1ELb0ELb0EEEvllPKT_S5_PKT0_S8_PS3_S9_
	.p2align	8
	.type	_ZN2at6native12_GLOBAL__N_135GammaBetaBackwardCUDAKernelTemplateIffLj64ELj1ELj8ELb1ELb0ELb0EEEvllPKT_S5_PKT0_S8_PS3_S9_,@function
_ZN2at6native12_GLOBAL__N_135GammaBetaBackwardCUDAKernelTemplateIffLj64ELj1ELj8ELb1ELb0ELb0EEEvllPKT_S5_PKT0_S8_PS3_S9_: ; @_ZN2at6native12_GLOBAL__N_135GammaBetaBackwardCUDAKernelTemplateIffLj64ELj1ELj8ELb1ELb0ELb0EEEvllPKT_S5_PKT0_S8_PS3_S9_
; %bb.0:
	s_load_dwordx8 s[12:19], s[4:5], 0x0
	s_load_dwordx4 s[28:31], s[4:5], 0x20
	s_mov_b32 s8, s7
	s_lshl_b32 s7, s6, 6
	s_mov_b32 s20, 0
	s_or_b32 s0, s7, 63
	s_mov_b32 s1, s20
	s_waitcnt lgkmcnt(0)
	v_pk_mov_b32 v[2:3], s[14:15], s[14:15] op_sel:[0,1]
	v_cmp_ge_i64_e32 vcc, s[0:1], v[2:3]
	s_lshl_b32 s34, s8, 3
	s_mov_b32 s35, s20
	v_pk_mov_b32 v[2:3], s[12:13], s[12:13] op_sel:[0,1]
	v_cmp_lt_i64_e64 s[0:1], s[34:35], v[2:3]
	v_cndmask_b32_e64 v1, 0, 1, s[0:1]
	v_cmp_ne_u32_e64 s[0:1], 1, v1
	s_cbranch_vccz .LBB53_48
; %bb.1:
	v_mov_b32_e32 v27, 0
	s_and_b64 vcc, exec, s[0:1]
	v_mov_b32_e32 v26, v27
	s_cbranch_vccnz .LBB53_49
; %bb.2:
	v_and_b32_e32 v63, 0x3ff, v0
	v_bfe_u32 v66, v0, 10, 10
	v_add_u32_e32 v2, s7, v63
	v_mov_b32_e32 v3, 0
	v_lshlrev_b32_e32 v28, 3, v66
	v_cmp_gt_i64_e64 s[2:3], s[14:15], v[2:3]
	v_lshlrev_b64 v[30:31], 2, v[2:3]
	v_mov_b32_e32 v2, s35
	v_add_co_u32_e32 v6, vcc, s34, v28
	v_addc_co_u32_e32 v2, vcc, 0, v2, vcc
	v_add_co_u32_e32 v4, vcc, 7, v6
	v_addc_co_u32_e32 v5, vcc, 0, v2, vcc
	v_mul_lo_u32 v7, s15, v4
	v_mul_lo_u32 v8, s14, v5
	v_mad_u64_u32 v[4:5], s[10:11], s14, v4, 0
	s_load_dword s9, s[4:5], 0x44
	v_add3_u32 v5, v5, v8, v7
	v_lshlrev_b64 v[4:5], 2, v[4:5]
	v_mov_b32_e32 v7, s17
	v_add_co_u32_e32 v32, vcc, s16, v4
	v_addc_co_u32_e32 v29, vcc, v7, v5, vcc
	s_add_u32 s36, s4, 64
	v_mov_b32_e32 v8, s19
	v_add_co_u32_e32 v34, vcc, s18, v4
	s_addc_u32 s37, s5, 0
	s_waitcnt lgkmcnt(0)
	s_lshl_b32 s9, s9, 3
	v_addc_co_u32_e32 v33, vcc, v8, v5, vcc
	s_mul_i32 s10, s15, s9
	s_mul_hi_u32 s11, s14, s9
	v_add_co_u32_e32 v4, vcc, 6, v6
	s_add_i32 s11, s11, s10
	s_mul_i32 s10, s14, s9
	v_addc_co_u32_e32 v5, vcc, 0, v2, vcc
	s_lshl_b64 s[40:41], s[10:11], 2
	v_mul_lo_u32 v9, s15, v4
	v_mul_lo_u32 v10, s14, v5
	v_mad_u64_u32 v[4:5], s[10:11], s14, v4, 0
	v_add3_u32 v5, v5, v10, v9
	v_lshlrev_b64 v[4:5], 2, v[4:5]
	v_add_co_u32_e32 v36, vcc, s16, v4
	v_addc_co_u32_e32 v35, vcc, v7, v5, vcc
	v_add_co_u32_e32 v38, vcc, s18, v4
	v_addc_co_u32_e32 v37, vcc, v8, v5, vcc
	v_add_co_u32_e32 v4, vcc, 5, v6
	v_addc_co_u32_e32 v5, vcc, 0, v2, vcc
	v_mul_lo_u32 v9, s15, v4
	v_mul_lo_u32 v10, s14, v5
	v_mad_u64_u32 v[4:5], s[10:11], s14, v4, 0
	v_add3_u32 v5, v5, v10, v9
	v_lshlrev_b64 v[4:5], 2, v[4:5]
	v_add_co_u32_e32 v40, vcc, s16, v4
	v_addc_co_u32_e32 v39, vcc, v7, v5, vcc
	v_add_co_u32_e32 v42, vcc, s18, v4
	v_addc_co_u32_e32 v41, vcc, v8, v5, vcc
	v_add_co_u32_e32 v4, vcc, 4, v6
	v_addc_co_u32_e32 v5, vcc, 0, v2, vcc
	;; [unrolled: 11-line block ×4, first 2 shown]
	v_mul_lo_u32 v9, s15, v4
	v_mul_lo_u32 v10, s14, v5
	v_mad_u64_u32 v[4:5], s[10:11], s14, v4, 0
	v_add3_u32 v5, v5, v10, v9
	v_lshlrev_b64 v[4:5], 2, v[4:5]
	v_add_co_u32_e32 v52, vcc, s16, v4
	v_addc_co_u32_e32 v51, vcc, v7, v5, vcc
	v_add_co_u32_e32 v54, vcc, s18, v4
	v_addc_co_u32_e32 v53, vcc, v8, v5, vcc
	v_pk_mov_b32 v[4:5], s[14:15], s[14:15] op_sel:[0,1]
	v_mad_u64_u32 v[4:5], s[10:11], s14, v6, v[4:5]
	v_mul_lo_u32 v2, s14, v2
	v_mul_lo_u32 v9, s15, v6
	v_add3_u32 v5, v9, v5, v2
	v_lshlrev_b64 v[4:5], 2, v[4:5]
	v_add_co_u32_e32 v56, vcc, s16, v4
	v_addc_co_u32_e32 v55, vcc, v7, v5, vcc
	v_add_co_u32_e32 v58, vcc, s18, v4
	v_addc_co_u32_e32 v57, vcc, v8, v5, vcc
	v_mad_u64_u32 v[4:5], s[10:11], s14, v6, 0
	v_add3_u32 v5, v5, v2, v9
	v_lshlrev_b64 v[4:5], 2, v[4:5]
	v_add_co_u32_e32 v60, vcc, s16, v4
	v_mbcnt_lo_u32_b32 v2, -1, 0
	v_addc_co_u32_e32 v59, vcc, v7, v5, vcc
	v_mbcnt_hi_u32_b32 v2, -1, v2
	v_add_co_u32_e32 v62, vcc, s18, v4
	v_lshlrev_b32_e32 v2, 2, v2
	v_mov_b32_e32 v1, v3
	s_mov_b32 s33, s20
	s_mov_b64 s[38:39], 7
	v_addc_co_u32_e32 v61, vcc, v8, v5, vcc
	v_and_b32_e32 v67, 0x100, v2
	s_mov_b64 s[42:43], s[34:35]
	v_mov_b32_e32 v26, v3
	v_mov_b32_e32 v27, v3
	s_branch .LBB53_5
.LBB53_3:                               ;   in Loop: Header=BB53_5 Depth=1
	s_or_b64 exec, exec, s[10:11]
	s_waitcnt vmcnt(1)
	ds_bpermute_b32 v2, v67, v69
	ds_bpermute_b32 v4, v67, v69 offset:4
	s_waitcnt vmcnt(0)
	ds_bpermute_b32 v5, v67, v68
	ds_bpermute_b32 v6, v67, v68 offset:4
	ds_bpermute_b32 v9, v67, v68 offset:12
	s_waitcnt lgkmcnt(4)
	v_sub_f32_e32 v2, v10, v2
	v_mul_f32_e32 v2, v18, v2
	s_waitcnt lgkmcnt(3)
	v_sub_f32_e32 v7, v11, v4
	s_waitcnt lgkmcnt(2)
	v_mul_f32_e32 v4, v2, v5
	ds_bpermute_b32 v2, v67, v69 offset:8
	v_mul_f32_e32 v5, v19, v7
	s_waitcnt lgkmcnt(2)
	v_mul_f32_e32 v6, v5, v6
	ds_bpermute_b32 v5, v67, v68 offset:8
	ds_bpermute_b32 v7, v67, v69 offset:12
	s_waitcnt lgkmcnt(2)
	v_sub_f32_e32 v2, v12, v2
	v_mul_f32_e32 v2, v20, v2
	v_mov_b32_e32 v11, v21
	s_waitcnt lgkmcnt(1)
	v_mul_f32_e32 v8, v2, v5
	s_waitcnt lgkmcnt(0)
	v_sub_f32_e32 v2, v13, v7
	ds_bpermute_b32 v5, v67, v69 offset:16
	v_mul_f32_e32 v2, v21, v2
	v_mul_f32_e32 v10, v2, v9
	ds_bpermute_b32 v2, v67, v68 offset:16
	ds_bpermute_b32 v7, v67, v69 offset:20
	;; [unrolled: 1-line block ×3, first 2 shown]
	s_waitcnt lgkmcnt(3)
	v_sub_f32_e32 v5, v14, v5
	v_mul_f32_e32 v5, v22, v5
	s_waitcnt lgkmcnt(2)
	v_mul_f32_e32 v12, v5, v2
	s_waitcnt lgkmcnt(1)
	v_sub_f32_e32 v2, v15, v7
	v_mul_f32_e32 v2, v23, v2
	s_waitcnt lgkmcnt(0)
	v_mul_f32_e32 v14, v2, v9
	v_mov_b32_e32 v5, v18
	ds_bpermute_b32 v2, v67, v69 offset:24
	v_pk_add_f32 v[4:5], v[26:27], v[4:5]
	v_mov_b32_e32 v7, v19
	v_pk_add_f32 v[4:5], v[6:7], v[4:5]
	ds_bpermute_b32 v7, v67, v68 offset:24
	v_mov_b32_e32 v9, v20
	v_pk_add_f32 v[4:5], v[8:9], v[4:5]
	v_pk_add_f32 v[4:5], v[10:11], v[4:5]
	v_mov_b32_e32 v13, v22
	s_waitcnt lgkmcnt(1)
	v_sub_f32_e32 v8, v16, v2
	v_pk_add_f32 v[4:5], v[12:13], v[4:5]
	v_mov_b32_e32 v15, v23
	v_mul_f32_e32 v8, v24, v8
	v_pk_add_f32 v[4:5], v[14:15], v[4:5]
	s_waitcnt lgkmcnt(0)
	v_mul_f32_e32 v8, v8, v7
	v_mov_b32_e32 v9, v24
	ds_bpermute_b32 v2, v67, v68 offset:28
	ds_bpermute_b32 v6, v67, v69 offset:28
	v_pk_add_f32 v[4:5], v[8:9], v[4:5]
.LBB53_4:                               ;   in Loop: Header=BB53_5 Depth=1
	s_waitcnt lgkmcnt(0)
	v_sub_f32_e32 v6, v17, v6
	v_mul_f32_e32 v6, v25, v6
	v_mul_f32_e32 v24, v6, v2
	v_mov_b32_e32 v2, s41
	v_add_co_u32_e32 v32, vcc, s40, v32
	v_addc_co_u32_e32 v29, vcc, v29, v2, vcc
	v_add_co_u32_e32 v34, vcc, s40, v34
	v_addc_co_u32_e32 v33, vcc, v33, v2, vcc
	;; [unrolled: 2-line block ×14, first 2 shown]
	v_pk_add_f32 v[26:27], v[4:5], v[24:25]
	v_mov_b32_e32 v4, s33
	v_add_co_u32_e32 v28, vcc, s9, v28
	v_addc_co_u32_e32 v1, vcc, v1, v4, vcc
	v_add_co_u32_e32 v60, vcc, s40, v60
	v_addc_co_u32_e32 v59, vcc, v59, v2, vcc
	s_add_u32 s42, s42, s9
	v_add_co_u32_e32 v62, vcc, s40, v62
	s_addc_u32 s43, s43, 0
	v_addc_co_u32_e32 v61, vcc, v61, v2, vcc
	v_pk_mov_b32 v[4:5], s[12:13], s[12:13] op_sel:[0,1]
	s_add_u32 s38, s38, s9
	v_cmp_lt_i64_e32 vcc, s[42:43], v[4:5]
	s_addc_u32 s39, s39, 0
	s_cbranch_vccz .LBB53_49
.LBB53_5:                               ; =>This Inner Loop Header: Depth=1
	s_add_u32 s10, s34, s38
	s_addc_u32 s11, 0, s39
	v_pk_mov_b32 v[4:5], s[12:13], s[12:13] op_sel:[0,1]
	v_cmp_ge_i64_e32 vcc, s[10:11], v[4:5]
	v_mov_b32_e32 v2, s35
	v_add_co_u32_e64 v64, s[10:11], s34, v28
	v_addc_co_u32_e64 v65, s[10:11], v2, v1, s[10:11]
	s_cbranch_vccz .LBB53_27
; %bb.6:                                ;   in Loop: Header=BB53_5 Depth=1
	s_load_dword s10, s[36:37], 0xc
	v_mov_b32_e32 v68, 0
	v_mov_b32_e32 v69, 0
	s_waitcnt lgkmcnt(0)
	s_and_b32 s10, s10, 0xffff
	v_mad_u32_u24 v2, v66, s10, v63
	v_and_b32_e32 v2, 63, v2
	v_cmp_gt_u32_e32 vcc, 8, v2
	s_and_saveexec_b64 s[10:11], vcc
	s_cbranch_execz .LBB53_10
; %bb.7:                                ;   in Loop: Header=BB53_5 Depth=1
	v_add_co_u32_e32 v4, vcc, v64, v2
	v_addc_co_u32_e32 v5, vcc, 0, v65, vcc
	v_cmp_gt_i64_e32 vcc, s[12:13], v[4:5]
	v_mov_b32_e32 v69, 0
	v_mov_b32_e32 v68, 0
	s_and_saveexec_b64 s[22:23], vcc
	s_cbranch_execz .LBB53_9
; %bb.8:                                ;   in Loop: Header=BB53_5 Depth=1
	v_lshlrev_b64 v[4:5], 2, v[4:5]
	v_mov_b32_e32 v2, s31
	v_add_co_u32_e32 v6, vcc, s30, v4
	v_addc_co_u32_e32 v7, vcc, v2, v5, vcc
	v_mov_b32_e32 v2, s29
	v_add_co_u32_e32 v4, vcc, s28, v4
	v_addc_co_u32_e32 v5, vcc, v2, v5, vcc
	global_load_dword v69, v[4:5], off
	global_load_dword v68, v[6:7], off
.LBB53_9:                               ;   in Loop: Header=BB53_5 Depth=1
	s_or_b64 exec, exec, s[22:23]
.LBB53_10:                              ;   in Loop: Header=BB53_5 Depth=1
	s_or_b64 exec, exec, s[10:11]
	s_mov_b32 s21, s20
	s_mov_b32 s22, s20
	;; [unrolled: 1-line block ×7, first 2 shown]
	v_pk_mov_b32 v[10:11], s[20:21], s[20:21] op_sel:[0,1]
	v_pk_mov_b32 v[16:17], s[26:27], s[26:27] op_sel:[0,1]
	v_cmp_gt_i64_e32 vcc, s[12:13], v[64:65]
	v_pk_mov_b32 v[12:13], s[22:23], s[22:23] op_sel:[0,1]
	v_pk_mov_b32 v[14:15], s[24:25], s[24:25] op_sel:[0,1]
	;; [unrolled: 1-line block ×3, first 2 shown]
	s_and_b64 s[44:45], s[2:3], vcc
	v_pk_mov_b32 v[22:23], v[14:15], v[14:15] op_sel:[0,1]
	v_pk_mov_b32 v[20:21], v[12:13], v[12:13] op_sel:[0,1]
	;; [unrolled: 1-line block ×3, first 2 shown]
	s_and_saveexec_b64 s[10:11], s[44:45]
	s_cbranch_execz .LBB53_12
; %bb.11:                               ;   in Loop: Header=BB53_5 Depth=1
	v_add_co_u32_e32 v4, vcc, v60, v30
	v_addc_co_u32_e32 v5, vcc, v59, v31, vcc
	global_load_dword v2, v[4:5], off
	v_add_co_u32_e32 v4, vcc, v62, v30
	v_addc_co_u32_e32 v5, vcc, v61, v31, vcc
	global_load_dword v10, v[4:5], off
	v_mov_b32_e32 v8, v3
	v_mov_b32_e32 v9, v3
	;; [unrolled: 1-line block ×6, first 2 shown]
	s_waitcnt vmcnt(1)
	v_pk_mov_b32 v[24:25], v[8:9], v[8:9] op_sel:[0,1]
	v_mov_b32_e32 v11, v3
	v_mov_b32_e32 v12, v3
	;; [unrolled: 1-line block ×7, first 2 shown]
	v_pk_mov_b32 v[22:23], v[6:7], v[6:7] op_sel:[0,1]
	v_pk_mov_b32 v[20:21], v[4:5], v[4:5] op_sel:[0,1]
	;; [unrolled: 1-line block ×3, first 2 shown]
.LBB53_12:                              ;   in Loop: Header=BB53_5 Depth=1
	s_or_b64 exec, exec, s[10:11]
	v_add_co_u32_e32 v4, vcc, 1, v64
	v_addc_co_u32_e32 v5, vcc, 0, v65, vcc
	v_cmp_gt_i64_e32 vcc, s[12:13], v[4:5]
	s_and_b64 s[22:23], s[2:3], vcc
	s_and_saveexec_b64 s[10:11], s[22:23]
	s_cbranch_execz .LBB53_14
; %bb.13:                               ;   in Loop: Header=BB53_5 Depth=1
	v_add_co_u32_e32 v4, vcc, v56, v30
	v_addc_co_u32_e32 v5, vcc, v55, v31, vcc
	global_load_dword v19, v[4:5], off
	v_add_co_u32_e32 v4, vcc, v58, v30
	v_addc_co_u32_e32 v5, vcc, v57, v31, vcc
	global_load_dword v11, v[4:5], off
.LBB53_14:                              ;   in Loop: Header=BB53_5 Depth=1
	s_or_b64 exec, exec, s[10:11]
	v_add_co_u32_e32 v4, vcc, 2, v64
	v_addc_co_u32_e32 v5, vcc, 0, v65, vcc
	v_cmp_gt_i64_e32 vcc, s[12:13], v[4:5]
	s_and_b64 s[22:23], s[2:3], vcc
	s_and_saveexec_b64 s[10:11], s[22:23]
	s_cbranch_execz .LBB53_16
; %bb.15:                               ;   in Loop: Header=BB53_5 Depth=1
	v_add_co_u32_e32 v4, vcc, v52, v30
	v_addc_co_u32_e32 v5, vcc, v51, v31, vcc
	global_load_dword v20, v[4:5], off
	v_add_co_u32_e32 v4, vcc, v54, v30
	v_addc_co_u32_e32 v5, vcc, v53, v31, vcc
	global_load_dword v12, v[4:5], off
.LBB53_16:                              ;   in Loop: Header=BB53_5 Depth=1
	;; [unrolled: 15-line block ×7, first 2 shown]
	s_or_b64 exec, exec, s[10:11]
	s_waitcnt vmcnt(1)
	ds_bpermute_b32 v2, v67, v69
	ds_bpermute_b32 v4, v67, v69 offset:4
	s_waitcnt vmcnt(0)
	ds_bpermute_b32 v5, v67, v68
	ds_bpermute_b32 v6, v67, v68 offset:4
	ds_bpermute_b32 v9, v67, v68 offset:12
	s_waitcnt lgkmcnt(4)
	v_sub_f32_e32 v2, v10, v2
	v_mul_f32_e32 v2, v18, v2
	s_waitcnt lgkmcnt(3)
	v_sub_f32_e32 v7, v11, v4
	s_waitcnt lgkmcnt(2)
	v_mul_f32_e32 v4, v2, v5
	ds_bpermute_b32 v2, v67, v69 offset:8
	v_mul_f32_e32 v5, v19, v7
	s_waitcnt lgkmcnt(2)
	v_mul_f32_e32 v6, v5, v6
	ds_bpermute_b32 v5, v67, v68 offset:8
	ds_bpermute_b32 v7, v67, v69 offset:12
	s_waitcnt lgkmcnt(2)
	v_sub_f32_e32 v2, v12, v2
	v_mul_f32_e32 v2, v20, v2
	v_mov_b32_e32 v11, v21
	s_waitcnt lgkmcnt(1)
	v_mul_f32_e32 v8, v2, v5
	s_waitcnt lgkmcnt(0)
	v_sub_f32_e32 v2, v13, v7
	ds_bpermute_b32 v5, v67, v69 offset:16
	v_mul_f32_e32 v2, v21, v2
	v_mul_f32_e32 v10, v2, v9
	ds_bpermute_b32 v2, v67, v68 offset:16
	ds_bpermute_b32 v7, v67, v69 offset:20
	;; [unrolled: 1-line block ×3, first 2 shown]
	s_waitcnt lgkmcnt(3)
	v_sub_f32_e32 v5, v14, v5
	v_mul_f32_e32 v5, v22, v5
	s_waitcnt lgkmcnt(2)
	v_mul_f32_e32 v12, v5, v2
	s_waitcnt lgkmcnt(1)
	v_sub_f32_e32 v2, v15, v7
	v_mul_f32_e32 v2, v23, v2
	s_waitcnt lgkmcnt(0)
	v_mul_f32_e32 v14, v2, v9
	ds_bpermute_b32 v2, v67, v69 offset:24
	v_mov_b32_e32 v5, v18
	v_pk_add_f32 v[4:5], v[26:27], v[4:5]
	v_mov_b32_e32 v7, v19
	v_pk_add_f32 v[4:5], v[6:7], v[4:5]
	ds_bpermute_b32 v7, v67, v68 offset:24
	v_mov_b32_e32 v9, v20
	s_waitcnt lgkmcnt(1)
	v_sub_f32_e32 v2, v16, v2
	v_pk_add_f32 v[4:5], v[8:9], v[4:5]
	v_mul_f32_e32 v8, v24, v2
	ds_bpermute_b32 v2, v67, v68 offset:28
	ds_bpermute_b32 v6, v67, v69 offset:28
	v_pk_add_f32 v[4:5], v[10:11], v[4:5]
	v_mov_b32_e32 v13, v22
	v_pk_add_f32 v[4:5], v[12:13], v[4:5]
	v_mov_b32_e32 v15, v23
	v_pk_add_f32 v[4:5], v[14:15], v[4:5]
	s_waitcnt lgkmcnt(2)
	v_mul_f32_e32 v8, v8, v7
	v_mov_b32_e32 v9, v24
	v_pk_add_f32 v[4:5], v[8:9], v[4:5]
	s_branch .LBB53_4
.LBB53_27:                              ;   in Loop: Header=BB53_5 Depth=1
                                        ; implicit-def: $vgpr4_vgpr5
                                        ; implicit-def: $vgpr2
                                        ; implicit-def: $vgpr10_vgpr11_vgpr12_vgpr13_vgpr14_vgpr15_vgpr16_vgpr17
                                        ; implicit-def: $vgpr18_vgpr19_vgpr20_vgpr21_vgpr22_vgpr23_vgpr24_vgpr25
                                        ; implicit-def: $vgpr6
	s_cbranch_execz .LBB53_4
; %bb.28:                               ;   in Loop: Header=BB53_5 Depth=1
	s_load_dword s10, s[36:37], 0x0
	v_mov_b32_e32 v68, 0
	v_mov_b32_e32 v69, 0
	s_waitcnt lgkmcnt(0)
	s_cmp_lt_u32 s6, s10
	s_cselect_b32 s10, 12, 18
	s_add_u32 s10, s36, s10
	s_addc_u32 s11, s37, 0
	global_load_ushort v2, v3, s[10:11]
	s_waitcnt vmcnt(0)
	v_mad_u32_u24 v2, v66, v2, v63
	v_and_b32_e32 v2, 63, v2
	v_cmp_gt_u32_e32 vcc, 8, v2
	s_and_saveexec_b64 s[10:11], vcc
	s_cbranch_execz .LBB53_32
; %bb.29:                               ;   in Loop: Header=BB53_5 Depth=1
	v_add_co_u32_e32 v4, vcc, v64, v2
	v_addc_co_u32_e32 v5, vcc, 0, v65, vcc
	v_cmp_gt_i64_e32 vcc, s[12:13], v[4:5]
	v_mov_b32_e32 v69, 0
	v_mov_b32_e32 v68, 0
	s_and_saveexec_b64 s[22:23], vcc
	s_cbranch_execz .LBB53_31
; %bb.30:                               ;   in Loop: Header=BB53_5 Depth=1
	v_lshlrev_b64 v[4:5], 2, v[4:5]
	v_mov_b32_e32 v2, s31
	v_add_co_u32_e32 v6, vcc, s30, v4
	v_addc_co_u32_e32 v7, vcc, v2, v5, vcc
	v_mov_b32_e32 v2, s29
	v_add_co_u32_e32 v4, vcc, s28, v4
	v_addc_co_u32_e32 v5, vcc, v2, v5, vcc
	global_load_dword v69, v[4:5], off
	global_load_dword v68, v[6:7], off
.LBB53_31:                              ;   in Loop: Header=BB53_5 Depth=1
	s_or_b64 exec, exec, s[22:23]
.LBB53_32:                              ;   in Loop: Header=BB53_5 Depth=1
	s_or_b64 exec, exec, s[10:11]
	s_mov_b32 s21, s20
	s_mov_b32 s22, s20
	;; [unrolled: 1-line block ×7, first 2 shown]
	v_pk_mov_b32 v[10:11], s[20:21], s[20:21] op_sel:[0,1]
	v_pk_mov_b32 v[16:17], s[26:27], s[26:27] op_sel:[0,1]
	;; [unrolled: 1-line block ×8, first 2 shown]
	s_and_saveexec_b64 s[10:11], s[2:3]
	s_cbranch_execnz .LBB53_40
; %bb.33:                               ;   in Loop: Header=BB53_5 Depth=1
	s_or_b64 exec, exec, s[10:11]
	s_and_saveexec_b64 s[10:11], s[2:3]
	s_cbranch_execnz .LBB53_41
.LBB53_34:                              ;   in Loop: Header=BB53_5 Depth=1
	s_or_b64 exec, exec, s[10:11]
	s_and_saveexec_b64 s[10:11], s[2:3]
	s_cbranch_execnz .LBB53_42
.LBB53_35:                              ;   in Loop: Header=BB53_5 Depth=1
	s_or_b64 exec, exec, s[10:11]
	s_and_saveexec_b64 s[10:11], s[2:3]
	s_cbranch_execnz .LBB53_43
.LBB53_36:                              ;   in Loop: Header=BB53_5 Depth=1
	s_or_b64 exec, exec, s[10:11]
	s_and_saveexec_b64 s[10:11], s[2:3]
	s_cbranch_execnz .LBB53_44
.LBB53_37:                              ;   in Loop: Header=BB53_5 Depth=1
	s_or_b64 exec, exec, s[10:11]
	s_and_saveexec_b64 s[10:11], s[2:3]
	s_cbranch_execnz .LBB53_45
.LBB53_38:                              ;   in Loop: Header=BB53_5 Depth=1
	s_or_b64 exec, exec, s[10:11]
	s_and_saveexec_b64 s[10:11], s[2:3]
	s_cbranch_execnz .LBB53_46
.LBB53_39:                              ;   in Loop: Header=BB53_5 Depth=1
	s_or_b64 exec, exec, s[10:11]
	s_and_saveexec_b64 s[10:11], s[2:3]
	s_cbranch_execz .LBB53_3
	s_branch .LBB53_47
.LBB53_40:                              ;   in Loop: Header=BB53_5 Depth=1
	v_add_co_u32_e32 v4, vcc, v60, v30
	v_addc_co_u32_e32 v5, vcc, v59, v31, vcc
	global_load_dword v2, v[4:5], off
	v_add_co_u32_e32 v4, vcc, v62, v30
	v_addc_co_u32_e32 v5, vcc, v61, v31, vcc
	global_load_dword v10, v[4:5], off
	v_mov_b32_e32 v8, v3
	v_mov_b32_e32 v9, v3
	;; [unrolled: 1-line block ×6, first 2 shown]
	s_waitcnt vmcnt(1)
	v_pk_mov_b32 v[24:25], v[8:9], v[8:9] op_sel:[0,1]
	v_mov_b32_e32 v11, v3
	v_mov_b32_e32 v12, v3
	v_mov_b32_e32 v13, v3
	v_mov_b32_e32 v14, v3
	v_mov_b32_e32 v15, v3
	v_mov_b32_e32 v16, v3
	v_mov_b32_e32 v17, v3
	v_pk_mov_b32 v[22:23], v[6:7], v[6:7] op_sel:[0,1]
	v_pk_mov_b32 v[20:21], v[4:5], v[4:5] op_sel:[0,1]
	;; [unrolled: 1-line block ×3, first 2 shown]
	s_or_b64 exec, exec, s[10:11]
	s_and_saveexec_b64 s[10:11], s[2:3]
	s_cbranch_execz .LBB53_34
.LBB53_41:                              ;   in Loop: Header=BB53_5 Depth=1
	v_add_co_u32_e32 v4, vcc, v56, v30
	v_addc_co_u32_e32 v5, vcc, v55, v31, vcc
	global_load_dword v19, v[4:5], off
	v_add_co_u32_e32 v4, vcc, v58, v30
	v_addc_co_u32_e32 v5, vcc, v57, v31, vcc
	global_load_dword v11, v[4:5], off
	s_or_b64 exec, exec, s[10:11]
	s_and_saveexec_b64 s[10:11], s[2:3]
	s_cbranch_execz .LBB53_35
.LBB53_42:                              ;   in Loop: Header=BB53_5 Depth=1
	v_add_co_u32_e32 v4, vcc, v52, v30
	v_addc_co_u32_e32 v5, vcc, v51, v31, vcc
	global_load_dword v20, v[4:5], off
	v_add_co_u32_e32 v4, vcc, v54, v30
	v_addc_co_u32_e32 v5, vcc, v53, v31, vcc
	global_load_dword v12, v[4:5], off
	s_or_b64 exec, exec, s[10:11]
	s_and_saveexec_b64 s[10:11], s[2:3]
	s_cbranch_execz .LBB53_36
.LBB53_43:                              ;   in Loop: Header=BB53_5 Depth=1
	v_add_co_u32_e32 v4, vcc, v48, v30
	v_addc_co_u32_e32 v5, vcc, v47, v31, vcc
	global_load_dword v21, v[4:5], off
	v_add_co_u32_e32 v4, vcc, v50, v30
	v_addc_co_u32_e32 v5, vcc, v49, v31, vcc
	global_load_dword v13, v[4:5], off
	s_or_b64 exec, exec, s[10:11]
	s_and_saveexec_b64 s[10:11], s[2:3]
	s_cbranch_execz .LBB53_37
.LBB53_44:                              ;   in Loop: Header=BB53_5 Depth=1
	v_add_co_u32_e32 v4, vcc, v44, v30
	v_addc_co_u32_e32 v5, vcc, v43, v31, vcc
	global_load_dword v22, v[4:5], off
	v_add_co_u32_e32 v4, vcc, v46, v30
	v_addc_co_u32_e32 v5, vcc, v45, v31, vcc
	global_load_dword v14, v[4:5], off
	s_or_b64 exec, exec, s[10:11]
	s_and_saveexec_b64 s[10:11], s[2:3]
	s_cbranch_execz .LBB53_38
.LBB53_45:                              ;   in Loop: Header=BB53_5 Depth=1
	v_add_co_u32_e32 v4, vcc, v40, v30
	v_addc_co_u32_e32 v5, vcc, v39, v31, vcc
	global_load_dword v23, v[4:5], off
	v_add_co_u32_e32 v4, vcc, v42, v30
	v_addc_co_u32_e32 v5, vcc, v41, v31, vcc
	global_load_dword v15, v[4:5], off
	s_or_b64 exec, exec, s[10:11]
	s_and_saveexec_b64 s[10:11], s[2:3]
	s_cbranch_execz .LBB53_39
.LBB53_46:                              ;   in Loop: Header=BB53_5 Depth=1
	v_add_co_u32_e32 v4, vcc, v36, v30
	v_addc_co_u32_e32 v5, vcc, v35, v31, vcc
	global_load_dword v24, v[4:5], off
	v_add_co_u32_e32 v4, vcc, v38, v30
	v_addc_co_u32_e32 v5, vcc, v37, v31, vcc
	global_load_dword v16, v[4:5], off
	s_or_b64 exec, exec, s[10:11]
	s_and_saveexec_b64 s[10:11], s[2:3]
	s_cbranch_execz .LBB53_3
.LBB53_47:                              ;   in Loop: Header=BB53_5 Depth=1
	v_add_co_u32_e32 v4, vcc, v32, v30
	v_addc_co_u32_e32 v5, vcc, v29, v31, vcc
	global_load_dword v25, v[4:5], off
	v_add_co_u32_e32 v4, vcc, v34, v30
	v_addc_co_u32_e32 v5, vcc, v33, v31, vcc
	global_load_dword v17, v[4:5], off
	s_branch .LBB53_3
.LBB53_48:
                                        ; implicit-def: $vgpr27
	s_branch .LBB53_50
.LBB53_49:
	s_cbranch_execnz .LBB53_81
.LBB53_50:
	v_mov_b32_e32 v27, 0
	s_mov_b32 s20, 0
	s_and_b64 vcc, exec, s[0:1]
	v_mov_b32_e32 v26, v27
	s_cbranch_vccnz .LBB53_81
; %bb.51:
	v_bfe_u32 v83, v0, 10, 10
	s_add_u32 s2, s4, 64
	s_addc_u32 s3, s5, 0
	v_lshlrev_b32_e32 v1, 5, v83
	s_lshl_b64 s[0:1], s[34:35], 2
	v_mov_b32_e32 v2, s1
	v_add_co_u32_e32 v1, vcc, s0, v1
	v_addc_co_u32_e32 v4, vcc, 0, v2, vcc
	v_add_co_u32_e32 v6, vcc, 4, v1
	v_addc_co_u32_e32 v5, vcc, 0, v4, vcc
	v_add_co_u32_e32 v9, vcc, 8, v1
	v_mul_lo_u32 v7, s14, v5
	v_addc_co_u32_e32 v5, vcc, 0, v4, vcc
	v_add_co_u32_e32 v12, vcc, 12, v1
	v_mul_lo_u32 v10, s14, v5
	;; [unrolled: 3-line block ×5, first 2 shown]
	v_addc_co_u32_e32 v5, vcc, 0, v4, vcc
	v_add_co_u32_e32 v52, vcc, 28, v1
	v_lshlrev_b32_e32 v20, 3, v83
	v_addc_co_u32_e32 v1, vcc, 0, v4, vcc
	v_mul_lo_u32 v54, s14, v1
	v_mov_b32_e32 v1, s35
	v_add_co_u32_e32 v56, vcc, s34, v20
	v_pk_mov_b32 v[2:3], s[16:17], s[16:17] op_sel:[0,1]
	v_addc_co_u32_e32 v57, vcc, 0, v1, vcc
	v_mad_u64_u32 v[22:23], s[0:1], s14, v6, v[2:3]
	v_mad_u64_u32 v[24:25], s[0:1], s14, v9, v[2:3]
	;; [unrolled: 1-line block ×7, first 2 shown]
	v_mul_lo_u32 v58, s15, v56
	v_mul_lo_u32 v59, s14, v57
	v_mad_u64_u32 v[2:3], s[0:1], s14, v56, 0
	v_add3_u32 v3, v3, v59, v58
	v_lshlrev_b64 v[2:3], 2, v[2:3]
	v_mul_lo_u32 v27, s14, v5
	v_mov_b32_e32 v77, s17
	v_add_co_u32_e32 v38, vcc, s16, v2
	v_pk_mov_b32 v[4:5], s[18:19], s[18:19] op_sel:[0,1]
	v_mul_lo_u32 v17, s15, v15
	v_mul_lo_u32 v55, s15, v52
	v_addc_co_u32_e32 v1, vcc, v77, v3, vcc
	v_mad_u64_u32 v[46:47], s[0:1], s14, v15, v[4:5]
	v_mad_u64_u32 v[52:53], s[0:1], s14, v52, v[4:5]
	v_add3_u32 v31, v17, v31, v16
	v_mul_lo_u32 v21, s15, v18
	v_add3_u32 v37, v55, v37, v54
	v_add3_u32 v47, v17, v47, v16
	v_mad_u64_u32 v[48:49], s[0:1], s14, v18, v[4:5]
	v_add3_u32 v53, v55, v53, v54
	v_mov_b32_e32 v16, s19
	v_add_co_u32_e32 v54, vcc, s18, v2
	v_add3_u32 v33, v21, v33, v19
	v_add3_u32 v49, v21, v49, v19
	v_addc_co_u32_e32 v21, vcc, v16, v3, vcc
	v_add_co_u32_e32 v2, vcc, 7, v56
	v_addc_co_u32_e32 v3, vcc, 0, v57, vcc
	v_mad_u64_u32 v[40:41], s[0:1], s14, v6, v[4:5]
	v_mad_u64_u32 v[42:43], s[0:1], s14, v9, v[4:5]
	;; [unrolled: 1-line block ×4, first 2 shown]
	v_mul_lo_u32 v4, s15, v2
	v_mul_lo_u32 v5, s14, v3
	v_mad_u64_u32 v[2:3], s[0:1], s14, v2, 0
	v_add3_u32 v3, v3, v5, v4
	v_add_co_u32_e32 v4, vcc, 6, v56
	v_mul_lo_u32 v8, s15, v6
	v_addc_co_u32_e32 v5, vcc, 0, v57, vcc
	v_add3_u32 v23, v8, v23, v7
	v_add3_u32 v41, v8, v41, v7
	v_mul_lo_u32 v6, s15, v4
	v_mul_lo_u32 v7, s14, v5
	v_mad_u64_u32 v[4:5], s[0:1], s14, v4, 0
	v_add3_u32 v5, v5, v7, v6
	v_add_co_u32_e32 v6, vcc, 5, v56
	v_addc_co_u32_e32 v7, vcc, 0, v57, vcc
	v_mul_lo_u32 v11, s15, v9
	v_mul_lo_u32 v8, s15, v6
	;; [unrolled: 1-line block ×3, first 2 shown]
	v_mad_u64_u32 v[6:7], s[0:1], s14, v6, 0
	v_add3_u32 v7, v7, v9, v8
	v_add_co_u32_e32 v8, vcc, 4, v56
	v_addc_co_u32_e32 v9, vcc, 0, v57, vcc
	v_add3_u32 v25, v11, v25, v10
	v_add3_u32 v43, v11, v43, v10
	v_mul_lo_u32 v10, s15, v8
	v_mul_lo_u32 v11, s14, v9
	v_mad_u64_u32 v[8:9], s[0:1], s14, v8, 0
	v_add3_u32 v9, v9, v11, v10
	v_add_co_u32_e32 v10, vcc, 3, v56
	v_mul_lo_u32 v14, s15, v12
	v_addc_co_u32_e32 v11, vcc, 0, v57, vcc
	v_add3_u32 v29, v14, v29, v13
	v_add3_u32 v45, v14, v45, v13
	v_mul_lo_u32 v12, s15, v10
	v_mul_lo_u32 v13, s14, v11
	v_mad_u64_u32 v[10:11], s[0:1], s14, v10, 0
	v_add3_u32 v11, v11, v13, v12
	v_add_co_u32_e32 v12, vcc, 2, v56
	v_addc_co_u32_e32 v13, vcc, 0, v57, vcc
	v_mul_lo_u32 v14, s15, v12
	v_mul_lo_u32 v15, s14, v13
	v_mad_u64_u32 v[12:13], s[0:1], s14, v12, 0
	v_lshlrev_b64 v[2:3], 2, v[2:3]
	v_add3_u32 v13, v13, v15, v14
	v_pk_mov_b32 v[14:15], s[14:15], s[14:15] op_sel:[0,1]
	v_mul_lo_u32 v39, s15, v26
	v_mad_u64_u32 v[14:15], s[0:1], s14, v56, v[14:15]
	v_add_co_u32_e32 v56, vcc, s16, v2
	v_add3_u32 v35, v39, v35, v27
	v_add3_u32 v51, v39, v51, v27
	v_addc_co_u32_e32 v39, vcc, v77, v3, vcc
	v_add3_u32 v15, v58, v15, v59
	v_add_co_u32_e32 v58, vcc, s18, v2
	v_addc_co_u32_e32 v55, vcc, v16, v3, vcc
	v_lshlrev_b64 v[2:3], 2, v[4:5]
	v_add_co_u32_e32 v60, vcc, s16, v2
	v_addc_co_u32_e32 v57, vcc, v77, v3, vcc
	v_add_co_u32_e32 v62, vcc, s18, v2
	v_addc_co_u32_e32 v59, vcc, v16, v3, vcc
	v_lshlrev_b64 v[2:3], 2, v[6:7]
	v_add_co_u32_e32 v64, vcc, s16, v2
	v_addc_co_u32_e32 v61, vcc, v77, v3, vcc
	;; [unrolled: 5-line block ×5, first 2 shown]
	s_load_dword s0, s[4:5], 0x44
	v_add_co_u32_e32 v78, vcc, s18, v2
	v_addc_co_u32_e32 v75, vcc, v16, v3, vcc
	v_lshlrev_b64 v[2:3], 2, v[14:15]
	v_add_co_u32_e32 v80, vcc, s16, v2
	v_addc_co_u32_e32 v77, vcc, v77, v3, vcc
	v_and_b32_e32 v88, 0x3ff, v0
	v_add_co_u32_e32 v82, vcc, s18, v2
	v_add_u32_e32 v2, s7, v88
	s_waitcnt lgkmcnt(0)
	s_lshl_b32 s7, s0, 3
	v_mbcnt_lo_u32_b32 v4, -1, 0
	s_mul_i32 s0, s15, s7
	s_mul_hi_u32 s1, s14, s7
	v_mbcnt_hi_u32_b32 v4, -1, v4
	v_addc_co_u32_e32 v79, vcc, v16, v3, vcc
	v_mov_b32_e32 v3, 0
	s_add_i32 s1, s1, s0
	s_mul_i32 s0, s14, s7
	v_lshlrev_b32_e32 v4, 2, v4
	s_mov_b32 s9, s20
	s_lshl_b64 s[10:11], s[0:1], 2
	s_mov_b64 s[16:17], 7
	v_and_b32_e32 v89, 0x100, v4
	s_mov_b64 s[18:19], s[34:35]
	v_mov_b32_e32 v26, v3
	v_mov_b32_e32 v27, v3
	;; [unrolled: 1-line block ×3, first 2 shown]
	v_lshlrev_b64 v[84:85], 2, v[2:3]
	s_branch .LBB53_55
.LBB53_52:                              ;   in Loop: Header=BB53_55 Depth=1
	s_or_b64 exec, exec, s[22:23]
.LBB53_53:                              ;   in Loop: Header=BB53_55 Depth=1
	s_or_b64 exec, exec, s[0:1]
	v_add_co_u32_e32 v4, vcc, v38, v84
	v_addc_co_u32_e32 v5, vcc, v1, v85, vcc
	v_add_co_u32_e32 v8, vcc, v54, v84
	v_addc_co_u32_e32 v9, vcc, v21, v85, vcc
	global_load_dword v5, v[4:5], off
	s_nop 0
	global_load_dword v4, v[8:9], off
	v_add_co_u32_e32 v8, vcc, v22, v84
	v_addc_co_u32_e32 v9, vcc, v23, v85, vcc
	v_add_co_u32_e32 v10, vcc, v40, v84
	v_addc_co_u32_e32 v11, vcc, v41, v85, vcc
	global_load_dword v9, v[8:9], off
	s_nop 0
	global_load_dword v8, v[10:11], off
	v_add_co_u32_e32 v10, vcc, v24, v84
	v_addc_co_u32_e32 v11, vcc, v25, v85, vcc
	global_load_dword v13, v[10:11], off
	v_add_co_u32_e32 v10, vcc, v42, v84
	v_addc_co_u32_e32 v11, vcc, v43, v85, vcc
	;; [unrolled: 3-line block ×11, first 2 shown]
	v_add_co_u32_e32 v90, vcc, v52, v84
	v_addc_co_u32_e32 v91, vcc, v53, v85, vcc
	global_load_dword v92, v[90:91], off
	global_load_dword v11, v[86:87], off
	s_waitcnt vmcnt(17)
	ds_bpermute_b32 v86, v89, v6
	s_waitcnt vmcnt(16)
	ds_bpermute_b32 v87, v89, v2
	ds_bpermute_b32 v90, v89, v6 offset:4
	s_waitcnt vmcnt(14) lgkmcnt(2)
	v_sub_f32_e32 v4, v4, v86
	ds_bpermute_b32 v86, v89, v2 offset:4
	v_mul_f32_e32 v4, v5, v4
	s_waitcnt lgkmcnt(2)
	v_mul_f32_e32 v4, v4, v87
	ds_bpermute_b32 v87, v89, v6 offset:8
	v_pk_add_f32 v[4:5], v[26:27], v[4:5]
	s_waitcnt vmcnt(12) lgkmcnt(2)
	v_sub_f32_e32 v8, v8, v90
	v_mul_f32_e32 v8, v9, v8
	s_waitcnt lgkmcnt(1)
	v_mul_f32_e32 v8, v8, v86
	ds_bpermute_b32 v86, v89, v2 offset:8
	ds_bpermute_b32 v90, v89, v6 offset:12
	v_pk_add_f32 v[4:5], v[4:5], v[8:9]
	ds_bpermute_b32 v8, v89, v6 offset:24
	ds_bpermute_b32 v9, v89, v2 offset:24
	s_waitcnt vmcnt(10) lgkmcnt(4)
	v_sub_f32_e32 v12, v12, v87
	v_mul_f32_e32 v12, v13, v12
	ds_bpermute_b32 v87, v89, v2 offset:12
	s_waitcnt lgkmcnt(4)
	v_mul_f32_e32 v12, v12, v86
	ds_bpermute_b32 v86, v89, v6 offset:16
	v_pk_add_f32 v[4:5], v[4:5], v[12:13]
	s_waitcnt vmcnt(8) lgkmcnt(4)
	v_sub_f32_e32 v14, v14, v90
	v_mul_f32_e32 v14, v15, v14
	ds_bpermute_b32 v90, v89, v6 offset:20
	s_waitcnt lgkmcnt(2)
	v_mul_f32_e32 v14, v14, v87
	ds_bpermute_b32 v87, v89, v2 offset:16
	v_pk_add_f32 v[4:5], v[4:5], v[14:15]
	s_waitcnt vmcnt(6) lgkmcnt(2)
	v_sub_f32_e32 v16, v16, v86
	ds_bpermute_b32 v86, v89, v2 offset:20
	v_mul_f32_e32 v16, v17, v16
	s_waitcnt lgkmcnt(1)
	v_mul_f32_e32 v16, v16, v87
	ds_bpermute_b32 v2, v89, v2 offset:28
	v_pk_add_f32 v[4:5], v[4:5], v[16:17]
	s_waitcnt vmcnt(4)
	v_sub_f32_e32 v18, v18, v90
	v_mul_f32_e32 v18, v19, v18
	s_waitcnt lgkmcnt(1)
	v_mul_f32_e32 v18, v18, v86
	v_pk_add_f32 v[4:5], v[4:5], v[18:19]
	s_waitcnt vmcnt(2)
	v_sub_f32_e32 v8, v10, v8
	ds_bpermute_b32 v10, v89, v6 offset:28
	v_mul_f32_e32 v6, v7, v8
	v_mul_f32_e32 v6, v6, v9
	v_pk_add_f32 v[4:5], v[4:5], v[6:7]
	s_waitcnt vmcnt(1) lgkmcnt(0)
	v_sub_f32_e32 v6, v92, v10
	s_waitcnt vmcnt(0)
	v_mul_f32_e32 v6, v11, v6
	v_mul_f32_e32 v10, v6, v2
.LBB53_54:                              ;   in Loop: Header=BB53_55 Depth=1
	v_mov_b32_e32 v2, s9
	v_add_co_u32_e32 v20, vcc, s7, v20
	v_addc_co_u32_e32 v81, vcc, v81, v2, vcc
	v_mov_b32_e32 v2, s11
	v_add_co_u32_e32 v22, vcc, s10, v22
	v_addc_co_u32_e32 v23, vcc, v23, v2, vcc
	v_add_co_u32_e32 v24, vcc, s10, v24
	v_addc_co_u32_e32 v25, vcc, v25, v2, vcc
	;; [unrolled: 2-line block ×29, first 2 shown]
	s_add_u32 s18, s18, s7
	v_add_co_u32_e32 v82, vcc, s10, v82
	v_pk_add_f32 v[26:27], v[4:5], v[10:11]
	s_addc_u32 s19, s19, 0
	v_addc_co_u32_e32 v79, vcc, v79, v2, vcc
	v_pk_mov_b32 v[4:5], s[12:13], s[12:13] op_sel:[0,1]
	s_add_u32 s16, s16, s7
	v_cmp_ge_i64_e32 vcc, s[18:19], v[4:5]
	s_addc_u32 s17, s17, 0
	s_cbranch_vccnz .LBB53_81
.LBB53_55:                              ; =>This Inner Loop Header: Depth=1
	s_add_u32 s0, s34, s16
	s_addc_u32 s1, 0, s17
	v_pk_mov_b32 v[4:5], s[12:13], s[12:13] op_sel:[0,1]
	v_cmp_ge_i64_e32 vcc, s[0:1], v[4:5]
	v_mov_b32_e32 v2, s35
	v_add_co_u32_e64 v86, s[0:1], s34, v20
	v_addc_co_u32_e64 v87, s[0:1], v2, v81, s[0:1]
	s_cbranch_vccz .LBB53_77
; %bb.56:                               ;   in Loop: Header=BB53_55 Depth=1
	s_load_dword s0, s[2:3], 0xc
	v_mov_b32_e32 v90, 0
	v_mov_b32_e32 v91, 0
	s_waitcnt lgkmcnt(0)
	s_and_b32 s0, s0, 0xffff
	v_mad_u32_u24 v2, v83, s0, v88
	v_and_b32_e32 v2, 63, v2
	v_cmp_gt_u32_e32 vcc, 8, v2
	s_and_saveexec_b64 s[0:1], vcc
	s_cbranch_execz .LBB53_60
; %bb.57:                               ;   in Loop: Header=BB53_55 Depth=1
	v_add_co_u32_e32 v4, vcc, v86, v2
	v_addc_co_u32_e32 v5, vcc, 0, v87, vcc
	v_cmp_gt_i64_e32 vcc, s[12:13], v[4:5]
	v_mov_b32_e32 v91, 0
	v_mov_b32_e32 v90, 0
	s_and_saveexec_b64 s[22:23], vcc
	s_cbranch_execz .LBB53_59
; %bb.58:                               ;   in Loop: Header=BB53_55 Depth=1
	v_lshlrev_b64 v[4:5], 2, v[4:5]
	v_mov_b32_e32 v2, s31
	v_add_co_u32_e32 v6, vcc, s30, v4
	v_addc_co_u32_e32 v7, vcc, v2, v5, vcc
	v_mov_b32_e32 v2, s29
	v_add_co_u32_e32 v4, vcc, s28, v4
	v_addc_co_u32_e32 v5, vcc, v2, v5, vcc
	global_load_dword v91, v[4:5], off
	global_load_dword v90, v[6:7], off
.LBB53_59:                              ;   in Loop: Header=BB53_55 Depth=1
	s_or_b64 exec, exec, s[22:23]
.LBB53_60:                              ;   in Loop: Header=BB53_55 Depth=1
	s_or_b64 exec, exec, s[0:1]
	s_mov_b32 s21, s20
	s_mov_b32 s22, s20
	;; [unrolled: 1-line block ×7, first 2 shown]
	v_pk_mov_b32 v[12:13], s[20:21], s[20:21] op_sel:[0,1]
	v_pk_mov_b32 v[14:15], s[22:23], s[22:23] op_sel:[0,1]
	v_pk_mov_b32 v[16:17], s[24:25], s[24:25] op_sel:[0,1]
	v_pk_mov_b32 v[18:19], s[26:27], s[26:27] op_sel:[0,1]
	v_pk_mov_b32 v[4:5], v[12:13], v[12:13] op_sel:[0,1]
	v_cmp_gt_i64_e32 vcc, s[12:13], v[86:87]
	v_pk_mov_b32 v[6:7], v[14:15], v[14:15] op_sel:[0,1]
	v_pk_mov_b32 v[8:9], v[16:17], v[16:17] op_sel:[0,1]
	;; [unrolled: 1-line block ×3, first 2 shown]
	s_and_saveexec_b64 s[0:1], vcc
	s_cbranch_execz .LBB53_62
; %bb.61:                               ;   in Loop: Header=BB53_55 Depth=1
	v_add_co_u32_e32 v4, vcc, v38, v84
	v_addc_co_u32_e32 v5, vcc, v1, v85, vcc
	global_load_dword v2, v[4:5], off
	v_add_co_u32_e32 v4, vcc, v54, v84
	v_addc_co_u32_e32 v5, vcc, v21, v85, vcc
	global_load_dword v12, v[4:5], off
	v_mov_b32_e32 v4, v3
	v_mov_b32_e32 v5, v3
	;; [unrolled: 1-line block ×6, first 2 shown]
	s_waitcnt vmcnt(1)
	v_pk_mov_b32 v[10:11], v[8:9], v[8:9] op_sel:[0,1]
	v_mov_b32_e32 v13, v3
	v_mov_b32_e32 v14, v3
	;; [unrolled: 1-line block ×7, first 2 shown]
	v_pk_mov_b32 v[8:9], v[6:7], v[6:7] op_sel:[0,1]
	v_pk_mov_b32 v[6:7], v[4:5], v[4:5] op_sel:[0,1]
	;; [unrolled: 1-line block ×3, first 2 shown]
.LBB53_62:                              ;   in Loop: Header=BB53_55 Depth=1
	s_or_b64 exec, exec, s[0:1]
	v_add_co_u32_e32 v92, vcc, 1, v86
	v_addc_co_u32_e32 v93, vcc, 0, v87, vcc
	v_cmp_gt_i64_e32 vcc, s[12:13], v[92:93]
	s_and_saveexec_b64 s[0:1], vcc
	s_cbranch_execz .LBB53_64
; %bb.63:                               ;   in Loop: Header=BB53_55 Depth=1
	v_add_co_u32_e32 v92, vcc, v80, v84
	v_addc_co_u32_e32 v93, vcc, v77, v85, vcc
	global_load_dword v5, v[92:93], off
	v_add_co_u32_e32 v92, vcc, v82, v84
	v_addc_co_u32_e32 v93, vcc, v79, v85, vcc
	global_load_dword v13, v[92:93], off
.LBB53_64:                              ;   in Loop: Header=BB53_55 Depth=1
	s_or_b64 exec, exec, s[0:1]
	v_add_co_u32_e32 v92, vcc, 2, v86
	v_addc_co_u32_e32 v93, vcc, 0, v87, vcc
	v_cmp_gt_i64_e32 vcc, s[12:13], v[92:93]
	s_and_saveexec_b64 s[0:1], vcc
	s_cbranch_execz .LBB53_66
; %bb.65:                               ;   in Loop: Header=BB53_55 Depth=1
	v_add_co_u32_e32 v92, vcc, v76, v84
	v_addc_co_u32_e32 v93, vcc, v73, v85, vcc
	global_load_dword v6, v[92:93], off
	v_add_co_u32_e32 v92, vcc, v78, v84
	v_addc_co_u32_e32 v93, vcc, v75, v85, vcc
	global_load_dword v14, v[92:93], off
.LBB53_66:                              ;   in Loop: Header=BB53_55 Depth=1
	;; [unrolled: 14-line block ×7, first 2 shown]
	s_or_b64 exec, exec, s[0:1]
	s_waitcnt vmcnt(1)
	ds_bpermute_b32 v2, v89, v91
	ds_bpermute_b32 v92, v89, v91 offset:4
	s_waitcnt vmcnt(0)
	ds_bpermute_b32 v93, v89, v90
	ds_bpermute_b32 v94, v89, v90 offset:4
	v_mov_b32_e32 v95, v7
	s_waitcnt lgkmcnt(3)
	v_sub_f32_e32 v2, v12, v2
	v_mul_f32_e32 v2, v4, v2
	s_waitcnt lgkmcnt(2)
	v_sub_f32_e32 v13, v13, v92
	s_waitcnt lgkmcnt(1)
	v_mul_f32_e32 v12, v2, v93
	ds_bpermute_b32 v2, v89, v91 offset:8
	v_mul_f32_e32 v13, v5, v13
	s_waitcnt lgkmcnt(1)
	v_mul_f32_e32 v92, v13, v94
	ds_bpermute_b32 v13, v89, v90 offset:8
	ds_bpermute_b32 v93, v89, v91 offset:12
	;; [unrolled: 1-line block ×3, first 2 shown]
	s_waitcnt lgkmcnt(3)
	v_sub_f32_e32 v2, v14, v2
	v_mul_f32_e32 v2, v6, v2
	s_waitcnt lgkmcnt(2)
	v_mul_f32_e32 v14, v2, v13
	s_waitcnt lgkmcnt(1)
	v_sub_f32_e32 v2, v15, v93
	ds_bpermute_b32 v13, v89, v91 offset:16
	v_mul_f32_e32 v2, v7, v2
	s_waitcnt lgkmcnt(1)
	v_mul_f32_e32 v94, v2, v94
	ds_bpermute_b32 v2, v89, v90 offset:16
	ds_bpermute_b32 v15, v89, v91 offset:20
	;; [unrolled: 1-line block ×3, first 2 shown]
	s_waitcnt lgkmcnt(3)
	v_sub_f32_e32 v13, v16, v13
	v_mul_f32_e32 v13, v8, v13
	s_waitcnt lgkmcnt(2)
	v_mul_f32_e32 v16, v13, v2
	s_waitcnt lgkmcnt(1)
	v_sub_f32_e32 v2, v17, v15
	v_mul_f32_e32 v2, v9, v2
	s_waitcnt lgkmcnt(0)
	v_mul_f32_e32 v96, v2, v93
	ds_bpermute_b32 v2, v89, v91 offset:24
	v_mov_b32_e32 v15, v6
	ds_bpermute_b32 v6, v89, v90 offset:24
	v_mov_b32_e32 v13, v4
	v_pk_add_f32 v[12:13], v[26:27], v[12:13]
	v_mov_b32_e32 v93, v5
	v_pk_add_f32 v[4:5], v[92:93], v[12:13]
	v_mov_b32_e32 v17, v8
	s_waitcnt lgkmcnt(1)
	v_sub_f32_e32 v2, v18, v2
	ds_bpermute_b32 v8, v89, v91 offset:28
	v_pk_add_f32 v[4:5], v[14:15], v[4:5]
	v_mul_f32_e32 v2, v10, v2
	v_pk_add_f32 v[4:5], v[94:95], v[4:5]
	s_waitcnt lgkmcnt(1)
	v_mul_f32_e32 v6, v2, v6
	ds_bpermute_b32 v2, v89, v90 offset:28
	v_pk_add_f32 v[4:5], v[16:17], v[4:5]
	v_mov_b32_e32 v97, v9
	v_pk_add_f32 v[4:5], v[96:97], v[4:5]
	v_mov_b32_e32 v7, v10
	v_pk_add_f32 v[4:5], v[6:7], v[4:5]
	s_waitcnt lgkmcnt(1)
	v_sub_f32_e32 v6, v19, v8
	v_mul_f32_e32 v6, v11, v6
	s_waitcnt lgkmcnt(0)
	v_mul_f32_e32 v10, v6, v2
	s_branch .LBB53_54
.LBB53_77:                              ;   in Loop: Header=BB53_55 Depth=1
                                        ; implicit-def: $vgpr4_vgpr5
                                        ; implicit-def: $vgpr10_vgpr11
	s_cbranch_execz .LBB53_54
; %bb.78:                               ;   in Loop: Header=BB53_55 Depth=1
	s_load_dword s0, s[2:3], 0x0
	v_mov_b32_e32 v2, 0
	v_mov_b32_e32 v6, 0
	s_waitcnt lgkmcnt(0)
	s_cmp_lt_u32 s6, s0
	s_cselect_b32 s0, 12, 18
	s_add_u32 s0, s2, s0
	s_addc_u32 s1, s3, 0
	global_load_ushort v4, v3, s[0:1]
	s_waitcnt vmcnt(0)
	v_mad_u32_u24 v4, v83, v4, v88
	v_and_b32_e32 v4, 63, v4
	v_cmp_gt_u32_e32 vcc, 8, v4
	s_and_saveexec_b64 s[0:1], vcc
	s_cbranch_execz .LBB53_53
; %bb.79:                               ;   in Loop: Header=BB53_55 Depth=1
	v_add_co_u32_e32 v4, vcc, v86, v4
	v_addc_co_u32_e32 v5, vcc, 0, v87, vcc
	v_cmp_gt_i64_e32 vcc, s[12:13], v[4:5]
	v_mov_b32_e32 v6, 0
	v_mov_b32_e32 v2, 0
	s_and_saveexec_b64 s[22:23], vcc
	s_cbranch_execz .LBB53_52
; %bb.80:                               ;   in Loop: Header=BB53_55 Depth=1
	v_lshlrev_b64 v[4:5], 2, v[4:5]
	v_mov_b32_e32 v2, s31
	v_add_co_u32_e32 v8, vcc, s30, v4
	v_addc_co_u32_e32 v9, vcc, v2, v5, vcc
	v_mov_b32_e32 v2, s29
	v_add_co_u32_e32 v4, vcc, s28, v4
	v_addc_co_u32_e32 v5, vcc, v2, v5, vcc
	global_load_dword v6, v[4:5], off
	global_load_dword v2, v[8:9], off
	s_branch .LBB53_52
.LBB53_81:
	s_mov_b32 s7, 0
	s_lshl_b64 s[0:1], s[6:7], 6
	v_and_b32_e32 v1, 0x3ff, v0
	v_or_b32_e32 v4, s0, v1
	v_mov_b32_e32 v5, s1
	v_cmp_gt_i64_e32 vcc, s[14:15], v[4:5]
	s_and_saveexec_b64 s[0:1], vcc
	s_cbranch_execz .LBB53_86
; %bb.82:
	s_load_dword s6, s[4:5], 0x4c
	s_load_dwordx4 s[0:3], s[4:5], 0x30
	v_bfe_u32 v0, v0, 10, 10
	v_mov_b32_e32 v1, 0
	v_mov_b32_e32 v2, s8
	s_waitcnt lgkmcnt(0)
	s_lshr_b32 s4, s6, 16
	v_mad_u64_u32 v[2:3], s[4:5], s4, v2, v[0:1]
	s_cmp_eq_u64 s[0:1], 0
	v_mul_lo_u32 v3, v3, s14
	v_mul_lo_u32 v6, v2, s15
	v_lshlrev_b64 v[0:1], 2, v[4:5]
	s_cbranch_scc1 .LBB53_84
; %bb.83:
	v_mad_u64_u32 v[4:5], s[4:5], v2, s14, 0
	v_add3_u32 v5, v5, v6, v3
	v_lshlrev_b64 v[4:5], 2, v[4:5]
	v_mov_b32_e32 v7, s1
	v_add_co_u32_e32 v4, vcc, s0, v4
	v_addc_co_u32_e32 v5, vcc, v7, v5, vcc
	v_add_co_u32_e32 v4, vcc, v4, v0
	v_addc_co_u32_e32 v5, vcc, v5, v1, vcc
	global_store_dword v[4:5], v26, off
.LBB53_84:
	s_cmp_eq_u64 s[2:3], 0
	s_cbranch_scc1 .LBB53_86
; %bb.85:
	v_mad_u64_u32 v[4:5], s[0:1], v2, s14, 0
	v_add3_u32 v5, v5, v6, v3
	v_lshlrev_b64 v[2:3], 2, v[4:5]
	v_mov_b32_e32 v4, s3
	v_add_co_u32_e32 v2, vcc, s2, v2
	v_addc_co_u32_e32 v3, vcc, v4, v3, vcc
	v_add_co_u32_e32 v0, vcc, v2, v0
	v_addc_co_u32_e32 v1, vcc, v3, v1, vcc
	global_store_dword v[0:1], v27, off
.LBB53_86:
	s_endpgm
	.section	.rodata,"a",@progbits
	.p2align	6, 0x0
	.amdhsa_kernel _ZN2at6native12_GLOBAL__N_135GammaBetaBackwardCUDAKernelTemplateIffLj64ELj1ELj8ELb1ELb0ELb0EEEvllPKT_S5_PKT0_S8_PS3_S9_
		.amdhsa_group_segment_fixed_size 0
		.amdhsa_private_segment_fixed_size 0
		.amdhsa_kernarg_size 320
		.amdhsa_user_sgpr_count 6
		.amdhsa_user_sgpr_private_segment_buffer 1
		.amdhsa_user_sgpr_dispatch_ptr 0
		.amdhsa_user_sgpr_queue_ptr 0
		.amdhsa_user_sgpr_kernarg_segment_ptr 1
		.amdhsa_user_sgpr_dispatch_id 0
		.amdhsa_user_sgpr_flat_scratch_init 0
		.amdhsa_user_sgpr_kernarg_preload_length 0
		.amdhsa_user_sgpr_kernarg_preload_offset 0
		.amdhsa_user_sgpr_private_segment_size 0
		.amdhsa_uses_dynamic_stack 0
		.amdhsa_system_sgpr_private_segment_wavefront_offset 0
		.amdhsa_system_sgpr_workgroup_id_x 1
		.amdhsa_system_sgpr_workgroup_id_y 1
		.amdhsa_system_sgpr_workgroup_id_z 0
		.amdhsa_system_sgpr_workgroup_info 0
		.amdhsa_system_vgpr_workitem_id 1
		.amdhsa_next_free_vgpr 98
		.amdhsa_next_free_sgpr 46
		.amdhsa_accum_offset 100
		.amdhsa_reserve_vcc 1
		.amdhsa_reserve_flat_scratch 0
		.amdhsa_float_round_mode_32 0
		.amdhsa_float_round_mode_16_64 0
		.amdhsa_float_denorm_mode_32 3
		.amdhsa_float_denorm_mode_16_64 3
		.amdhsa_dx10_clamp 1
		.amdhsa_ieee_mode 1
		.amdhsa_fp16_overflow 0
		.amdhsa_tg_split 0
		.amdhsa_exception_fp_ieee_invalid_op 0
		.amdhsa_exception_fp_denorm_src 0
		.amdhsa_exception_fp_ieee_div_zero 0
		.amdhsa_exception_fp_ieee_overflow 0
		.amdhsa_exception_fp_ieee_underflow 0
		.amdhsa_exception_fp_ieee_inexact 0
		.amdhsa_exception_int_div_zero 0
	.end_amdhsa_kernel
	.section	.text._ZN2at6native12_GLOBAL__N_135GammaBetaBackwardCUDAKernelTemplateIffLj64ELj1ELj8ELb1ELb0ELb0EEEvllPKT_S5_PKT0_S8_PS3_S9_,"axG",@progbits,_ZN2at6native12_GLOBAL__N_135GammaBetaBackwardCUDAKernelTemplateIffLj64ELj1ELj8ELb1ELb0ELb0EEEvllPKT_S5_PKT0_S8_PS3_S9_,comdat
.Lfunc_end53:
	.size	_ZN2at6native12_GLOBAL__N_135GammaBetaBackwardCUDAKernelTemplateIffLj64ELj1ELj8ELb1ELb0ELb0EEEvllPKT_S5_PKT0_S8_PS3_S9_, .Lfunc_end53-_ZN2at6native12_GLOBAL__N_135GammaBetaBackwardCUDAKernelTemplateIffLj64ELj1ELj8ELb1ELb0ELb0EEEvllPKT_S5_PKT0_S8_PS3_S9_
                                        ; -- End function
	.section	.AMDGPU.csdata,"",@progbits
; Kernel info:
; codeLenInByte = 6884
; NumSgprs: 50
; NumVgprs: 98
; NumAgprs: 0
; TotalNumVgprs: 98
; ScratchSize: 0
; MemoryBound: 0
; FloatMode: 240
; IeeeMode: 1
; LDSByteSize: 0 bytes/workgroup (compile time only)
; SGPRBlocks: 6
; VGPRBlocks: 12
; NumSGPRsForWavesPerEU: 50
; NumVGPRsForWavesPerEU: 98
; AccumOffset: 100
; Occupancy: 4
; WaveLimiterHint : 0
; COMPUTE_PGM_RSRC2:SCRATCH_EN: 0
; COMPUTE_PGM_RSRC2:USER_SGPR: 6
; COMPUTE_PGM_RSRC2:TRAP_HANDLER: 0
; COMPUTE_PGM_RSRC2:TGID_X_EN: 1
; COMPUTE_PGM_RSRC2:TGID_Y_EN: 1
; COMPUTE_PGM_RSRC2:TGID_Z_EN: 0
; COMPUTE_PGM_RSRC2:TIDIG_COMP_CNT: 1
; COMPUTE_PGM_RSRC3_GFX90A:ACCUM_OFFSET: 24
; COMPUTE_PGM_RSRC3_GFX90A:TG_SPLIT: 0
	.section	.text._ZN2at6native12_GLOBAL__N_135GammaBetaBackwardCUDAKernelTemplateIffLj64ELj8ELj64ELb0ELb1ELb0EEEvllPKT_S5_PKT0_S8_PS3_S9_,"axG",@progbits,_ZN2at6native12_GLOBAL__N_135GammaBetaBackwardCUDAKernelTemplateIffLj64ELj8ELj64ELb0ELb1ELb0EEEvllPKT_S5_PKT0_S8_PS3_S9_,comdat
	.globl	_ZN2at6native12_GLOBAL__N_135GammaBetaBackwardCUDAKernelTemplateIffLj64ELj8ELj64ELb0ELb1ELb0EEEvllPKT_S5_PKT0_S8_PS3_S9_ ; -- Begin function _ZN2at6native12_GLOBAL__N_135GammaBetaBackwardCUDAKernelTemplateIffLj64ELj8ELj64ELb0ELb1ELb0EEEvllPKT_S5_PKT0_S8_PS3_S9_
	.p2align	8
	.type	_ZN2at6native12_GLOBAL__N_135GammaBetaBackwardCUDAKernelTemplateIffLj64ELj8ELj64ELb0ELb1ELb0EEEvllPKT_S5_PKT0_S8_PS3_S9_,@function
_ZN2at6native12_GLOBAL__N_135GammaBetaBackwardCUDAKernelTemplateIffLj64ELj8ELj64ELb0ELb1ELb0EEEvllPKT_S5_PKT0_S8_PS3_S9_: ; @_ZN2at6native12_GLOBAL__N_135GammaBetaBackwardCUDAKernelTemplateIffLj64ELj8ELj64ELb0ELb1ELb0EEEvllPKT_S5_PKT0_S8_PS3_S9_
; %bb.0:
	s_load_dwordx4 s[20:23], s[4:5], 0x0
	s_lshl_b32 s2, s7, 6
	s_mov_b32 s3, 0
	v_bfe_u32 v12, v0, 10, 10
	s_waitcnt lgkmcnt(0)
	v_pk_mov_b32 v[2:3], s[20:21], s[20:21] op_sel:[0,1]
	v_cmp_lt_i64_e32 vcc, s[2:3], v[2:3]
	s_cbranch_vccnz .LBB54_2
; %bb.1:
	s_mov_b64 s[0:1], 0
	v_bfe_u32 v4, v0, 10, 10
	s_branch .LBB54_3
.LBB54_2:
	s_mov_b64 s[0:1], -1
                                        ; implicit-def: $vgpr4
.LBB54_3:
	s_load_dwordx4 s[16:19], s[4:5], 0x30
	v_and_b32_e32 v10, 0x3ff, v0
	s_andn2_b64 vcc, exec, s[0:1]
	v_mov_b32_e32 v1, s3
	v_mbcnt_lo_u32_b32 v11, -1, 0
	v_mov_b32_e32 v0, s3
	s_cbranch_vccnz .LBB54_11
; %bb.4:
	s_load_dword s0, s[4:5], 0x4c
	s_load_dword s7, s[4:5], 0x44
	s_load_dwordx8 s[8:15], s[4:5], 0x10
	v_mbcnt_hi_u32_b32 v4, -1, v11
	v_lshlrev_b32_e32 v2, 3, v12
	s_waitcnt lgkmcnt(0)
	s_and_b32 s0, s0, 0xffff
	v_lshlrev_b32_e32 v4, 2, v4
	v_mad_u32_u24 v0, v12, s0, v10
	v_and_b32_e32 v13, 0x100, v4
	v_mov_b32_e32 v4, s3
	v_add_co_u32_e32 v6, vcc, s2, v2
	v_and_b32_e32 v3, 63, v0
	v_addc_co_u32_e32 v7, vcc, 0, v4, vcc
	v_add_co_u32_e32 v2, vcc, v6, v3
	v_cmp_gt_u32_e64 s[0:1], 8, v3
	s_lshl_b32 s4, s7, 6
	v_addc_co_u32_e32 v3, vcc, 0, v7, vcc
	v_mul_lo_u32 v8, s23, v6
	v_mul_lo_u32 v9, s22, v7
	v_mad_u64_u32 v[6:7], s[26:27], s22, v6, 0
	v_mov_b32_e32 v1, 0
	v_lshl_add_u32 v0, s6, 6, v10
	v_add3_u32 v7, v7, v9, v8
	s_mul_i32 s7, s23, s4
	s_mul_hi_u32 s26, s22, s4
	s_mov_b32 s5, 0
	v_lshlrev_b64 v[6:7], 2, v[6:7]
	v_lshlrev_b64 v[8:9], 2, v[0:1]
	s_add_i32 s27, s26, s7
	s_mul_i32 s26, s22, s4
	s_lshl_b64 s[24:25], s[4:5], 2
	v_add_co_u32_e32 v6, vcc, v6, v8
	s_lshl_b64 s[26:27], s[26:27], 2
	s_lshl_b64 s[22:23], s[22:23], 2
	v_or_b32_e32 v14, 4, v13
	v_or_b32_e32 v15, 8, v13
	;; [unrolled: 1-line block ×7, first 2 shown]
	v_lshlrev_b64 v[4:5], 2, v[2:3]
	v_addc_co_u32_e32 v7, vcc, v7, v9, vcc
	v_mov_b32_e32 v21, s9
	v_mov_b32_e32 v22, s11
	;; [unrolled: 1-line block ×6, first 2 shown]
	v_pk_mov_b32 v[8:9], s[20:21], s[20:21] op_sel:[0,1]
	v_mov_b32_e32 v0, v1
	s_branch .LBB54_7
.LBB54_5:                               ;   in Loop: Header=BB54_7 Depth=1
	s_or_b64 exec, exec, s[30:31]
.LBB54_6:                               ;   in Loop: Header=BB54_7 Depth=1
	s_or_b64 exec, exec, s[28:29]
	v_add_co_u32_e32 v30, vcc, s8, v6
	v_addc_co_u32_e32 v31, vcc, v21, v7, vcc
	v_add_co_u32_e32 v34, vcc, s10, v6
	v_addc_co_u32_e32 v35, vcc, v22, v7, vcc
	global_load_dword v33, v[30:31], off
	v_add_co_u32_e32 v30, vcc, s22, v30
	v_addc_co_u32_e32 v31, vcc, v31, v23, vcc
	global_load_dword v32, v[34:35], off
	;; [unrolled: 3-line block ×13, first 2 shown]
	global_load_dword v47, v[30:31], off
	v_add_co_u32_e32 v30, vcc, s22, v30
	v_addc_co_u32_e32 v31, vcc, v31, v23, vcc
	v_add_co_u32_e32 v34, vcc, s22, v34
	v_addc_co_u32_e32 v35, vcc, v35, v23, vcc
	global_load_dword v48, v[34:35], off
	global_load_dword v29, v[30:31], off
	s_waitcnt vmcnt(17)
	ds_bpermute_b32 v30, v13, v28
	s_waitcnt vmcnt(16)
	ds_bpermute_b32 v31, v13, v27
	ds_bpermute_b32 v34, v14, v28
	;; [unrolled: 1-line block ×3, first 2 shown]
	v_add_co_u32_e32 v4, vcc, s24, v4
	v_addc_co_u32_e32 v5, vcc, v5, v24, vcc
	v_add_co_u32_e32 v2, vcc, s4, v2
	v_addc_co_u32_e32 v3, vcc, v3, v25, vcc
	s_add_u32 s2, s2, s4
	v_add_co_u32_e32 v6, vcc, s26, v6
	s_waitcnt vmcnt(14) lgkmcnt(3)
	v_sub_f32_e32 v30, v32, v30
	v_mul_f32_e32 v30, v33, v30
	s_waitcnt lgkmcnt(2)
	v_mul_f32_e32 v32, v30, v31
	ds_bpermute_b32 v30, v14, v27
	ds_bpermute_b32 v31, v15, v28
	v_pk_add_f32 v[0:1], v[0:1], v[32:33]
	s_addc_u32 s3, s3, 0
	v_addc_co_u32_e32 v7, vcc, v7, v26, vcc
	v_cmp_lt_i64_e32 vcc, s[2:3], v[8:9]
	s_waitcnt vmcnt(12) lgkmcnt(3)
	v_sub_f32_e32 v34, v36, v34
	v_mul_f32_e32 v34, v37, v34
	s_waitcnt lgkmcnt(1)
	v_mul_f32_e32 v36, v34, v30
	ds_bpermute_b32 v34, v17, v28
	v_pk_add_f32 v[0:1], v[0:1], v[36:37]
	s_and_b64 vcc, exec, vcc
	s_waitcnt vmcnt(10) lgkmcnt(1)
	v_sub_f32_e32 v30, v38, v31
	ds_bpermute_b32 v31, v16, v28
	v_mul_f32_e32 v30, v39, v30
	v_mul_f32_e32 v38, v30, v35
	ds_bpermute_b32 v30, v16, v27
	ds_bpermute_b32 v35, v17, v27
	v_pk_add_f32 v[0:1], v[0:1], v[38:39]
	s_waitcnt vmcnt(8) lgkmcnt(2)
	v_sub_f32_e32 v31, v40, v31
	v_mul_f32_e32 v31, v41, v31
	s_waitcnt lgkmcnt(1)
	v_mul_f32_e32 v40, v31, v30
	ds_bpermute_b32 v31, v18, v28
	v_pk_add_f32 v[0:1], v[0:1], v[40:41]
	s_waitcnt vmcnt(6)
	v_sub_f32_e32 v30, v42, v34
	v_mul_f32_e32 v30, v43, v30
	s_waitcnt lgkmcnt(1)
	v_mul_f32_e32 v42, v30, v35
	ds_bpermute_b32 v30, v18, v27
	ds_bpermute_b32 v34, v19, v28
	;; [unrolled: 1-line block ×5, first 2 shown]
	v_pk_add_f32 v[0:1], v[0:1], v[42:43]
	s_waitcnt vmcnt(4) lgkmcnt(5)
	v_sub_f32_e32 v31, v44, v31
	v_mul_f32_e32 v31, v45, v31
	s_waitcnt lgkmcnt(4)
	v_mul_f32_e32 v44, v31, v30
	v_pk_add_f32 v[0:1], v[0:1], v[44:45]
	s_waitcnt vmcnt(3) lgkmcnt(3)
	v_sub_f32_e32 v30, v46, v34
	s_waitcnt vmcnt(2)
	v_mul_f32_e32 v30, v47, v30
	s_waitcnt lgkmcnt(1)
	v_mul_f32_e32 v46, v30, v35
	v_pk_add_f32 v[0:1], v[0:1], v[46:47]
	s_waitcnt vmcnt(1)
	v_sub_f32_e32 v28, v48, v28
	s_waitcnt vmcnt(0)
	v_mul_f32_e32 v28, v29, v28
	s_waitcnt lgkmcnt(0)
	v_mul_f32_e32 v28, v28, v27
	v_pk_add_f32 v[0:1], v[0:1], v[28:29]
	s_cbranch_vccz .LBB54_10
.LBB54_7:                               ; =>This Inner Loop Header: Depth=1
	v_mov_b32_e32 v27, 0
	v_mov_b32_e32 v28, 0
	s_and_saveexec_b64 s[28:29], s[0:1]
	s_cbranch_execz .LBB54_6
; %bb.8:                                ;   in Loop: Header=BB54_7 Depth=1
	v_cmp_gt_i64_e32 vcc, s[20:21], v[2:3]
	v_mov_b32_e32 v28, 0
	v_mov_b32_e32 v27, 0
	s_and_saveexec_b64 s[30:31], vcc
	s_cbranch_execz .LBB54_5
; %bb.9:                                ;   in Loop: Header=BB54_7 Depth=1
	v_mov_b32_e32 v27, s15
	v_add_co_u32_e32 v30, vcc, s14, v4
	v_addc_co_u32_e32 v31, vcc, v27, v5, vcc
	v_mov_b32_e32 v27, s13
	v_add_co_u32_e32 v32, vcc, s12, v4
	v_addc_co_u32_e32 v33, vcc, v27, v5, vcc
	global_load_dword v28, v[32:33], off
	global_load_dword v27, v[30:31], off
	s_branch .LBB54_5
.LBB54_10:
	v_mov_b32_e32 v4, v12
.LBB54_11:
	s_movk_i32 s0, 0x41
	v_mad_u32_u24 v2, v4, s0, v10
	v_lshl_add_u32 v2, v2, 2, 0
	v_lshrrev_b32_e32 v5, 6, v10
	ds_write_b32 v2, v0
	ds_write_b32 v2, v1 offset:2080
	v_add_u32_e32 v0, v5, v4
	s_mov_b32 s7, 0
	v_cmp_gt_u32_e32 vcc, 64, v0
	s_waitcnt lgkmcnt(0)
	s_barrier
	s_and_saveexec_b64 s[0:1], vcc
	s_cbranch_execz .LBB54_21
; %bb.12:
	v_and_b32_e32 v1, 63, v10
	v_cmp_gt_u32_e64 s[0:1], 8, v1
	v_mul_u32_u24_e32 v12, 0x41, v1
	v_mbcnt_hi_u32_b32 v1, -1, v11
	v_and_b32_e32 v2, 64, v1
	v_add_u32_e32 v2, 64, v2
	v_xor_b32_e32 v3, 4, v1
	v_cmp_lt_i32_e32 vcc, v3, v2
	v_cndmask_b32_e32 v3, v1, v3, vcc
	v_lshlrev_b32_e32 v6, 2, v3
	v_xor_b32_e32 v3, 2, v1
	v_cmp_lt_i32_e32 vcc, v3, v2
	v_cndmask_b32_e32 v3, v1, v3, vcc
	v_lshlrev_b32_e32 v7, 2, v3
	v_xor_b32_e32 v3, 1, v1
	s_lshl_b64 s[4:5], s[6:7], 6
	v_cmp_lt_i32_e32 vcc, v3, v2
	v_cndmask_b32_e32 v1, v1, v3, vcc
	v_add_u32_e32 v9, -8, v0
	v_or_b32_e32 v0, s4, v5
	v_lshlrev_b32_e32 v8, 2, v1
	v_mov_b32_e32 v1, s5
	v_add_co_u32_e32 v0, vcc, v0, v4
	v_addc_co_u32_e32 v1, vcc, 0, v1, vcc
	v_lshlrev_b64 v[2:3], 2, v[0:1]
	v_mov_b32_e32 v1, s19
	v_add_co_u32_e32 v0, vcc, s18, v2
	s_cmp_lg_u64 s[16:17], 0
	v_addc_co_u32_e32 v1, vcc, v1, v3, vcc
	v_cmp_eq_u32_e64 s[2:3], 0, v10
	s_cselect_b64 s[6:7], -1, 0
	s_cmp_lg_u64 s[18:19], 0
	v_mov_b32_e32 v10, s17
	v_add_co_u32_e32 v2, vcc, s16, v2
	v_add3_u32 v4, v12, v4, v5
	v_addc_co_u32_e32 v3, vcc, v10, v3, vcc
	v_lshl_add_u32 v10, v4, 2, 0
	v_cndmask_b32_e64 v4, 0, 1, s[6:7]
	s_cselect_b64 s[6:7], -1, 0
	v_cmp_ne_u32_e64 s[4:5], 1, v4
	v_cndmask_b32_e64 v4, 0, 1, s[6:7]
	s_mov_b64 s[8:9], 0
	v_cmp_ne_u32_e64 s[6:7], 1, v4
                                        ; implicit-def: $vgpr4
	s_branch .LBB54_14
.LBB54_13:                              ;   in Loop: Header=BB54_14 Depth=1
	s_or_b64 exec, exec, s[10:11]
	v_add_co_u32_e32 v0, vcc, 32, v0
	v_addc_co_u32_e32 v1, vcc, 0, v1, vcc
	v_add_co_u32_e32 v2, vcc, 32, v2
	v_add_u32_e32 v9, 8, v9
	v_addc_co_u32_e32 v3, vcc, 0, v3, vcc
	v_cmp_lt_u32_e32 vcc, 55, v9
	s_or_b64 s[8:9], vcc, s[8:9]
	v_add_u32_e32 v10, 32, v10
	s_andn2_b64 exec, exec, s[8:9]
	s_cbranch_execz .LBB54_21
.LBB54_14:                              ; =>This Inner Loop Header: Depth=1
	s_and_saveexec_b64 s[10:11], s[0:1]
	s_cbranch_execz .LBB54_16
; %bb.15:                               ;   in Loop: Header=BB54_14 Depth=1
	ds_read_b32 v5, v10
	ds_read_b32 v4, v10 offset:2080
.LBB54_16:                              ;   in Loop: Header=BB54_14 Depth=1
	s_or_b64 exec, exec, s[10:11]
	s_waitcnt lgkmcnt(1)
	ds_bpermute_b32 v13, v6, v5
	s_waitcnt lgkmcnt(1)
	ds_bpermute_b32 v12, v6, v4
	s_waitcnt lgkmcnt(0)
	v_pk_add_f32 v[4:5], v[4:5], v[12:13]
	ds_bpermute_b32 v13, v7, v5
	ds_bpermute_b32 v12, v7, v4
	s_waitcnt lgkmcnt(0)
	v_pk_add_f32 v[4:5], v[4:5], v[12:13]
	ds_bpermute_b32 v13, v8, v5
	ds_bpermute_b32 v12, v8, v4
	s_waitcnt lgkmcnt(0)
	v_pk_add_f32 v[4:5], v[4:5], v[12:13]
	s_and_saveexec_b64 s[10:11], s[2:3]
	s_cbranch_execz .LBB54_13
; %bb.17:                               ;   in Loop: Header=BB54_14 Depth=1
	s_and_b64 vcc, exec, s[4:5]
	s_cbranch_vccnz .LBB54_19
; %bb.18:                               ;   in Loop: Header=BB54_14 Depth=1
	global_store_dword v[2:3], v5, off
.LBB54_19:                              ;   in Loop: Header=BB54_14 Depth=1
	s_and_b64 vcc, exec, s[6:7]
	s_cbranch_vccnz .LBB54_13
; %bb.20:                               ;   in Loop: Header=BB54_14 Depth=1
	global_store_dword v[0:1], v4, off
	s_branch .LBB54_13
.LBB54_21:
	s_endpgm
	.section	.rodata,"a",@progbits
	.p2align	6, 0x0
	.amdhsa_kernel _ZN2at6native12_GLOBAL__N_135GammaBetaBackwardCUDAKernelTemplateIffLj64ELj8ELj64ELb0ELb1ELb0EEEvllPKT_S5_PKT0_S8_PS3_S9_
		.amdhsa_group_segment_fixed_size 0
		.amdhsa_private_segment_fixed_size 0
		.amdhsa_kernarg_size 320
		.amdhsa_user_sgpr_count 6
		.amdhsa_user_sgpr_private_segment_buffer 1
		.amdhsa_user_sgpr_dispatch_ptr 0
		.amdhsa_user_sgpr_queue_ptr 0
		.amdhsa_user_sgpr_kernarg_segment_ptr 1
		.amdhsa_user_sgpr_dispatch_id 0
		.amdhsa_user_sgpr_flat_scratch_init 0
		.amdhsa_user_sgpr_kernarg_preload_length 0
		.amdhsa_user_sgpr_kernarg_preload_offset 0
		.amdhsa_user_sgpr_private_segment_size 0
		.amdhsa_uses_dynamic_stack 0
		.amdhsa_system_sgpr_private_segment_wavefront_offset 0
		.amdhsa_system_sgpr_workgroup_id_x 1
		.amdhsa_system_sgpr_workgroup_id_y 1
		.amdhsa_system_sgpr_workgroup_id_z 0
		.amdhsa_system_sgpr_workgroup_info 0
		.amdhsa_system_vgpr_workitem_id 1
		.amdhsa_next_free_vgpr 49
		.amdhsa_next_free_sgpr 32
		.amdhsa_accum_offset 52
		.amdhsa_reserve_vcc 1
		.amdhsa_reserve_flat_scratch 0
		.amdhsa_float_round_mode_32 0
		.amdhsa_float_round_mode_16_64 0
		.amdhsa_float_denorm_mode_32 3
		.amdhsa_float_denorm_mode_16_64 3
		.amdhsa_dx10_clamp 1
		.amdhsa_ieee_mode 1
		.amdhsa_fp16_overflow 0
		.amdhsa_tg_split 0
		.amdhsa_exception_fp_ieee_invalid_op 0
		.amdhsa_exception_fp_denorm_src 0
		.amdhsa_exception_fp_ieee_div_zero 0
		.amdhsa_exception_fp_ieee_overflow 0
		.amdhsa_exception_fp_ieee_underflow 0
		.amdhsa_exception_fp_ieee_inexact 0
		.amdhsa_exception_int_div_zero 0
	.end_amdhsa_kernel
	.section	.text._ZN2at6native12_GLOBAL__N_135GammaBetaBackwardCUDAKernelTemplateIffLj64ELj8ELj64ELb0ELb1ELb0EEEvllPKT_S5_PKT0_S8_PS3_S9_,"axG",@progbits,_ZN2at6native12_GLOBAL__N_135GammaBetaBackwardCUDAKernelTemplateIffLj64ELj8ELj64ELb0ELb1ELb0EEEvllPKT_S5_PKT0_S8_PS3_S9_,comdat
.Lfunc_end54:
	.size	_ZN2at6native12_GLOBAL__N_135GammaBetaBackwardCUDAKernelTemplateIffLj64ELj8ELj64ELb0ELb1ELb0EEEvllPKT_S5_PKT0_S8_PS3_S9_, .Lfunc_end54-_ZN2at6native12_GLOBAL__N_135GammaBetaBackwardCUDAKernelTemplateIffLj64ELj8ELj64ELb0ELb1ELb0EEEvllPKT_S5_PKT0_S8_PS3_S9_
                                        ; -- End function
	.section	.AMDGPU.csdata,"",@progbits
; Kernel info:
; codeLenInByte = 1640
; NumSgprs: 36
; NumVgprs: 49
; NumAgprs: 0
; TotalNumVgprs: 49
; ScratchSize: 0
; MemoryBound: 0
; FloatMode: 240
; IeeeMode: 1
; LDSByteSize: 0 bytes/workgroup (compile time only)
; SGPRBlocks: 4
; VGPRBlocks: 6
; NumSGPRsForWavesPerEU: 36
; NumVGPRsForWavesPerEU: 49
; AccumOffset: 52
; Occupancy: 8
; WaveLimiterHint : 0
; COMPUTE_PGM_RSRC2:SCRATCH_EN: 0
; COMPUTE_PGM_RSRC2:USER_SGPR: 6
; COMPUTE_PGM_RSRC2:TRAP_HANDLER: 0
; COMPUTE_PGM_RSRC2:TGID_X_EN: 1
; COMPUTE_PGM_RSRC2:TGID_Y_EN: 1
; COMPUTE_PGM_RSRC2:TGID_Z_EN: 0
; COMPUTE_PGM_RSRC2:TIDIG_COMP_CNT: 1
; COMPUTE_PGM_RSRC3_GFX90A:ACCUM_OFFSET: 12
; COMPUTE_PGM_RSRC3_GFX90A:TG_SPLIT: 0
	.section	.text._ZN2at6native12_GLOBAL__N_135GammaBetaBackwardCUDAKernelTemplateIffLj64ELj8ELj64ELb0ELb0ELb0EEEvllPKT_S5_PKT0_S8_PS3_S9_,"axG",@progbits,_ZN2at6native12_GLOBAL__N_135GammaBetaBackwardCUDAKernelTemplateIffLj64ELj8ELj64ELb0ELb0ELb0EEEvllPKT_S5_PKT0_S8_PS3_S9_,comdat
	.globl	_ZN2at6native12_GLOBAL__N_135GammaBetaBackwardCUDAKernelTemplateIffLj64ELj8ELj64ELb0ELb0ELb0EEEvllPKT_S5_PKT0_S8_PS3_S9_ ; -- Begin function _ZN2at6native12_GLOBAL__N_135GammaBetaBackwardCUDAKernelTemplateIffLj64ELj8ELj64ELb0ELb0ELb0EEEvllPKT_S5_PKT0_S8_PS3_S9_
	.p2align	8
	.type	_ZN2at6native12_GLOBAL__N_135GammaBetaBackwardCUDAKernelTemplateIffLj64ELj8ELj64ELb0ELb0ELb0EEEvllPKT_S5_PKT0_S8_PS3_S9_,@function
_ZN2at6native12_GLOBAL__N_135GammaBetaBackwardCUDAKernelTemplateIffLj64ELj8ELj64ELb0ELb0ELb0EEEvllPKT_S5_PKT0_S8_PS3_S9_: ; @_ZN2at6native12_GLOBAL__N_135GammaBetaBackwardCUDAKernelTemplateIffLj64ELj8ELj64ELb0ELb0ELb0EEEvllPKT_S5_PKT0_S8_PS3_S9_
; %bb.0:
	s_load_dwordx8 s[12:19], s[4:5], 0x0
	s_load_dwordx4 s[28:31], s[4:5], 0x20
	s_lshl_b32 s33, s6, 6
	s_mov_b32 s20, 0
	s_or_b32 s0, s33, 63
	s_mov_b32 s1, s20
	s_waitcnt lgkmcnt(0)
	v_pk_mov_b32 v[2:3], s[14:15], s[14:15] op_sel:[0,1]
	v_cmp_ge_i64_e32 vcc, s[0:1], v[2:3]
	s_lshl_b32 s10, s7, 6
	s_mov_b32 s11, s20
	v_pk_mov_b32 v[2:3], s[12:13], s[12:13] op_sel:[0,1]
	v_cmp_lt_i64_e64 s[0:1], s[10:11], v[2:3]
	v_cndmask_b32_e64 v1, 0, 1, s[0:1]
	v_cmp_ne_u32_e64 s[0:1], 1, v1
	s_cbranch_vccz .LBB55_48
; %bb.1:
	v_mov_b32_e32 v27, 0
	s_and_b64 vcc, exec, s[0:1]
	v_mov_b32_e32 v26, v27
	s_cbranch_vccnz .LBB55_49
; %bb.2:
	v_and_b32_e32 v61, 0x3ff, v0
	v_bfe_u32 v63, v0, 10, 10
	v_add_u32_e32 v2, s33, v61
	v_mov_b32_e32 v3, 0
	v_lshlrev_b32_e32 v28, 3, v63
	v_cmp_gt_i64_e64 s[2:3], s[14:15], v[2:3]
	v_lshlrev_b64 v[30:31], 2, v[2:3]
	v_mov_b32_e32 v1, s11
	v_add_co_u32_e32 v2, vcc, s10, v28
	v_addc_co_u32_e32 v6, vcc, 0, v1, vcc
	v_add_co_u32_e32 v1, vcc, 7, v2
	v_addc_co_u32_e32 v4, vcc, 0, v6, vcc
	v_mul_lo_u32 v7, s15, v1
	v_mul_lo_u32 v8, s14, v4
	v_mad_u64_u32 v[4:5], s[8:9], s14, v1, 0
	s_load_dword s7, s[4:5], 0x44
	v_add3_u32 v5, v5, v8, v7
	v_lshlrev_b64 v[4:5], 2, v[4:5]
	v_mov_b32_e32 v7, s17
	v_add_co_u32_e32 v32, vcc, s16, v4
	v_addc_co_u32_e32 v1, vcc, v7, v5, vcc
	s_add_u32 s34, s4, 64
	v_mov_b32_e32 v8, s19
	v_add_co_u32_e32 v34, vcc, s18, v4
	s_addc_u32 s35, s5, 0
	s_waitcnt lgkmcnt(0)
	s_lshl_b32 s7, s7, 6
	v_addc_co_u32_e32 v29, vcc, v8, v5, vcc
	s_mul_i32 s8, s15, s7
	s_mul_hi_u32 s9, s14, s7
	v_add_co_u32_e32 v4, vcc, 6, v2
	s_add_i32 s9, s9, s8
	s_mul_i32 s8, s14, s7
	v_addc_co_u32_e32 v5, vcc, 0, v6, vcc
	s_lshl_b64 s[36:37], s[8:9], 2
	v_mul_lo_u32 v9, s15, v4
	v_mul_lo_u32 v10, s14, v5
	v_mad_u64_u32 v[4:5], s[8:9], s14, v4, 0
	v_add3_u32 v5, v5, v10, v9
	v_lshlrev_b64 v[4:5], 2, v[4:5]
	v_add_co_u32_e32 v36, vcc, s16, v4
	v_addc_co_u32_e32 v33, vcc, v7, v5, vcc
	v_add_co_u32_e32 v38, vcc, s18, v4
	v_addc_co_u32_e32 v35, vcc, v8, v5, vcc
	v_add_co_u32_e32 v4, vcc, 5, v2
	v_addc_co_u32_e32 v5, vcc, 0, v6, vcc
	v_mul_lo_u32 v9, s15, v4
	v_mul_lo_u32 v10, s14, v5
	v_mad_u64_u32 v[4:5], s[8:9], s14, v4, 0
	v_add3_u32 v5, v5, v10, v9
	v_lshlrev_b64 v[4:5], 2, v[4:5]
	v_add_co_u32_e32 v40, vcc, s16, v4
	v_addc_co_u32_e32 v37, vcc, v7, v5, vcc
	v_add_co_u32_e32 v42, vcc, s18, v4
	v_addc_co_u32_e32 v39, vcc, v8, v5, vcc
	v_add_co_u32_e32 v4, vcc, 4, v2
	v_addc_co_u32_e32 v5, vcc, 0, v6, vcc
	;; [unrolled: 11-line block ×4, first 2 shown]
	v_mul_lo_u32 v9, s15, v4
	v_mul_lo_u32 v10, s14, v5
	v_mad_u64_u32 v[4:5], s[8:9], s14, v4, 0
	v_add3_u32 v5, v5, v10, v9
	v_lshlrev_b64 v[4:5], 2, v[4:5]
	v_add_co_u32_e32 v52, vcc, s16, v4
	v_addc_co_u32_e32 v49, vcc, v7, v5, vcc
	v_add_co_u32_e32 v54, vcc, s18, v4
	v_addc_co_u32_e32 v51, vcc, v8, v5, vcc
	v_pk_mov_b32 v[4:5], s[14:15], s[14:15] op_sel:[0,1]
	v_mad_u64_u32 v[4:5], s[8:9], s14, v2, v[4:5]
	v_mul_lo_u32 v6, s14, v6
	v_mul_lo_u32 v9, s15, v2
	v_add3_u32 v5, v9, v5, v6
	v_lshlrev_b64 v[4:5], 2, v[4:5]
	v_add_co_u32_e32 v56, vcc, s16, v4
	v_addc_co_u32_e32 v53, vcc, v7, v5, vcc
	v_add_co_u32_e32 v58, vcc, s18, v4
	v_addc_co_u32_e32 v55, vcc, v8, v5, vcc
	v_mad_u64_u32 v[4:5], s[8:9], s14, v2, 0
	v_add3_u32 v5, v5, v6, v9
	v_lshlrev_b64 v[4:5], 2, v[4:5]
	v_add_co_u32_e32 v60, vcc, s16, v4
	v_mbcnt_lo_u32_b32 v2, -1, 0
	v_addc_co_u32_e32 v57, vcc, v7, v5, vcc
	v_mbcnt_hi_u32_b32 v2, -1, v2
	s_add_u32 s38, s10, 63
	v_add_co_u32_e32 v62, vcc, s18, v4
	v_lshlrev_b32_e32 v2, 2, v2
	s_addc_u32 s39, 0, 0
	v_addc_co_u32_e32 v59, vcc, v8, v5, vcc
	v_and_b32_e32 v64, 0x100, v2
	s_mov_b64 s[40:41], s[10:11]
	v_mov_b32_e32 v26, v3
	v_mov_b32_e32 v27, v3
	s_branch .LBB55_5
.LBB55_3:                               ;   in Loop: Header=BB55_5 Depth=1
	s_or_b64 exec, exec, s[8:9]
	s_waitcnt vmcnt(1)
	ds_bpermute_b32 v2, v64, v68
	ds_bpermute_b32 v4, v64, v68 offset:4
	s_waitcnt vmcnt(0)
	ds_bpermute_b32 v5, v64, v67
	ds_bpermute_b32 v6, v64, v67 offset:4
	ds_bpermute_b32 v9, v64, v67 offset:12
	s_waitcnt lgkmcnt(4)
	v_sub_f32_e32 v2, v10, v2
	v_mul_f32_e32 v2, v18, v2
	s_waitcnt lgkmcnt(3)
	v_sub_f32_e32 v7, v11, v4
	s_waitcnt lgkmcnt(2)
	v_mul_f32_e32 v4, v2, v5
	ds_bpermute_b32 v2, v64, v68 offset:8
	v_mul_f32_e32 v5, v19, v7
	s_waitcnt lgkmcnt(2)
	v_mul_f32_e32 v6, v5, v6
	ds_bpermute_b32 v5, v64, v67 offset:8
	ds_bpermute_b32 v7, v64, v68 offset:12
	s_waitcnt lgkmcnt(2)
	v_sub_f32_e32 v2, v12, v2
	v_mul_f32_e32 v2, v20, v2
	v_mov_b32_e32 v11, v21
	s_waitcnt lgkmcnt(1)
	v_mul_f32_e32 v8, v2, v5
	s_waitcnt lgkmcnt(0)
	v_sub_f32_e32 v2, v13, v7
	ds_bpermute_b32 v5, v64, v68 offset:16
	v_mul_f32_e32 v2, v21, v2
	v_mul_f32_e32 v10, v2, v9
	ds_bpermute_b32 v2, v64, v67 offset:16
	ds_bpermute_b32 v7, v64, v68 offset:20
	;; [unrolled: 1-line block ×3, first 2 shown]
	s_waitcnt lgkmcnt(3)
	v_sub_f32_e32 v5, v14, v5
	v_mul_f32_e32 v5, v22, v5
	s_waitcnt lgkmcnt(2)
	v_mul_f32_e32 v12, v5, v2
	s_waitcnt lgkmcnt(1)
	v_sub_f32_e32 v2, v15, v7
	v_mul_f32_e32 v2, v23, v2
	s_waitcnt lgkmcnt(0)
	v_mul_f32_e32 v14, v2, v9
	v_mov_b32_e32 v5, v18
	ds_bpermute_b32 v2, v64, v68 offset:24
	v_pk_add_f32 v[4:5], v[26:27], v[4:5]
	v_mov_b32_e32 v7, v19
	v_pk_add_f32 v[4:5], v[6:7], v[4:5]
	ds_bpermute_b32 v7, v64, v67 offset:24
	v_mov_b32_e32 v9, v20
	v_pk_add_f32 v[4:5], v[8:9], v[4:5]
	v_pk_add_f32 v[4:5], v[10:11], v[4:5]
	v_mov_b32_e32 v13, v22
	s_waitcnt lgkmcnt(1)
	v_sub_f32_e32 v8, v16, v2
	v_pk_add_f32 v[4:5], v[12:13], v[4:5]
	v_mov_b32_e32 v15, v23
	v_mul_f32_e32 v8, v24, v8
	v_pk_add_f32 v[4:5], v[14:15], v[4:5]
	s_waitcnt lgkmcnt(0)
	v_mul_f32_e32 v8, v8, v7
	v_mov_b32_e32 v9, v24
	ds_bpermute_b32 v2, v64, v67 offset:28
	ds_bpermute_b32 v6, v64, v68 offset:28
	v_pk_add_f32 v[4:5], v[8:9], v[4:5]
.LBB55_4:                               ;   in Loop: Header=BB55_5 Depth=1
	s_waitcnt lgkmcnt(0)
	v_sub_f32_e32 v6, v17, v6
	v_mul_f32_e32 v6, v25, v6
	v_mul_f32_e32 v24, v6, v2
	v_mov_b32_e32 v2, s37
	v_add_co_u32_e32 v32, vcc, s36, v32
	v_addc_co_u32_e32 v1, vcc, v1, v2, vcc
	v_add_co_u32_e32 v34, vcc, s36, v34
	v_addc_co_u32_e32 v29, vcc, v29, v2, vcc
	;; [unrolled: 2-line block ×15, first 2 shown]
	s_add_u32 s40, s40, s7
	v_add_co_u32_e32 v62, vcc, s36, v62
	v_pk_add_f32 v[26:27], v[4:5], v[24:25]
	s_addc_u32 s41, s41, 0
	v_addc_co_u32_e32 v59, vcc, v59, v2, vcc
	v_pk_mov_b32 v[4:5], s[12:13], s[12:13] op_sel:[0,1]
	s_add_u32 s38, s38, s7
	v_cmp_lt_i64_e32 vcc, s[40:41], v[4:5]
	s_addc_u32 s39, s39, 0
	s_cbranch_vccz .LBB55_49
.LBB55_5:                               ; =>This Inner Loop Header: Depth=1
	v_pk_mov_b32 v[4:5], s[12:13], s[12:13] op_sel:[0,1]
	v_cmp_ge_i64_e32 vcc, s[38:39], v[4:5]
	v_mov_b32_e32 v2, s39
	v_add_co_u32_e64 v65, s[8:9], s38, v28
	v_addc_co_u32_e64 v66, s[8:9], 0, v2, s[8:9]
	s_cbranch_vccz .LBB55_27
; %bb.6:                                ;   in Loop: Header=BB55_5 Depth=1
	s_load_dword s8, s[34:35], 0xc
	v_mov_b32_e32 v67, 0
	v_mov_b32_e32 v68, 0
	s_waitcnt lgkmcnt(0)
	s_and_b32 s8, s8, 0xffff
	v_mad_u32_u24 v2, v63, s8, v61
	v_and_b32_e32 v2, 63, v2
	v_cmp_gt_u32_e32 vcc, 8, v2
	s_and_saveexec_b64 s[8:9], vcc
	s_cbranch_execz .LBB55_10
; %bb.7:                                ;   in Loop: Header=BB55_5 Depth=1
	v_add_co_u32_e32 v2, vcc, v65, v2
	v_addc_co_u32_e32 v5, vcc, 0, v66, vcc
	v_add_co_u32_e32 v4, vcc, 0xffffffc1, v2
	v_addc_co_u32_e32 v5, vcc, -1, v5, vcc
	v_cmp_gt_i64_e32 vcc, s[12:13], v[4:5]
	v_mov_b32_e32 v68, 0
	v_mov_b32_e32 v67, 0
	s_and_saveexec_b64 s[22:23], vcc
	s_cbranch_execz .LBB55_9
; %bb.8:                                ;   in Loop: Header=BB55_5 Depth=1
	v_lshlrev_b64 v[4:5], 2, v[4:5]
	v_mov_b32_e32 v2, s31
	v_add_co_u32_e32 v6, vcc, s30, v4
	v_addc_co_u32_e32 v7, vcc, v2, v5, vcc
	v_mov_b32_e32 v2, s29
	v_add_co_u32_e32 v4, vcc, s28, v4
	v_addc_co_u32_e32 v5, vcc, v2, v5, vcc
	global_load_dword v68, v[4:5], off
	global_load_dword v67, v[6:7], off
.LBB55_9:                               ;   in Loop: Header=BB55_5 Depth=1
	s_or_b64 exec, exec, s[22:23]
.LBB55_10:                              ;   in Loop: Header=BB55_5 Depth=1
	s_or_b64 exec, exec, s[8:9]
	s_mov_b32 s21, s20
	v_add_co_u32_e32 v4, vcc, 0xffffffc1, v65
	s_mov_b32 s22, s20
	s_mov_b32 s23, s20
	;; [unrolled: 1-line block ×6, first 2 shown]
	v_pk_mov_b32 v[10:11], s[20:21], s[20:21] op_sel:[0,1]
	v_addc_co_u32_e32 v5, vcc, -1, v66, vcc
	v_pk_mov_b32 v[16:17], s[26:27], s[26:27] op_sel:[0,1]
	v_cmp_gt_i64_e32 vcc, s[12:13], v[4:5]
	v_pk_mov_b32 v[12:13], s[22:23], s[22:23] op_sel:[0,1]
	v_pk_mov_b32 v[14:15], s[24:25], s[24:25] op_sel:[0,1]
	;; [unrolled: 1-line block ×3, first 2 shown]
	s_and_b64 s[42:43], s[2:3], vcc
	v_pk_mov_b32 v[22:23], v[14:15], v[14:15] op_sel:[0,1]
	v_pk_mov_b32 v[20:21], v[12:13], v[12:13] op_sel:[0,1]
	;; [unrolled: 1-line block ×3, first 2 shown]
	s_and_saveexec_b64 s[8:9], s[42:43]
	s_cbranch_execz .LBB55_12
; %bb.11:                               ;   in Loop: Header=BB55_5 Depth=1
	v_add_co_u32_e32 v4, vcc, v60, v30
	v_addc_co_u32_e32 v5, vcc, v57, v31, vcc
	global_load_dword v2, v[4:5], off
	v_add_co_u32_e32 v4, vcc, v62, v30
	v_addc_co_u32_e32 v5, vcc, v59, v31, vcc
	global_load_dword v10, v[4:5], off
	v_mov_b32_e32 v8, v3
	v_mov_b32_e32 v9, v3
	;; [unrolled: 1-line block ×6, first 2 shown]
	s_waitcnt vmcnt(1)
	v_pk_mov_b32 v[24:25], v[8:9], v[8:9] op_sel:[0,1]
	v_mov_b32_e32 v11, v3
	v_mov_b32_e32 v12, v3
	;; [unrolled: 1-line block ×7, first 2 shown]
	v_pk_mov_b32 v[22:23], v[6:7], v[6:7] op_sel:[0,1]
	v_pk_mov_b32 v[20:21], v[4:5], v[4:5] op_sel:[0,1]
	;; [unrolled: 1-line block ×3, first 2 shown]
.LBB55_12:                              ;   in Loop: Header=BB55_5 Depth=1
	s_or_b64 exec, exec, s[8:9]
	v_add_co_u32_e32 v4, vcc, 0xffffffc2, v65
	v_addc_co_u32_e32 v5, vcc, -1, v66, vcc
	v_cmp_gt_i64_e32 vcc, s[12:13], v[4:5]
	s_and_b64 s[22:23], s[2:3], vcc
	s_and_saveexec_b64 s[8:9], s[22:23]
	s_cbranch_execz .LBB55_14
; %bb.13:                               ;   in Loop: Header=BB55_5 Depth=1
	v_add_co_u32_e32 v4, vcc, v56, v30
	v_addc_co_u32_e32 v5, vcc, v53, v31, vcc
	global_load_dword v19, v[4:5], off
	v_add_co_u32_e32 v4, vcc, v58, v30
	v_addc_co_u32_e32 v5, vcc, v55, v31, vcc
	global_load_dword v11, v[4:5], off
.LBB55_14:                              ;   in Loop: Header=BB55_5 Depth=1
	s_or_b64 exec, exec, s[8:9]
	v_add_co_u32_e32 v4, vcc, 0xffffffc3, v65
	v_addc_co_u32_e32 v5, vcc, -1, v66, vcc
	v_cmp_gt_i64_e32 vcc, s[12:13], v[4:5]
	s_and_b64 s[22:23], s[2:3], vcc
	s_and_saveexec_b64 s[8:9], s[22:23]
	s_cbranch_execz .LBB55_16
; %bb.15:                               ;   in Loop: Header=BB55_5 Depth=1
	v_add_co_u32_e32 v4, vcc, v52, v30
	v_addc_co_u32_e32 v5, vcc, v49, v31, vcc
	global_load_dword v20, v[4:5], off
	v_add_co_u32_e32 v4, vcc, v54, v30
	v_addc_co_u32_e32 v5, vcc, v51, v31, vcc
	global_load_dword v12, v[4:5], off
.LBB55_16:                              ;   in Loop: Header=BB55_5 Depth=1
	;; [unrolled: 15-line block ×7, first 2 shown]
	s_or_b64 exec, exec, s[8:9]
	s_waitcnt vmcnt(1)
	ds_bpermute_b32 v2, v64, v68
	ds_bpermute_b32 v4, v64, v68 offset:4
	s_waitcnt vmcnt(0)
	ds_bpermute_b32 v5, v64, v67
	ds_bpermute_b32 v6, v64, v67 offset:4
	ds_bpermute_b32 v9, v64, v67 offset:12
	s_waitcnt lgkmcnt(4)
	v_sub_f32_e32 v2, v10, v2
	v_mul_f32_e32 v2, v18, v2
	s_waitcnt lgkmcnt(3)
	v_sub_f32_e32 v7, v11, v4
	s_waitcnt lgkmcnt(2)
	v_mul_f32_e32 v4, v2, v5
	ds_bpermute_b32 v2, v64, v68 offset:8
	v_mul_f32_e32 v5, v19, v7
	s_waitcnt lgkmcnt(2)
	v_mul_f32_e32 v6, v5, v6
	ds_bpermute_b32 v5, v64, v67 offset:8
	ds_bpermute_b32 v7, v64, v68 offset:12
	s_waitcnt lgkmcnt(2)
	v_sub_f32_e32 v2, v12, v2
	v_mul_f32_e32 v2, v20, v2
	v_mov_b32_e32 v11, v21
	s_waitcnt lgkmcnt(1)
	v_mul_f32_e32 v8, v2, v5
	s_waitcnt lgkmcnt(0)
	v_sub_f32_e32 v2, v13, v7
	ds_bpermute_b32 v5, v64, v68 offset:16
	v_mul_f32_e32 v2, v21, v2
	v_mul_f32_e32 v10, v2, v9
	ds_bpermute_b32 v2, v64, v67 offset:16
	ds_bpermute_b32 v7, v64, v68 offset:20
	;; [unrolled: 1-line block ×3, first 2 shown]
	s_waitcnt lgkmcnt(3)
	v_sub_f32_e32 v5, v14, v5
	v_mul_f32_e32 v5, v22, v5
	s_waitcnt lgkmcnt(2)
	v_mul_f32_e32 v12, v5, v2
	s_waitcnt lgkmcnt(1)
	v_sub_f32_e32 v2, v15, v7
	v_mul_f32_e32 v2, v23, v2
	s_waitcnt lgkmcnt(0)
	v_mul_f32_e32 v14, v2, v9
	ds_bpermute_b32 v2, v64, v68 offset:24
	v_mov_b32_e32 v5, v18
	v_pk_add_f32 v[4:5], v[26:27], v[4:5]
	v_mov_b32_e32 v7, v19
	v_pk_add_f32 v[4:5], v[6:7], v[4:5]
	ds_bpermute_b32 v7, v64, v67 offset:24
	v_mov_b32_e32 v9, v20
	s_waitcnt lgkmcnt(1)
	v_sub_f32_e32 v2, v16, v2
	v_pk_add_f32 v[4:5], v[8:9], v[4:5]
	v_mul_f32_e32 v8, v24, v2
	ds_bpermute_b32 v2, v64, v67 offset:28
	ds_bpermute_b32 v6, v64, v68 offset:28
	v_pk_add_f32 v[4:5], v[10:11], v[4:5]
	v_mov_b32_e32 v13, v22
	v_pk_add_f32 v[4:5], v[12:13], v[4:5]
	v_mov_b32_e32 v15, v23
	v_pk_add_f32 v[4:5], v[14:15], v[4:5]
	s_waitcnt lgkmcnt(2)
	v_mul_f32_e32 v8, v8, v7
	v_mov_b32_e32 v9, v24
	v_pk_add_f32 v[4:5], v[8:9], v[4:5]
	s_branch .LBB55_4
.LBB55_27:                              ;   in Loop: Header=BB55_5 Depth=1
                                        ; implicit-def: $vgpr4_vgpr5
                                        ; implicit-def: $vgpr2
                                        ; implicit-def: $vgpr10_vgpr11_vgpr12_vgpr13_vgpr14_vgpr15_vgpr16_vgpr17
                                        ; implicit-def: $vgpr18_vgpr19_vgpr20_vgpr21_vgpr22_vgpr23_vgpr24_vgpr25
                                        ; implicit-def: $vgpr6
	s_cbranch_execz .LBB55_4
; %bb.28:                               ;   in Loop: Header=BB55_5 Depth=1
	s_load_dword s8, s[34:35], 0x0
	v_mov_b32_e32 v67, 0
	v_mov_b32_e32 v68, 0
	s_waitcnt lgkmcnt(0)
	s_cmp_lt_u32 s6, s8
	s_cselect_b32 s8, 12, 18
	s_add_u32 s8, s34, s8
	s_addc_u32 s9, s35, 0
	global_load_ushort v2, v3, s[8:9]
	s_waitcnt vmcnt(0)
	v_mad_u32_u24 v2, v63, v2, v61
	v_and_b32_e32 v2, 63, v2
	v_cmp_gt_u32_e32 vcc, 8, v2
	s_and_saveexec_b64 s[8:9], vcc
	s_cbranch_execz .LBB55_32
; %bb.29:                               ;   in Loop: Header=BB55_5 Depth=1
	v_add_co_u32_e32 v2, vcc, v65, v2
	v_addc_co_u32_e32 v5, vcc, 0, v66, vcc
	v_add_co_u32_e32 v4, vcc, 0xffffffc1, v2
	v_addc_co_u32_e32 v5, vcc, -1, v5, vcc
	v_cmp_gt_i64_e32 vcc, s[12:13], v[4:5]
	v_mov_b32_e32 v68, 0
	v_mov_b32_e32 v67, 0
	s_and_saveexec_b64 s[22:23], vcc
	s_cbranch_execz .LBB55_31
; %bb.30:                               ;   in Loop: Header=BB55_5 Depth=1
	v_lshlrev_b64 v[4:5], 2, v[4:5]
	v_mov_b32_e32 v2, s31
	v_add_co_u32_e32 v6, vcc, s30, v4
	v_addc_co_u32_e32 v7, vcc, v2, v5, vcc
	v_mov_b32_e32 v2, s29
	v_add_co_u32_e32 v4, vcc, s28, v4
	v_addc_co_u32_e32 v5, vcc, v2, v5, vcc
	global_load_dword v68, v[4:5], off
	global_load_dword v67, v[6:7], off
.LBB55_31:                              ;   in Loop: Header=BB55_5 Depth=1
	s_or_b64 exec, exec, s[22:23]
.LBB55_32:                              ;   in Loop: Header=BB55_5 Depth=1
	s_or_b64 exec, exec, s[8:9]
	s_mov_b32 s21, s20
	s_mov_b32 s22, s20
	;; [unrolled: 1-line block ×7, first 2 shown]
	v_pk_mov_b32 v[10:11], s[20:21], s[20:21] op_sel:[0,1]
	v_pk_mov_b32 v[16:17], s[26:27], s[26:27] op_sel:[0,1]
	;; [unrolled: 1-line block ×8, first 2 shown]
	s_and_saveexec_b64 s[8:9], s[2:3]
	s_cbranch_execnz .LBB55_40
; %bb.33:                               ;   in Loop: Header=BB55_5 Depth=1
	s_or_b64 exec, exec, s[8:9]
	s_and_saveexec_b64 s[8:9], s[2:3]
	s_cbranch_execnz .LBB55_41
.LBB55_34:                              ;   in Loop: Header=BB55_5 Depth=1
	s_or_b64 exec, exec, s[8:9]
	s_and_saveexec_b64 s[8:9], s[2:3]
	s_cbranch_execnz .LBB55_42
.LBB55_35:                              ;   in Loop: Header=BB55_5 Depth=1
	s_or_b64 exec, exec, s[8:9]
	s_and_saveexec_b64 s[8:9], s[2:3]
	s_cbranch_execnz .LBB55_43
.LBB55_36:                              ;   in Loop: Header=BB55_5 Depth=1
	s_or_b64 exec, exec, s[8:9]
	s_and_saveexec_b64 s[8:9], s[2:3]
	s_cbranch_execnz .LBB55_44
.LBB55_37:                              ;   in Loop: Header=BB55_5 Depth=1
	s_or_b64 exec, exec, s[8:9]
	s_and_saveexec_b64 s[8:9], s[2:3]
	s_cbranch_execnz .LBB55_45
.LBB55_38:                              ;   in Loop: Header=BB55_5 Depth=1
	s_or_b64 exec, exec, s[8:9]
	s_and_saveexec_b64 s[8:9], s[2:3]
	s_cbranch_execnz .LBB55_46
.LBB55_39:                              ;   in Loop: Header=BB55_5 Depth=1
	s_or_b64 exec, exec, s[8:9]
	s_and_saveexec_b64 s[8:9], s[2:3]
	s_cbranch_execz .LBB55_3
	s_branch .LBB55_47
.LBB55_40:                              ;   in Loop: Header=BB55_5 Depth=1
	v_add_co_u32_e32 v4, vcc, v60, v30
	v_addc_co_u32_e32 v5, vcc, v57, v31, vcc
	global_load_dword v2, v[4:5], off
	v_add_co_u32_e32 v4, vcc, v62, v30
	v_addc_co_u32_e32 v5, vcc, v59, v31, vcc
	global_load_dword v10, v[4:5], off
	v_mov_b32_e32 v8, v3
	v_mov_b32_e32 v9, v3
	;; [unrolled: 1-line block ×6, first 2 shown]
	s_waitcnt vmcnt(1)
	v_pk_mov_b32 v[24:25], v[8:9], v[8:9] op_sel:[0,1]
	v_mov_b32_e32 v11, v3
	v_mov_b32_e32 v12, v3
	;; [unrolled: 1-line block ×7, first 2 shown]
	v_pk_mov_b32 v[22:23], v[6:7], v[6:7] op_sel:[0,1]
	v_pk_mov_b32 v[20:21], v[4:5], v[4:5] op_sel:[0,1]
	;; [unrolled: 1-line block ×3, first 2 shown]
	s_or_b64 exec, exec, s[8:9]
	s_and_saveexec_b64 s[8:9], s[2:3]
	s_cbranch_execz .LBB55_34
.LBB55_41:                              ;   in Loop: Header=BB55_5 Depth=1
	v_add_co_u32_e32 v4, vcc, v56, v30
	v_addc_co_u32_e32 v5, vcc, v53, v31, vcc
	global_load_dword v19, v[4:5], off
	v_add_co_u32_e32 v4, vcc, v58, v30
	v_addc_co_u32_e32 v5, vcc, v55, v31, vcc
	global_load_dword v11, v[4:5], off
	s_or_b64 exec, exec, s[8:9]
	s_and_saveexec_b64 s[8:9], s[2:3]
	s_cbranch_execz .LBB55_35
.LBB55_42:                              ;   in Loop: Header=BB55_5 Depth=1
	v_add_co_u32_e32 v4, vcc, v52, v30
	v_addc_co_u32_e32 v5, vcc, v49, v31, vcc
	global_load_dword v20, v[4:5], off
	v_add_co_u32_e32 v4, vcc, v54, v30
	v_addc_co_u32_e32 v5, vcc, v51, v31, vcc
	global_load_dword v12, v[4:5], off
	s_or_b64 exec, exec, s[8:9]
	s_and_saveexec_b64 s[8:9], s[2:3]
	s_cbranch_execz .LBB55_36
.LBB55_43:                              ;   in Loop: Header=BB55_5 Depth=1
	v_add_co_u32_e32 v4, vcc, v48, v30
	v_addc_co_u32_e32 v5, vcc, v45, v31, vcc
	global_load_dword v21, v[4:5], off
	v_add_co_u32_e32 v4, vcc, v50, v30
	v_addc_co_u32_e32 v5, vcc, v47, v31, vcc
	global_load_dword v13, v[4:5], off
	s_or_b64 exec, exec, s[8:9]
	s_and_saveexec_b64 s[8:9], s[2:3]
	s_cbranch_execz .LBB55_37
.LBB55_44:                              ;   in Loop: Header=BB55_5 Depth=1
	v_add_co_u32_e32 v4, vcc, v44, v30
	v_addc_co_u32_e32 v5, vcc, v41, v31, vcc
	global_load_dword v22, v[4:5], off
	v_add_co_u32_e32 v4, vcc, v46, v30
	v_addc_co_u32_e32 v5, vcc, v43, v31, vcc
	global_load_dword v14, v[4:5], off
	s_or_b64 exec, exec, s[8:9]
	s_and_saveexec_b64 s[8:9], s[2:3]
	s_cbranch_execz .LBB55_38
.LBB55_45:                              ;   in Loop: Header=BB55_5 Depth=1
	v_add_co_u32_e32 v4, vcc, v40, v30
	v_addc_co_u32_e32 v5, vcc, v37, v31, vcc
	global_load_dword v23, v[4:5], off
	v_add_co_u32_e32 v4, vcc, v42, v30
	v_addc_co_u32_e32 v5, vcc, v39, v31, vcc
	global_load_dword v15, v[4:5], off
	s_or_b64 exec, exec, s[8:9]
	s_and_saveexec_b64 s[8:9], s[2:3]
	s_cbranch_execz .LBB55_39
.LBB55_46:                              ;   in Loop: Header=BB55_5 Depth=1
	v_add_co_u32_e32 v4, vcc, v36, v30
	v_addc_co_u32_e32 v5, vcc, v33, v31, vcc
	global_load_dword v24, v[4:5], off
	v_add_co_u32_e32 v4, vcc, v38, v30
	v_addc_co_u32_e32 v5, vcc, v35, v31, vcc
	global_load_dword v16, v[4:5], off
	s_or_b64 exec, exec, s[8:9]
	s_and_saveexec_b64 s[8:9], s[2:3]
	s_cbranch_execz .LBB55_3
.LBB55_47:                              ;   in Loop: Header=BB55_5 Depth=1
	v_add_co_u32_e32 v4, vcc, v32, v30
	v_addc_co_u32_e32 v5, vcc, v1, v31, vcc
	global_load_dword v25, v[4:5], off
	v_add_co_u32_e32 v4, vcc, v34, v30
	v_addc_co_u32_e32 v5, vcc, v29, v31, vcc
	global_load_dword v17, v[4:5], off
	s_branch .LBB55_3
.LBB55_48:
                                        ; implicit-def: $vgpr27
	s_branch .LBB55_50
.LBB55_49:
	s_cbranch_execnz .LBB55_81
.LBB55_50:
	v_mov_b32_e32 v27, 0
	s_mov_b32 s20, 0
	s_and_b64 vcc, exec, s[0:1]
	v_mov_b32_e32 v26, v27
	s_cbranch_vccnz .LBB55_81
; %bb.51:
	s_load_dword s0, s[4:5], 0x44
	s_add_u32 s2, s4, 64
	s_addc_u32 s3, s5, 0
	v_bfe_u32 v81, v0, 10, 10
	v_lshlrev_b32_e32 v1, 5, v81
	s_waitcnt lgkmcnt(0)
	s_lshl_b32 s7, s0, 6
	s_add_u32 s8, s10, 63
	s_addc_u32 s9, 0, 0
	s_lshl_b64 s[0:1], s[10:11], 2
	v_mov_b32_e32 v2, s1
	v_add_co_u32_e32 v1, vcc, s0, v1
	v_addc_co_u32_e32 v4, vcc, 0, v2, vcc
	v_add_co_u32_e32 v6, vcc, 4, v1
	v_addc_co_u32_e32 v5, vcc, 0, v4, vcc
	v_add_co_u32_e32 v9, vcc, 8, v1
	v_mul_lo_u32 v7, s14, v5
	v_addc_co_u32_e32 v5, vcc, 0, v4, vcc
	v_add_co_u32_e32 v12, vcc, 12, v1
	v_mul_lo_u32 v10, s14, v5
	;; [unrolled: 3-line block ×5, first 2 shown]
	v_addc_co_u32_e32 v5, vcc, 0, v4, vcc
	v_add_co_u32_e32 v52, vcc, 28, v1
	v_lshlrev_b32_e32 v20, 3, v81
	v_addc_co_u32_e32 v1, vcc, 0, v4, vcc
	v_mul_lo_u32 v54, s14, v1
	v_mov_b32_e32 v1, s11
	v_add_co_u32_e32 v56, vcc, s10, v20
	v_pk_mov_b32 v[2:3], s[16:17], s[16:17] op_sel:[0,1]
	v_addc_co_u32_e32 v57, vcc, 0, v1, vcc
	v_mad_u64_u32 v[22:23], s[0:1], s14, v6, v[2:3]
	v_mad_u64_u32 v[24:25], s[0:1], s14, v9, v[2:3]
	;; [unrolled: 1-line block ×7, first 2 shown]
	v_mul_lo_u32 v58, s15, v56
	v_mul_lo_u32 v59, s14, v57
	v_mad_u64_u32 v[2:3], s[0:1], s14, v56, 0
	v_add3_u32 v3, v3, v59, v58
	v_lshlrev_b64 v[2:3], 2, v[2:3]
	v_mul_lo_u32 v27, s14, v5
	v_mov_b32_e32 v77, s17
	v_add_co_u32_e32 v38, vcc, s16, v2
	v_pk_mov_b32 v[4:5], s[18:19], s[18:19] op_sel:[0,1]
	v_mul_lo_u32 v17, s15, v15
	v_mul_lo_u32 v55, s15, v52
	v_addc_co_u32_e32 v1, vcc, v77, v3, vcc
	v_mad_u64_u32 v[46:47], s[0:1], s14, v15, v[4:5]
	v_mad_u64_u32 v[52:53], s[0:1], s14, v52, v[4:5]
	v_add3_u32 v31, v17, v31, v16
	v_mul_lo_u32 v21, s15, v18
	v_add3_u32 v37, v55, v37, v54
	v_add3_u32 v47, v17, v47, v16
	v_mad_u64_u32 v[48:49], s[0:1], s14, v18, v[4:5]
	v_add3_u32 v53, v55, v53, v54
	v_mov_b32_e32 v16, s19
	v_add_co_u32_e32 v54, vcc, s18, v2
	v_add3_u32 v33, v21, v33, v19
	v_add3_u32 v49, v21, v49, v19
	v_addc_co_u32_e32 v21, vcc, v16, v3, vcc
	v_add_co_u32_e32 v2, vcc, 7, v56
	v_addc_co_u32_e32 v3, vcc, 0, v57, vcc
	v_mad_u64_u32 v[40:41], s[0:1], s14, v6, v[4:5]
	v_mad_u64_u32 v[42:43], s[0:1], s14, v9, v[4:5]
	;; [unrolled: 1-line block ×4, first 2 shown]
	v_mul_lo_u32 v4, s15, v2
	v_mul_lo_u32 v5, s14, v3
	v_mad_u64_u32 v[2:3], s[0:1], s14, v2, 0
	v_add3_u32 v3, v3, v5, v4
	v_add_co_u32_e32 v4, vcc, 6, v56
	v_mul_lo_u32 v8, s15, v6
	v_addc_co_u32_e32 v5, vcc, 0, v57, vcc
	v_add3_u32 v23, v8, v23, v7
	v_add3_u32 v41, v8, v41, v7
	v_mul_lo_u32 v6, s15, v4
	v_mul_lo_u32 v7, s14, v5
	v_mad_u64_u32 v[4:5], s[0:1], s14, v4, 0
	v_add3_u32 v5, v5, v7, v6
	v_add_co_u32_e32 v6, vcc, 5, v56
	v_addc_co_u32_e32 v7, vcc, 0, v57, vcc
	v_mul_lo_u32 v11, s15, v9
	v_mul_lo_u32 v8, s15, v6
	;; [unrolled: 1-line block ×3, first 2 shown]
	v_mad_u64_u32 v[6:7], s[0:1], s14, v6, 0
	v_add3_u32 v7, v7, v9, v8
	v_add_co_u32_e32 v8, vcc, 4, v56
	v_addc_co_u32_e32 v9, vcc, 0, v57, vcc
	v_add3_u32 v25, v11, v25, v10
	v_add3_u32 v43, v11, v43, v10
	v_mul_lo_u32 v10, s15, v8
	v_mul_lo_u32 v11, s14, v9
	v_mad_u64_u32 v[8:9], s[0:1], s14, v8, 0
	v_add3_u32 v9, v9, v11, v10
	v_add_co_u32_e32 v10, vcc, 3, v56
	v_mul_lo_u32 v14, s15, v12
	v_addc_co_u32_e32 v11, vcc, 0, v57, vcc
	v_add3_u32 v29, v14, v29, v13
	v_add3_u32 v45, v14, v45, v13
	v_mul_lo_u32 v12, s15, v10
	v_mul_lo_u32 v13, s14, v11
	v_mad_u64_u32 v[10:11], s[0:1], s14, v10, 0
	v_add3_u32 v11, v11, v13, v12
	v_add_co_u32_e32 v12, vcc, 2, v56
	v_addc_co_u32_e32 v13, vcc, 0, v57, vcc
	v_mul_lo_u32 v14, s15, v12
	v_mul_lo_u32 v15, s14, v13
	v_mad_u64_u32 v[12:13], s[0:1], s14, v12, 0
	v_lshlrev_b64 v[2:3], 2, v[2:3]
	v_add3_u32 v13, v13, v15, v14
	v_pk_mov_b32 v[14:15], s[14:15], s[14:15] op_sel:[0,1]
	v_mul_lo_u32 v39, s15, v26
	v_mad_u64_u32 v[14:15], s[0:1], s14, v56, v[14:15]
	v_add_co_u32_e32 v56, vcc, s16, v2
	v_add3_u32 v35, v39, v35, v27
	v_add3_u32 v51, v39, v51, v27
	v_addc_co_u32_e32 v39, vcc, v77, v3, vcc
	v_add3_u32 v15, v58, v15, v59
	v_add_co_u32_e32 v58, vcc, s18, v2
	v_addc_co_u32_e32 v55, vcc, v16, v3, vcc
	v_lshlrev_b64 v[2:3], 2, v[4:5]
	v_add_co_u32_e32 v60, vcc, s16, v2
	v_addc_co_u32_e32 v57, vcc, v77, v3, vcc
	v_add_co_u32_e32 v62, vcc, s18, v2
	v_addc_co_u32_e32 v59, vcc, v16, v3, vcc
	v_lshlrev_b64 v[2:3], 2, v[6:7]
	v_add_co_u32_e32 v64, vcc, s16, v2
	v_addc_co_u32_e32 v61, vcc, v77, v3, vcc
	;; [unrolled: 5-line block ×6, first 2 shown]
	v_mbcnt_lo_u32_b32 v4, -1, 0
	v_add_co_u32_e32 v82, vcc, s18, v2
	v_and_b32_e32 v83, 0x3ff, v0
	s_mul_i32 s0, s15, s7
	s_mul_hi_u32 s1, s14, s7
	v_mbcnt_hi_u32_b32 v4, -1, v4
	v_addc_co_u32_e32 v79, vcc, v16, v3, vcc
	v_add_u32_e32 v2, s33, v83
	v_mov_b32_e32 v3, 0
	s_add_i32 s1, s1, s0
	s_mul_i32 s0, s14, s7
	v_lshlrev_b32_e32 v4, 2, v4
	s_lshl_b64 s[16:17], s[0:1], 2
	v_and_b32_e32 v86, 0x100, v4
	v_mov_b32_e32 v26, v3
	v_mov_b32_e32 v27, v3
	v_lshlrev_b64 v[84:85], 2, v[2:3]
	s_branch .LBB55_55
.LBB55_52:                              ;   in Loop: Header=BB55_55 Depth=1
	s_or_b64 exec, exec, s[18:19]
.LBB55_53:                              ;   in Loop: Header=BB55_55 Depth=1
	s_or_b64 exec, exec, s[0:1]
	v_add_co_u32_e32 v4, vcc, v38, v84
	v_addc_co_u32_e32 v5, vcc, v1, v85, vcc
	v_add_co_u32_e32 v8, vcc, v54, v84
	v_addc_co_u32_e32 v9, vcc, v21, v85, vcc
	global_load_dword v5, v[4:5], off
	s_nop 0
	global_load_dword v4, v[8:9], off
	v_add_co_u32_e32 v8, vcc, v22, v84
	v_addc_co_u32_e32 v9, vcc, v23, v85, vcc
	v_add_co_u32_e32 v10, vcc, v40, v84
	v_addc_co_u32_e32 v11, vcc, v41, v85, vcc
	global_load_dword v9, v[8:9], off
	s_nop 0
	global_load_dword v8, v[10:11], off
	v_add_co_u32_e32 v10, vcc, v24, v84
	v_addc_co_u32_e32 v11, vcc, v25, v85, vcc
	global_load_dword v13, v[10:11], off
	v_add_co_u32_e32 v10, vcc, v42, v84
	v_addc_co_u32_e32 v11, vcc, v43, v85, vcc
	;; [unrolled: 3-line block ×11, first 2 shown]
	v_add_co_u32_e32 v90, vcc, v52, v84
	v_addc_co_u32_e32 v91, vcc, v53, v85, vcc
	global_load_dword v87, v[90:91], off
	global_load_dword v11, v[88:89], off
	s_waitcnt vmcnt(17)
	ds_bpermute_b32 v88, v86, v6
	s_waitcnt vmcnt(16)
	ds_bpermute_b32 v89, v86, v2
	ds_bpermute_b32 v90, v86, v6 offset:4
	s_waitcnt vmcnt(14) lgkmcnt(2)
	v_sub_f32_e32 v4, v4, v88
	ds_bpermute_b32 v88, v86, v2 offset:4
	v_mul_f32_e32 v4, v5, v4
	s_waitcnt lgkmcnt(2)
	v_mul_f32_e32 v4, v4, v89
	ds_bpermute_b32 v89, v86, v6 offset:8
	v_pk_add_f32 v[4:5], v[26:27], v[4:5]
	s_waitcnt vmcnt(12) lgkmcnt(2)
	v_sub_f32_e32 v8, v8, v90
	v_mul_f32_e32 v8, v9, v8
	s_waitcnt lgkmcnt(1)
	v_mul_f32_e32 v8, v8, v88
	ds_bpermute_b32 v88, v86, v2 offset:8
	ds_bpermute_b32 v90, v86, v6 offset:12
	v_pk_add_f32 v[4:5], v[4:5], v[8:9]
	ds_bpermute_b32 v8, v86, v6 offset:24
	ds_bpermute_b32 v9, v86, v2 offset:24
	s_waitcnt vmcnt(10) lgkmcnt(4)
	v_sub_f32_e32 v12, v12, v89
	v_mul_f32_e32 v12, v13, v12
	ds_bpermute_b32 v89, v86, v2 offset:12
	s_waitcnt lgkmcnt(4)
	v_mul_f32_e32 v12, v12, v88
	ds_bpermute_b32 v88, v86, v6 offset:16
	v_pk_add_f32 v[4:5], v[4:5], v[12:13]
	s_waitcnt vmcnt(8) lgkmcnt(4)
	v_sub_f32_e32 v14, v14, v90
	v_mul_f32_e32 v14, v15, v14
	ds_bpermute_b32 v90, v86, v6 offset:20
	s_waitcnt lgkmcnt(2)
	v_mul_f32_e32 v14, v14, v89
	ds_bpermute_b32 v89, v86, v2 offset:16
	v_pk_add_f32 v[4:5], v[4:5], v[14:15]
	s_waitcnt vmcnt(6) lgkmcnt(2)
	v_sub_f32_e32 v16, v16, v88
	ds_bpermute_b32 v88, v86, v2 offset:20
	v_mul_f32_e32 v16, v17, v16
	s_waitcnt lgkmcnt(1)
	v_mul_f32_e32 v16, v16, v89
	ds_bpermute_b32 v2, v86, v2 offset:28
	v_pk_add_f32 v[4:5], v[4:5], v[16:17]
	s_waitcnt vmcnt(4)
	v_sub_f32_e32 v18, v18, v90
	v_mul_f32_e32 v18, v19, v18
	s_waitcnt lgkmcnt(1)
	v_mul_f32_e32 v18, v18, v88
	v_pk_add_f32 v[4:5], v[4:5], v[18:19]
	s_waitcnt vmcnt(2)
	v_sub_f32_e32 v8, v10, v8
	ds_bpermute_b32 v10, v86, v6 offset:28
	v_mul_f32_e32 v6, v7, v8
	v_mul_f32_e32 v6, v6, v9
	v_pk_add_f32 v[4:5], v[4:5], v[6:7]
	s_waitcnt vmcnt(1) lgkmcnt(0)
	v_sub_f32_e32 v6, v87, v10
	s_waitcnt vmcnt(0)
	v_mul_f32_e32 v6, v11, v6
	v_mul_f32_e32 v10, v6, v2
.LBB55_54:                              ;   in Loop: Header=BB55_55 Depth=1
	v_mov_b32_e32 v2, s17
	v_add_co_u32_e32 v22, vcc, s16, v22
	v_addc_co_u32_e32 v23, vcc, v23, v2, vcc
	v_add_co_u32_e32 v24, vcc, s16, v24
	v_addc_co_u32_e32 v25, vcc, v25, v2, vcc
	v_add_co_u32_e32 v28, vcc, s16, v28
	v_addc_co_u32_e32 v29, vcc, v29, v2, vcc
	v_add_co_u32_e32 v30, vcc, s16, v30
	v_addc_co_u32_e32 v31, vcc, v31, v2, vcc
	v_add_co_u32_e32 v32, vcc, s16, v32
	v_addc_co_u32_e32 v33, vcc, v33, v2, vcc
	v_add_co_u32_e32 v34, vcc, s16, v34
	v_addc_co_u32_e32 v35, vcc, v35, v2, vcc
	v_add_co_u32_e32 v36, vcc, s16, v36
	v_addc_co_u32_e32 v37, vcc, v37, v2, vcc
	v_add_co_u32_e32 v38, vcc, s16, v38
	v_addc_co_u32_e32 v1, vcc, v1, v2, vcc
	v_add_co_u32_e32 v40, vcc, s16, v40
	v_addc_co_u32_e32 v41, vcc, v41, v2, vcc
	v_add_co_u32_e32 v42, vcc, s16, v42
	v_addc_co_u32_e32 v43, vcc, v43, v2, vcc
	v_add_co_u32_e32 v44, vcc, s16, v44
	v_addc_co_u32_e32 v45, vcc, v45, v2, vcc
	v_add_co_u32_e32 v46, vcc, s16, v46
	v_addc_co_u32_e32 v47, vcc, v47, v2, vcc
	v_add_co_u32_e32 v48, vcc, s16, v48
	v_addc_co_u32_e32 v49, vcc, v49, v2, vcc
	v_add_co_u32_e32 v50, vcc, s16, v50
	v_addc_co_u32_e32 v51, vcc, v51, v2, vcc
	v_add_co_u32_e32 v52, vcc, s16, v52
	v_addc_co_u32_e32 v53, vcc, v53, v2, vcc
	v_add_co_u32_e32 v54, vcc, s16, v54
	v_addc_co_u32_e32 v21, vcc, v21, v2, vcc
	v_add_co_u32_e32 v56, vcc, s16, v56
	v_addc_co_u32_e32 v39, vcc, v39, v2, vcc
	v_add_co_u32_e32 v58, vcc, s16, v58
	v_addc_co_u32_e32 v55, vcc, v55, v2, vcc
	v_add_co_u32_e32 v60, vcc, s16, v60
	v_addc_co_u32_e32 v57, vcc, v57, v2, vcc
	v_add_co_u32_e32 v62, vcc, s16, v62
	v_addc_co_u32_e32 v59, vcc, v59, v2, vcc
	v_add_co_u32_e32 v64, vcc, s16, v64
	v_addc_co_u32_e32 v61, vcc, v61, v2, vcc
	v_add_co_u32_e32 v66, vcc, s16, v66
	v_addc_co_u32_e32 v63, vcc, v63, v2, vcc
	v_add_co_u32_e32 v68, vcc, s16, v68
	v_addc_co_u32_e32 v65, vcc, v65, v2, vcc
	v_add_co_u32_e32 v70, vcc, s16, v70
	v_addc_co_u32_e32 v67, vcc, v67, v2, vcc
	v_add_co_u32_e32 v72, vcc, s16, v72
	v_addc_co_u32_e32 v69, vcc, v69, v2, vcc
	v_add_co_u32_e32 v74, vcc, s16, v74
	v_addc_co_u32_e32 v71, vcc, v71, v2, vcc
	v_add_co_u32_e32 v76, vcc, s16, v76
	v_addc_co_u32_e32 v73, vcc, v73, v2, vcc
	v_add_co_u32_e32 v78, vcc, s16, v78
	v_addc_co_u32_e32 v75, vcc, v75, v2, vcc
	v_add_co_u32_e32 v80, vcc, s16, v80
	v_addc_co_u32_e32 v77, vcc, v77, v2, vcc
	s_add_u32 s10, s10, s7
	v_add_co_u32_e32 v82, vcc, s16, v82
	v_pk_add_f32 v[26:27], v[4:5], v[10:11]
	s_addc_u32 s11, s11, 0
	v_addc_co_u32_e32 v79, vcc, v79, v2, vcc
	v_pk_mov_b32 v[4:5], s[12:13], s[12:13] op_sel:[0,1]
	s_add_u32 s8, s8, s7
	v_cmp_ge_i64_e32 vcc, s[10:11], v[4:5]
	s_addc_u32 s9, s9, 0
	s_cbranch_vccnz .LBB55_81
.LBB55_55:                              ; =>This Inner Loop Header: Depth=1
	v_pk_mov_b32 v[4:5], s[12:13], s[12:13] op_sel:[0,1]
	v_cmp_ge_i64_e32 vcc, s[8:9], v[4:5]
	v_mov_b32_e32 v2, s9
	v_add_co_u32_e64 v87, s[0:1], s8, v20
	v_addc_co_u32_e64 v88, s[0:1], 0, v2, s[0:1]
	s_cbranch_vccz .LBB55_77
; %bb.56:                               ;   in Loop: Header=BB55_55 Depth=1
	s_load_dword s0, s[2:3], 0xc
	v_mov_b32_e32 v89, 0
	v_mov_b32_e32 v90, 0
	s_waitcnt lgkmcnt(0)
	s_and_b32 s0, s0, 0xffff
	v_mad_u32_u24 v2, v81, s0, v83
	v_and_b32_e32 v2, 63, v2
	v_cmp_gt_u32_e32 vcc, 8, v2
	s_and_saveexec_b64 s[0:1], vcc
	s_cbranch_execz .LBB55_60
; %bb.57:                               ;   in Loop: Header=BB55_55 Depth=1
	v_add_co_u32_e32 v2, vcc, v87, v2
	v_addc_co_u32_e32 v5, vcc, 0, v88, vcc
	v_add_co_u32_e32 v4, vcc, 0xffffffc1, v2
	v_addc_co_u32_e32 v5, vcc, -1, v5, vcc
	v_cmp_gt_i64_e32 vcc, s[12:13], v[4:5]
	v_mov_b32_e32 v90, 0
	v_mov_b32_e32 v89, 0
	s_and_saveexec_b64 s[18:19], vcc
	s_cbranch_execz .LBB55_59
; %bb.58:                               ;   in Loop: Header=BB55_55 Depth=1
	v_lshlrev_b64 v[4:5], 2, v[4:5]
	v_mov_b32_e32 v2, s31
	v_add_co_u32_e32 v6, vcc, s30, v4
	v_addc_co_u32_e32 v7, vcc, v2, v5, vcc
	v_mov_b32_e32 v2, s29
	v_add_co_u32_e32 v4, vcc, s28, v4
	v_addc_co_u32_e32 v5, vcc, v2, v5, vcc
	global_load_dword v90, v[4:5], off
	global_load_dword v89, v[6:7], off
.LBB55_59:                              ;   in Loop: Header=BB55_55 Depth=1
	s_or_b64 exec, exec, s[18:19]
.LBB55_60:                              ;   in Loop: Header=BB55_55 Depth=1
	s_or_b64 exec, exec, s[0:1]
	v_add_co_u32_e32 v4, vcc, 0xffffffc1, v87
	s_mov_b32 s21, s20
	v_addc_co_u32_e32 v5, vcc, -1, v88, vcc
	s_mov_b32 s22, s20
	s_mov_b32 s23, s20
	;; [unrolled: 1-line block ×6, first 2 shown]
	v_pk_mov_b32 v[12:13], s[20:21], s[20:21] op_sel:[0,1]
	v_cmp_gt_i64_e32 vcc, s[12:13], v[4:5]
	v_pk_mov_b32 v[14:15], s[22:23], s[22:23] op_sel:[0,1]
	v_pk_mov_b32 v[16:17], s[24:25], s[24:25] op_sel:[0,1]
	;; [unrolled: 1-line block ×7, first 2 shown]
	s_and_saveexec_b64 s[0:1], vcc
	s_cbranch_execz .LBB55_62
; %bb.61:                               ;   in Loop: Header=BB55_55 Depth=1
	v_add_co_u32_e32 v4, vcc, v38, v84
	v_addc_co_u32_e32 v5, vcc, v1, v85, vcc
	global_load_dword v2, v[4:5], off
	v_add_co_u32_e32 v4, vcc, v54, v84
	v_addc_co_u32_e32 v5, vcc, v21, v85, vcc
	global_load_dword v12, v[4:5], off
	v_mov_b32_e32 v4, v3
	v_mov_b32_e32 v5, v3
	;; [unrolled: 1-line block ×6, first 2 shown]
	s_waitcnt vmcnt(1)
	v_pk_mov_b32 v[10:11], v[8:9], v[8:9] op_sel:[0,1]
	v_mov_b32_e32 v13, v3
	v_mov_b32_e32 v14, v3
	;; [unrolled: 1-line block ×7, first 2 shown]
	v_pk_mov_b32 v[8:9], v[6:7], v[6:7] op_sel:[0,1]
	v_pk_mov_b32 v[6:7], v[4:5], v[4:5] op_sel:[0,1]
	;; [unrolled: 1-line block ×3, first 2 shown]
.LBB55_62:                              ;   in Loop: Header=BB55_55 Depth=1
	s_or_b64 exec, exec, s[0:1]
	v_add_co_u32_e32 v92, vcc, 0xffffffc2, v87
	v_addc_co_u32_e32 v93, vcc, -1, v88, vcc
	v_cmp_gt_i64_e32 vcc, s[12:13], v[92:93]
	s_and_saveexec_b64 s[0:1], vcc
	s_cbranch_execz .LBB55_64
; %bb.63:                               ;   in Loop: Header=BB55_55 Depth=1
	v_add_co_u32_e32 v92, vcc, v80, v84
	v_addc_co_u32_e32 v93, vcc, v77, v85, vcc
	global_load_dword v5, v[92:93], off
	v_add_co_u32_e32 v92, vcc, v82, v84
	v_addc_co_u32_e32 v93, vcc, v79, v85, vcc
	global_load_dword v13, v[92:93], off
.LBB55_64:                              ;   in Loop: Header=BB55_55 Depth=1
	s_or_b64 exec, exec, s[0:1]
	v_add_co_u32_e32 v92, vcc, 0xffffffc3, v87
	v_addc_co_u32_e32 v93, vcc, -1, v88, vcc
	v_cmp_gt_i64_e32 vcc, s[12:13], v[92:93]
	s_and_saveexec_b64 s[0:1], vcc
	s_cbranch_execz .LBB55_66
; %bb.65:                               ;   in Loop: Header=BB55_55 Depth=1
	v_add_co_u32_e32 v92, vcc, v76, v84
	v_addc_co_u32_e32 v93, vcc, v73, v85, vcc
	global_load_dword v6, v[92:93], off
	v_add_co_u32_e32 v92, vcc, v78, v84
	v_addc_co_u32_e32 v93, vcc, v75, v85, vcc
	global_load_dword v14, v[92:93], off
.LBB55_66:                              ;   in Loop: Header=BB55_55 Depth=1
	;; [unrolled: 14-line block ×7, first 2 shown]
	s_or_b64 exec, exec, s[0:1]
	s_waitcnt vmcnt(1)
	ds_bpermute_b32 v2, v86, v90
	ds_bpermute_b32 v91, v86, v90 offset:4
	s_waitcnt vmcnt(0)
	ds_bpermute_b32 v92, v86, v89
	ds_bpermute_b32 v93, v86, v89 offset:4
	v_mov_b32_e32 v95, v7
	s_waitcnt lgkmcnt(3)
	v_sub_f32_e32 v2, v12, v2
	v_mul_f32_e32 v2, v4, v2
	s_waitcnt lgkmcnt(2)
	v_sub_f32_e32 v13, v13, v91
	s_waitcnt lgkmcnt(1)
	v_mul_f32_e32 v12, v2, v92
	ds_bpermute_b32 v2, v86, v90 offset:8
	v_mul_f32_e32 v13, v5, v13
	s_waitcnt lgkmcnt(1)
	v_mul_f32_e32 v92, v13, v93
	ds_bpermute_b32 v13, v86, v89 offset:8
	ds_bpermute_b32 v91, v86, v90 offset:12
	ds_bpermute_b32 v93, v86, v89 offset:12
	s_waitcnt lgkmcnt(3)
	v_sub_f32_e32 v2, v14, v2
	v_mul_f32_e32 v2, v6, v2
	s_waitcnt lgkmcnt(2)
	v_mul_f32_e32 v14, v2, v13
	s_waitcnt lgkmcnt(1)
	v_sub_f32_e32 v2, v15, v91
	ds_bpermute_b32 v13, v86, v90 offset:16
	v_mul_f32_e32 v2, v7, v2
	s_waitcnt lgkmcnt(1)
	v_mul_f32_e32 v94, v2, v93
	ds_bpermute_b32 v2, v86, v89 offset:16
	ds_bpermute_b32 v15, v86, v90 offset:20
	;; [unrolled: 1-line block ×3, first 2 shown]
	s_waitcnt lgkmcnt(3)
	v_sub_f32_e32 v13, v16, v13
	v_mul_f32_e32 v13, v8, v13
	s_waitcnt lgkmcnt(2)
	v_mul_f32_e32 v16, v13, v2
	s_waitcnt lgkmcnt(1)
	v_sub_f32_e32 v2, v17, v15
	v_mul_f32_e32 v2, v9, v2
	s_waitcnt lgkmcnt(0)
	v_mul_f32_e32 v96, v2, v91
	ds_bpermute_b32 v2, v86, v90 offset:24
	v_mov_b32_e32 v15, v6
	ds_bpermute_b32 v6, v86, v89 offset:24
	v_mov_b32_e32 v13, v4
	v_pk_add_f32 v[12:13], v[26:27], v[12:13]
	v_mov_b32_e32 v93, v5
	v_pk_add_f32 v[4:5], v[92:93], v[12:13]
	v_mov_b32_e32 v17, v8
	s_waitcnt lgkmcnt(1)
	v_sub_f32_e32 v2, v18, v2
	ds_bpermute_b32 v8, v86, v90 offset:28
	v_pk_add_f32 v[4:5], v[14:15], v[4:5]
	v_mul_f32_e32 v2, v10, v2
	v_pk_add_f32 v[4:5], v[94:95], v[4:5]
	s_waitcnt lgkmcnt(1)
	v_mul_f32_e32 v6, v2, v6
	ds_bpermute_b32 v2, v86, v89 offset:28
	v_pk_add_f32 v[4:5], v[16:17], v[4:5]
	v_mov_b32_e32 v97, v9
	v_pk_add_f32 v[4:5], v[96:97], v[4:5]
	v_mov_b32_e32 v7, v10
	v_pk_add_f32 v[4:5], v[6:7], v[4:5]
	s_waitcnt lgkmcnt(1)
	v_sub_f32_e32 v6, v19, v8
	v_mul_f32_e32 v6, v11, v6
	s_waitcnt lgkmcnt(0)
	v_mul_f32_e32 v10, v6, v2
	s_branch .LBB55_54
.LBB55_77:                              ;   in Loop: Header=BB55_55 Depth=1
                                        ; implicit-def: $vgpr4_vgpr5
                                        ; implicit-def: $vgpr10_vgpr11
	s_cbranch_execz .LBB55_54
; %bb.78:                               ;   in Loop: Header=BB55_55 Depth=1
	s_load_dword s0, s[2:3], 0x0
	v_mov_b32_e32 v2, 0
	v_mov_b32_e32 v6, 0
	s_waitcnt lgkmcnt(0)
	s_cmp_lt_u32 s6, s0
	s_cselect_b32 s0, 12, 18
	s_add_u32 s0, s2, s0
	s_addc_u32 s1, s3, 0
	global_load_ushort v4, v3, s[0:1]
	s_waitcnt vmcnt(0)
	v_mad_u32_u24 v4, v81, v4, v83
	v_and_b32_e32 v4, 63, v4
	v_cmp_gt_u32_e32 vcc, 8, v4
	s_and_saveexec_b64 s[0:1], vcc
	s_cbranch_execz .LBB55_53
; %bb.79:                               ;   in Loop: Header=BB55_55 Depth=1
	v_add_co_u32_e32 v2, vcc, v87, v4
	v_addc_co_u32_e32 v5, vcc, 0, v88, vcc
	v_add_co_u32_e32 v4, vcc, 0xffffffc1, v2
	v_addc_co_u32_e32 v5, vcc, -1, v5, vcc
	v_cmp_gt_i64_e32 vcc, s[12:13], v[4:5]
	v_mov_b32_e32 v6, 0
	v_mov_b32_e32 v2, 0
	s_and_saveexec_b64 s[18:19], vcc
	s_cbranch_execz .LBB55_52
; %bb.80:                               ;   in Loop: Header=BB55_55 Depth=1
	v_lshlrev_b64 v[4:5], 2, v[4:5]
	v_mov_b32_e32 v2, s31
	v_add_co_u32_e32 v8, vcc, s30, v4
	v_addc_co_u32_e32 v9, vcc, v2, v5, vcc
	v_mov_b32_e32 v2, s29
	v_add_co_u32_e32 v4, vcc, s28, v4
	v_addc_co_u32_e32 v5, vcc, v2, v5, vcc
	global_load_dword v6, v[4:5], off
	global_load_dword v2, v[8:9], off
	s_branch .LBB55_52
.LBB55_81:
	v_bfe_u32 v6, v0, 10, 10
	v_and_b32_e32 v0, 0x3ff, v0
	s_movk_i32 s0, 0x41
	v_mad_u32_u24 v1, v6, s0, v0
	v_lshl_add_u32 v1, v1, 2, 0
	v_lshrrev_b32_e32 v7, 6, v0
	ds_write_b32 v1, v26
	ds_write_b32 v1, v27 offset:2080
	v_add_u32_e32 v1, v7, v6
	s_mov_b32 s7, 0
	v_cmp_gt_u32_e32 vcc, 64, v1
	s_waitcnt lgkmcnt(0)
	s_barrier
	s_and_saveexec_b64 s[0:1], vcc
	s_cbranch_execz .LBB55_91
; %bb.82:
	v_and_b32_e32 v1, 63, v0
	v_cmp_gt_u32_e64 s[0:1], 8, v1
	v_mul_u32_u24_e32 v11, 0x41, v1
	v_mbcnt_lo_u32_b32 v1, -1, 0
	v_mbcnt_hi_u32_b32 v1, -1, v1
	v_and_b32_e32 v2, 64, v1
	v_add_u32_e32 v2, 64, v2
	v_cmp_eq_u32_e64 s[2:3], 0, v0
	v_xor_b32_e32 v0, 4, v1
	v_cmp_lt_i32_e32 vcc, v0, v2
	v_cndmask_b32_e32 v0, v1, v0, vcc
	v_lshlrev_b32_e32 v8, 2, v0
	v_xor_b32_e32 v0, 2, v1
	v_cmp_lt_i32_e32 vcc, v0, v2
	v_cndmask_b32_e32 v0, v1, v0, vcc
	v_lshlrev_b32_e32 v9, 2, v0
	v_xor_b32_e32 v0, 1, v1
	s_load_dwordx4 s[8:11], s[4:5], 0x30
	v_cmp_lt_i32_e32 vcc, v0, v2
	v_cndmask_b32_e32 v0, v1, v0, vcc
	s_lshl_b64 s[12:13], s[6:7], 6
	v_lshlrev_b32_e32 v10, 2, v0
	v_add_co_u32_e32 v0, vcc, v7, v6
	v_addc_co_u32_e64 v1, s[6:7], 0, 0, vcc
	v_mov_b32_e32 v3, s13
	v_add_co_u32_e32 v2, vcc, s12, v0
	v_addc_co_u32_e32 v3, vcc, v1, v3, vcc
	s_waitcnt lgkmcnt(0)
	s_cmp_lg_u64 s[8:9], 0
	v_lshlrev_b64 v[4:5], 2, v[2:3]
	s_cselect_b64 s[4:5], -1, 0
	s_cmp_lg_u64 s[10:11], 0
	v_mov_b32_e32 v3, s11
	v_add_co_u32_e32 v2, vcc, s10, v4
	v_add3_u32 v6, v11, v6, v7
	v_addc_co_u32_e32 v3, vcc, v3, v5, vcc
	v_lshl_add_u32 v11, v6, 2, 0
	v_cndmask_b32_e64 v6, 0, 1, s[4:5]
	s_cselect_b64 s[6:7], -1, 0
	v_mov_b32_e32 v12, s9
	v_add_co_u32_e32 v4, vcc, s8, v4
	v_cmp_ne_u32_e64 s[4:5], 1, v6
	v_cndmask_b32_e64 v6, 0, 1, s[6:7]
	s_mov_b64 s[16:17], 0
	v_addc_co_u32_e32 v5, vcc, v12, v5, vcc
	v_mov_b32_e32 v12, s13
	v_cmp_ne_u32_e64 s[6:7], 1, v6
                                        ; implicit-def: $vgpr6
	s_branch .LBB55_84
.LBB55_83:                              ;   in Loop: Header=BB55_84 Depth=1
	s_or_b64 exec, exec, s[8:9]
	v_add_co_u32_e32 v0, vcc, 8, v0
	v_addc_co_u32_e32 v1, vcc, 0, v1, vcc
	v_add_co_u32_e32 v2, vcc, 32, v2
	v_addc_co_u32_e32 v3, vcc, 0, v3, vcc
	v_add_co_u32_e32 v4, vcc, 32, v4
	v_add_u32_e32 v13, -8, v0
	v_addc_co_u32_e32 v5, vcc, 0, v5, vcc
	v_cmp_lt_u32_e32 vcc, 55, v13
	s_or_b64 s[16:17], vcc, s[16:17]
	v_add_u32_e32 v11, 32, v11
	s_andn2_b64 exec, exec, s[16:17]
	s_cbranch_execz .LBB55_91
.LBB55_84:                              ; =>This Inner Loop Header: Depth=1
	s_and_saveexec_b64 s[8:9], s[0:1]
	s_cbranch_execz .LBB55_86
; %bb.85:                               ;   in Loop: Header=BB55_84 Depth=1
	ds_read_b32 v7, v11
	ds_read_b32 v6, v11 offset:2080
.LBB55_86:                              ;   in Loop: Header=BB55_84 Depth=1
	s_or_b64 exec, exec, s[8:9]
	s_waitcnt lgkmcnt(1)
	ds_bpermute_b32 v15, v8, v7
	s_waitcnt lgkmcnt(1)
	ds_bpermute_b32 v14, v8, v6
	v_add_co_u32_e32 v16, vcc, s12, v0
	v_addc_co_u32_e32 v17, vcc, v12, v1, vcc
	s_waitcnt lgkmcnt(0)
	v_pk_add_f32 v[6:7], v[6:7], v[14:15]
	ds_bpermute_b32 v15, v9, v7
	ds_bpermute_b32 v14, v9, v6
	v_cmp_gt_i64_e32 vcc, s[14:15], v[16:17]
	s_and_b64 s[10:11], s[2:3], vcc
	s_waitcnt lgkmcnt(0)
	v_pk_add_f32 v[6:7], v[6:7], v[14:15]
	ds_bpermute_b32 v15, v10, v7
	ds_bpermute_b32 v14, v10, v6
	s_waitcnt lgkmcnt(0)
	v_pk_add_f32 v[6:7], v[6:7], v[14:15]
	s_and_saveexec_b64 s[8:9], s[10:11]
	s_cbranch_execz .LBB55_83
; %bb.87:                               ;   in Loop: Header=BB55_84 Depth=1
	s_and_b64 vcc, exec, s[4:5]
	s_cbranch_vccnz .LBB55_89
; %bb.88:                               ;   in Loop: Header=BB55_84 Depth=1
	global_store_dword v[4:5], v7, off
.LBB55_89:                              ;   in Loop: Header=BB55_84 Depth=1
	s_and_b64 vcc, exec, s[6:7]
	s_cbranch_vccnz .LBB55_83
; %bb.90:                               ;   in Loop: Header=BB55_84 Depth=1
	global_store_dword v[2:3], v6, off
	s_branch .LBB55_83
.LBB55_91:
	s_endpgm
	.section	.rodata,"a",@progbits
	.p2align	6, 0x0
	.amdhsa_kernel _ZN2at6native12_GLOBAL__N_135GammaBetaBackwardCUDAKernelTemplateIffLj64ELj8ELj64ELb0ELb0ELb0EEEvllPKT_S5_PKT0_S8_PS3_S9_
		.amdhsa_group_segment_fixed_size 0
		.amdhsa_private_segment_fixed_size 0
		.amdhsa_kernarg_size 320
		.amdhsa_user_sgpr_count 6
		.amdhsa_user_sgpr_private_segment_buffer 1
		.amdhsa_user_sgpr_dispatch_ptr 0
		.amdhsa_user_sgpr_queue_ptr 0
		.amdhsa_user_sgpr_kernarg_segment_ptr 1
		.amdhsa_user_sgpr_dispatch_id 0
		.amdhsa_user_sgpr_flat_scratch_init 0
		.amdhsa_user_sgpr_kernarg_preload_length 0
		.amdhsa_user_sgpr_kernarg_preload_offset 0
		.amdhsa_user_sgpr_private_segment_size 0
		.amdhsa_uses_dynamic_stack 0
		.amdhsa_system_sgpr_private_segment_wavefront_offset 0
		.amdhsa_system_sgpr_workgroup_id_x 1
		.amdhsa_system_sgpr_workgroup_id_y 1
		.amdhsa_system_sgpr_workgroup_id_z 0
		.amdhsa_system_sgpr_workgroup_info 0
		.amdhsa_system_vgpr_workitem_id 1
		.amdhsa_next_free_vgpr 98
		.amdhsa_next_free_sgpr 44
		.amdhsa_accum_offset 100
		.amdhsa_reserve_vcc 1
		.amdhsa_reserve_flat_scratch 0
		.amdhsa_float_round_mode_32 0
		.amdhsa_float_round_mode_16_64 0
		.amdhsa_float_denorm_mode_32 3
		.amdhsa_float_denorm_mode_16_64 3
		.amdhsa_dx10_clamp 1
		.amdhsa_ieee_mode 1
		.amdhsa_fp16_overflow 0
		.amdhsa_tg_split 0
		.amdhsa_exception_fp_ieee_invalid_op 0
		.amdhsa_exception_fp_denorm_src 0
		.amdhsa_exception_fp_ieee_div_zero 0
		.amdhsa_exception_fp_ieee_overflow 0
		.amdhsa_exception_fp_ieee_underflow 0
		.amdhsa_exception_fp_ieee_inexact 0
		.amdhsa_exception_int_div_zero 0
	.end_amdhsa_kernel
	.section	.text._ZN2at6native12_GLOBAL__N_135GammaBetaBackwardCUDAKernelTemplateIffLj64ELj8ELj64ELb0ELb0ELb0EEEvllPKT_S5_PKT0_S8_PS3_S9_,"axG",@progbits,_ZN2at6native12_GLOBAL__N_135GammaBetaBackwardCUDAKernelTemplateIffLj64ELj8ELj64ELb0ELb0ELb0EEEvllPKT_S5_PKT0_S8_PS3_S9_,comdat
.Lfunc_end55:
	.size	_ZN2at6native12_GLOBAL__N_135GammaBetaBackwardCUDAKernelTemplateIffLj64ELj8ELj64ELb0ELb0ELb0EEEvllPKT_S5_PKT0_S8_PS3_S9_, .Lfunc_end55-_ZN2at6native12_GLOBAL__N_135GammaBetaBackwardCUDAKernelTemplateIffLj64ELj8ELj64ELb0ELb0ELb0EEEvllPKT_S5_PKT0_S8_PS3_S9_
                                        ; -- End function
	.section	.AMDGPU.csdata,"",@progbits
; Kernel info:
; codeLenInByte = 7292
; NumSgprs: 48
; NumVgprs: 98
; NumAgprs: 0
; TotalNumVgprs: 98
; ScratchSize: 0
; MemoryBound: 0
; FloatMode: 240
; IeeeMode: 1
; LDSByteSize: 0 bytes/workgroup (compile time only)
; SGPRBlocks: 5
; VGPRBlocks: 12
; NumSGPRsForWavesPerEU: 48
; NumVGPRsForWavesPerEU: 98
; AccumOffset: 100
; Occupancy: 4
; WaveLimiterHint : 0
; COMPUTE_PGM_RSRC2:SCRATCH_EN: 0
; COMPUTE_PGM_RSRC2:USER_SGPR: 6
; COMPUTE_PGM_RSRC2:TRAP_HANDLER: 0
; COMPUTE_PGM_RSRC2:TGID_X_EN: 1
; COMPUTE_PGM_RSRC2:TGID_Y_EN: 1
; COMPUTE_PGM_RSRC2:TGID_Z_EN: 0
; COMPUTE_PGM_RSRC2:TIDIG_COMP_CNT: 1
; COMPUTE_PGM_RSRC3_GFX90A:ACCUM_OFFSET: 24
; COMPUTE_PGM_RSRC3_GFX90A:TG_SPLIT: 0
	.section	.text._ZN2at6native12_GLOBAL__N_135GammaBetaBackwardCUDAKernelTemplateIffLj64ELj16ELj128ELb0ELb1ELb0EEEvllPKT_S5_PKT0_S8_PS3_S9_,"axG",@progbits,_ZN2at6native12_GLOBAL__N_135GammaBetaBackwardCUDAKernelTemplateIffLj64ELj16ELj128ELb0ELb1ELb0EEEvllPKT_S5_PKT0_S8_PS3_S9_,comdat
	.globl	_ZN2at6native12_GLOBAL__N_135GammaBetaBackwardCUDAKernelTemplateIffLj64ELj16ELj128ELb0ELb1ELb0EEEvllPKT_S5_PKT0_S8_PS3_S9_ ; -- Begin function _ZN2at6native12_GLOBAL__N_135GammaBetaBackwardCUDAKernelTemplateIffLj64ELj16ELj128ELb0ELb1ELb0EEEvllPKT_S5_PKT0_S8_PS3_S9_
	.p2align	8
	.type	_ZN2at6native12_GLOBAL__N_135GammaBetaBackwardCUDAKernelTemplateIffLj64ELj16ELj128ELb0ELb1ELb0EEEvllPKT_S5_PKT0_S8_PS3_S9_,@function
_ZN2at6native12_GLOBAL__N_135GammaBetaBackwardCUDAKernelTemplateIffLj64ELj16ELj128ELb0ELb1ELb0EEEvllPKT_S5_PKT0_S8_PS3_S9_: ; @_ZN2at6native12_GLOBAL__N_135GammaBetaBackwardCUDAKernelTemplateIffLj64ELj16ELj128ELb0ELb1ELb0EEEvllPKT_S5_PKT0_S8_PS3_S9_
; %bb.0:
	s_load_dwordx4 s[20:23], s[4:5], 0x0
	s_lshl_b32 s2, s7, 7
	s_mov_b32 s3, 0
	v_bfe_u32 v16, v0, 10, 10
	s_waitcnt lgkmcnt(0)
	v_pk_mov_b32 v[2:3], s[20:21], s[20:21] op_sel:[0,1]
	v_cmp_lt_i64_e32 vcc, s[2:3], v[2:3]
	s_cbranch_vccnz .LBB56_2
; %bb.1:
	s_mov_b64 s[0:1], 0
	v_bfe_u32 v4, v0, 10, 10
	s_branch .LBB56_3
.LBB56_2:
	s_mov_b64 s[0:1], -1
                                        ; implicit-def: $vgpr4
.LBB56_3:
	s_load_dwordx4 s[16:19], s[4:5], 0x30
	v_and_b32_e32 v14, 0x3ff, v0
	s_andn2_b64 vcc, exec, s[0:1]
	v_mov_b32_e32 v1, s3
	v_mbcnt_lo_u32_b32 v15, -1, 0
	v_mov_b32_e32 v0, s3
	s_cbranch_vccnz .LBB56_11
; %bb.4:
	s_load_dword s0, s[4:5], 0x4c
	s_load_dword s7, s[4:5], 0x44
	s_load_dwordx8 s[8:15], s[4:5], 0x10
	v_mbcnt_hi_u32_b32 v4, -1, v15
	v_lshlrev_b32_e32 v2, 3, v16
	s_waitcnt lgkmcnt(0)
	s_and_b32 s0, s0, 0xffff
	v_lshlrev_b32_e32 v4, 2, v4
	v_mad_u32_u24 v0, v16, s0, v14
	v_and_b32_e32 v17, 0x100, v4
	v_mov_b32_e32 v4, s3
	v_add_co_u32_e32 v6, vcc, s2, v2
	v_and_b32_e32 v3, 63, v0
	v_addc_co_u32_e32 v7, vcc, 0, v4, vcc
	v_add_co_u32_e32 v2, vcc, v6, v3
	v_cmp_gt_u32_e64 s[0:1], 8, v3
	s_lshl_b32 s4, s7, 7
	v_addc_co_u32_e32 v3, vcc, 0, v7, vcc
	v_mul_lo_u32 v8, s23, v6
	v_mul_lo_u32 v9, s22, v7
	v_mad_u64_u32 v[6:7], s[26:27], s22, v6, 0
	v_mov_b32_e32 v1, 0
	v_lshl_add_u32 v0, s6, 6, v14
	v_add3_u32 v7, v7, v9, v8
	s_mul_i32 s7, s23, s4
	s_mul_hi_u32 s26, s22, s4
	s_mov_b32 s5, 0
	v_lshlrev_b64 v[6:7], 2, v[6:7]
	v_lshlrev_b64 v[8:9], 2, v[0:1]
	s_add_i32 s27, s26, s7
	s_mul_i32 s26, s22, s4
	s_lshl_b64 s[24:25], s[4:5], 2
	v_add_co_u32_e32 v6, vcc, v6, v8
	s_lshl_b64 s[26:27], s[26:27], 2
	s_lshl_b64 s[22:23], s[22:23], 2
	v_or_b32_e32 v18, 4, v17
	v_or_b32_e32 v19, 8, v17
	;; [unrolled: 1-line block ×7, first 2 shown]
	v_lshlrev_b64 v[4:5], 2, v[2:3]
	v_addc_co_u32_e32 v7, vcc, v7, v9, vcc
	v_mov_b32_e32 v25, s9
	v_mov_b32_e32 v26, s11
	;; [unrolled: 1-line block ×6, first 2 shown]
	v_pk_mov_b32 v[8:9], s[20:21], s[20:21] op_sel:[0,1]
	v_mov_b32_e32 v0, v1
	s_branch .LBB56_7
.LBB56_5:                               ;   in Loop: Header=BB56_7 Depth=1
	s_or_b64 exec, exec, s[30:31]
.LBB56_6:                               ;   in Loop: Header=BB56_7 Depth=1
	s_or_b64 exec, exec, s[28:29]
	v_add_co_u32_e32 v12, vcc, s8, v6
	v_addc_co_u32_e32 v13, vcc, v25, v7, vcc
	v_add_co_u32_e32 v34, vcc, s10, v6
	v_addc_co_u32_e32 v35, vcc, v26, v7, vcc
	;; [unrolled: 2-line block ×3, first 2 shown]
	global_load_dword v10, v[34:35], off
	v_add_co_u32_e32 v34, vcc, s22, v34
	v_addc_co_u32_e32 v35, vcc, v35, v27, vcc
	global_load_dword v11, v[12:13], off
	s_add_u32 s2, s2, s4
	global_load_dword v13, v[36:37], off
	v_add_co_u32_e32 v36, vcc, s22, v36
	v_addc_co_u32_e32 v37, vcc, v37, v27, vcc
	global_load_dword v12, v[34:35], off
	v_add_co_u32_e32 v34, vcc, s22, v34
	v_addc_co_u32_e32 v35, vcc, v35, v27, vcc
	;; [unrolled: 3-line block ×10, first 2 shown]
	global_load_dword v46, v[34:35], off
	global_load_dword v47, v[36:37], off
	v_add_co_u32_e32 v36, vcc, s22, v36
	v_addc_co_u32_e32 v37, vcc, v37, v27, vcc
	v_add_co_u32_e32 v34, vcc, s22, v34
	v_addc_co_u32_e32 v35, vcc, v35, v27, vcc
	global_load_dword v48, v[34:35], off
	global_load_dword v33, v[36:37], off
	s_waitcnt vmcnt(17)
	ds_bpermute_b32 v34, v17, v32
	s_waitcnt vmcnt(16)
	ds_bpermute_b32 v35, v17, v31
	ds_bpermute_b32 v36, v19, v32
	;; [unrolled: 1-line block ×3, first 2 shown]
	v_add_co_u32_e32 v4, vcc, s24, v4
	v_addc_co_u32_e32 v5, vcc, v5, v28, vcc
	v_add_co_u32_e32 v2, vcc, s4, v2
	v_addc_co_u32_e32 v3, vcc, v3, v29, vcc
	v_add_co_u32_e32 v6, vcc, s26, v6
	s_waitcnt vmcnt(15) lgkmcnt(3)
	v_sub_f32_e32 v10, v10, v34
	ds_bpermute_b32 v34, v18, v32
	s_addc_u32 s3, s3, 0
	v_addc_co_u32_e32 v7, vcc, v7, v30, vcc
	s_waitcnt vmcnt(14)
	v_mul_f32_e32 v10, v11, v10
	s_waitcnt lgkmcnt(3)
	v_mul_f32_e32 v10, v10, v35
	ds_bpermute_b32 v35, v18, v31
	v_pk_add_f32 v[0:1], v[0:1], v[10:11]
	ds_bpermute_b32 v10, v24, v32
	ds_bpermute_b32 v11, v24, v31
	s_waitcnt vmcnt(12) lgkmcnt(3)
	v_sub_f32_e32 v12, v12, v34
	ds_bpermute_b32 v34, v19, v31
	v_mul_f32_e32 v12, v13, v12
	s_waitcnt lgkmcnt(3)
	v_mul_f32_e32 v12, v12, v35
	v_pk_add_f32 v[0:1], v[0:1], v[12:13]
	v_cmp_lt_i64_e32 vcc, s[2:3], v[8:9]
	s_and_b64 vcc, exec, vcc
	s_waitcnt vmcnt(10)
	v_sub_f32_e32 v35, v38, v36
	ds_bpermute_b32 v36, v20, v32
	v_mul_f32_e32 v35, v39, v35
	s_waitcnt lgkmcnt(1)
	v_mul_f32_e32 v38, v35, v34
	ds_bpermute_b32 v34, v20, v31
	ds_bpermute_b32 v35, v21, v32
	v_pk_add_f32 v[0:1], v[0:1], v[38:39]
	s_waitcnt vmcnt(8) lgkmcnt(2)
	v_sub_f32_e32 v36, v40, v36
	v_mul_f32_e32 v36, v41, v36
	s_waitcnt lgkmcnt(1)
	v_mul_f32_e32 v40, v36, v34
	ds_bpermute_b32 v36, v23, v32
	v_pk_add_f32 v[0:1], v[0:1], v[40:41]
	s_waitcnt vmcnt(6) lgkmcnt(1)
	v_sub_f32_e32 v34, v42, v35
	ds_bpermute_b32 v35, v22, v32
	v_mul_f32_e32 v34, v43, v34
	v_mul_f32_e32 v42, v34, v37
	ds_bpermute_b32 v34, v22, v31
	ds_bpermute_b32 v37, v23, v31
	v_pk_add_f32 v[0:1], v[0:1], v[42:43]
	s_waitcnt vmcnt(4) lgkmcnt(2)
	v_sub_f32_e32 v35, v44, v35
	v_mul_f32_e32 v35, v45, v35
	s_waitcnt lgkmcnt(1)
	v_mul_f32_e32 v44, v35, v34
	v_pk_add_f32 v[0:1], v[0:1], v[44:45]
	s_waitcnt vmcnt(3)
	v_sub_f32_e32 v34, v46, v36
	s_waitcnt vmcnt(2)
	v_mul_f32_e32 v34, v47, v34
	s_waitcnt lgkmcnt(0)
	v_mul_f32_e32 v46, v34, v37
	v_pk_add_f32 v[0:1], v[0:1], v[46:47]
	s_waitcnt vmcnt(1)
	v_sub_f32_e32 v10, v48, v10
	s_waitcnt vmcnt(0)
	v_mul_f32_e32 v10, v33, v10
	v_mul_f32_e32 v32, v10, v11
	v_pk_add_f32 v[0:1], v[0:1], v[32:33]
	s_cbranch_vccz .LBB56_10
.LBB56_7:                               ; =>This Inner Loop Header: Depth=1
	v_mov_b32_e32 v31, 0
	v_mov_b32_e32 v32, 0
	s_and_saveexec_b64 s[28:29], s[0:1]
	s_cbranch_execz .LBB56_6
; %bb.8:                                ;   in Loop: Header=BB56_7 Depth=1
	v_cmp_gt_i64_e32 vcc, s[20:21], v[2:3]
	v_mov_b32_e32 v32, 0
	v_mov_b32_e32 v31, 0
	s_and_saveexec_b64 s[30:31], vcc
	s_cbranch_execz .LBB56_5
; %bb.9:                                ;   in Loop: Header=BB56_7 Depth=1
	v_mov_b32_e32 v11, s15
	v_add_co_u32_e32 v10, vcc, s14, v4
	v_addc_co_u32_e32 v11, vcc, v11, v5, vcc
	v_mov_b32_e32 v13, s13
	v_add_co_u32_e32 v12, vcc, s12, v4
	v_addc_co_u32_e32 v13, vcc, v13, v5, vcc
	global_load_dword v32, v[12:13], off
	global_load_dword v31, v[10:11], off
	s_branch .LBB56_5
.LBB56_10:
	v_mov_b32_e32 v4, v16
.LBB56_11:
	s_movk_i32 s0, 0x41
	v_mad_u32_u24 v2, v4, s0, v14
	v_lshl_add_u32 v2, v2, 2, 0
	v_lshrrev_b32_e32 v5, 6, v14
	ds_write_b32 v2, v0
	ds_write_b32 v2, v1 offset:4160
	v_add_u32_e32 v0, v5, v4
	s_mov_b32 s7, 0
	v_cmp_gt_u32_e32 vcc, 64, v0
	s_waitcnt lgkmcnt(0)
	s_barrier
	s_and_saveexec_b64 s[0:1], vcc
	s_cbranch_execz .LBB56_21
; %bb.12:
	v_and_b32_e32 v1, 63, v14
	v_cmp_gt_u32_e64 s[0:1], 16, v1
	v_mul_u32_u24_e32 v11, 0x41, v1
	v_mbcnt_hi_u32_b32 v1, -1, v15
	v_and_b32_e32 v2, 64, v1
	v_add_u32_e32 v2, 64, v2
	v_xor_b32_e32 v3, 8, v1
	v_cmp_lt_i32_e32 vcc, v3, v2
	v_cndmask_b32_e32 v3, v1, v3, vcc
	v_lshlrev_b32_e32 v6, 2, v3
	v_xor_b32_e32 v3, 4, v1
	v_cmp_lt_i32_e32 vcc, v3, v2
	v_cndmask_b32_e32 v3, v1, v3, vcc
	v_lshlrev_b32_e32 v7, 2, v3
	;; [unrolled: 4-line block ×3, first 2 shown]
	v_xor_b32_e32 v3, 1, v1
	s_lshl_b64 s[4:5], s[6:7], 6
	v_cmp_lt_i32_e32 vcc, v3, v2
	v_cndmask_b32_e32 v1, v1, v3, vcc
	v_add_u32_e32 v10, -16, v0
	v_or_b32_e32 v0, s4, v5
	v_lshlrev_b32_e32 v9, 2, v1
	v_mov_b32_e32 v1, s5
	v_add_co_u32_e32 v0, vcc, v0, v4
	v_addc_co_u32_e32 v1, vcc, 0, v1, vcc
	s_cmp_lg_u64 s[16:17], 0
	v_lshlrev_b64 v[2:3], 2, v[0:1]
	s_cselect_b64 s[6:7], -1, 0
	s_cmp_lg_u64 s[18:19], 0
	v_mov_b32_e32 v1, s19
	v_add_co_u32_e32 v0, vcc, s18, v2
	v_add3_u32 v4, v11, v4, v5
	v_addc_co_u32_e32 v1, vcc, v1, v3, vcc
	v_lshl_add_u32 v11, v4, 2, 0
	v_cndmask_b32_e64 v4, 0, 1, s[6:7]
	s_cselect_b64 s[6:7], -1, 0
	v_mov_b32_e32 v12, s17
	v_add_co_u32_e32 v2, vcc, s16, v2
	v_cmp_ne_u32_e64 s[4:5], 1, v4
	v_cndmask_b32_e64 v4, 0, 1, s[6:7]
	v_cmp_eq_u32_e64 s[2:3], 0, v14
	s_mov_b64 s[8:9], 0
	v_addc_co_u32_e32 v3, vcc, v12, v3, vcc
	v_cmp_ne_u32_e64 s[6:7], 1, v4
                                        ; implicit-def: $vgpr4
	s_branch .LBB56_14
.LBB56_13:                              ;   in Loop: Header=BB56_14 Depth=1
	s_or_b64 exec, exec, s[10:11]
	v_add_co_u32_e32 v0, vcc, 64, v0
	v_addc_co_u32_e32 v1, vcc, 0, v1, vcc
	v_add_co_u32_e32 v2, vcc, 64, v2
	v_add_u32_e32 v10, 16, v10
	v_addc_co_u32_e32 v3, vcc, 0, v3, vcc
	v_cmp_lt_u32_e32 vcc, 47, v10
	s_or_b64 s[8:9], vcc, s[8:9]
	v_add_u32_e32 v11, 64, v11
	s_andn2_b64 exec, exec, s[8:9]
	s_cbranch_execz .LBB56_21
.LBB56_14:                              ; =>This Inner Loop Header: Depth=1
	s_and_saveexec_b64 s[10:11], s[0:1]
	s_cbranch_execz .LBB56_16
; %bb.15:                               ;   in Loop: Header=BB56_14 Depth=1
	ds_read_b32 v5, v11
	ds_read_b32 v4, v11 offset:4160
.LBB56_16:                              ;   in Loop: Header=BB56_14 Depth=1
	s_or_b64 exec, exec, s[10:11]
	s_waitcnt lgkmcnt(1)
	ds_bpermute_b32 v13, v6, v5
	s_waitcnt lgkmcnt(1)
	ds_bpermute_b32 v12, v6, v4
	s_waitcnt lgkmcnt(0)
	v_pk_add_f32 v[4:5], v[4:5], v[12:13]
	ds_bpermute_b32 v13, v7, v5
	ds_bpermute_b32 v12, v7, v4
	s_waitcnt lgkmcnt(0)
	v_pk_add_f32 v[4:5], v[4:5], v[12:13]
	ds_bpermute_b32 v13, v8, v5
	;; [unrolled: 4-line block ×3, first 2 shown]
	ds_bpermute_b32 v12, v9, v4
	s_waitcnt lgkmcnt(0)
	v_pk_add_f32 v[4:5], v[4:5], v[12:13]
	s_and_saveexec_b64 s[10:11], s[2:3]
	s_cbranch_execz .LBB56_13
; %bb.17:                               ;   in Loop: Header=BB56_14 Depth=1
	s_and_b64 vcc, exec, s[4:5]
	s_cbranch_vccnz .LBB56_19
; %bb.18:                               ;   in Loop: Header=BB56_14 Depth=1
	global_store_dword v[2:3], v5, off
.LBB56_19:                              ;   in Loop: Header=BB56_14 Depth=1
	s_and_b64 vcc, exec, s[6:7]
	s_cbranch_vccnz .LBB56_13
; %bb.20:                               ;   in Loop: Header=BB56_14 Depth=1
	global_store_dword v[0:1], v4, off
	s_branch .LBB56_13
.LBB56_21:
	s_endpgm
	.section	.rodata,"a",@progbits
	.p2align	6, 0x0
	.amdhsa_kernel _ZN2at6native12_GLOBAL__N_135GammaBetaBackwardCUDAKernelTemplateIffLj64ELj16ELj128ELb0ELb1ELb0EEEvllPKT_S5_PKT0_S8_PS3_S9_
		.amdhsa_group_segment_fixed_size 0
		.amdhsa_private_segment_fixed_size 0
		.amdhsa_kernarg_size 320
		.amdhsa_user_sgpr_count 6
		.amdhsa_user_sgpr_private_segment_buffer 1
		.amdhsa_user_sgpr_dispatch_ptr 0
		.amdhsa_user_sgpr_queue_ptr 0
		.amdhsa_user_sgpr_kernarg_segment_ptr 1
		.amdhsa_user_sgpr_dispatch_id 0
		.amdhsa_user_sgpr_flat_scratch_init 0
		.amdhsa_user_sgpr_kernarg_preload_length 0
		.amdhsa_user_sgpr_kernarg_preload_offset 0
		.amdhsa_user_sgpr_private_segment_size 0
		.amdhsa_uses_dynamic_stack 0
		.amdhsa_system_sgpr_private_segment_wavefront_offset 0
		.amdhsa_system_sgpr_workgroup_id_x 1
		.amdhsa_system_sgpr_workgroup_id_y 1
		.amdhsa_system_sgpr_workgroup_id_z 0
		.amdhsa_system_sgpr_workgroup_info 0
		.amdhsa_system_vgpr_workitem_id 1
		.amdhsa_next_free_vgpr 49
		.amdhsa_next_free_sgpr 32
		.amdhsa_accum_offset 52
		.amdhsa_reserve_vcc 1
		.amdhsa_reserve_flat_scratch 0
		.amdhsa_float_round_mode_32 0
		.amdhsa_float_round_mode_16_64 0
		.amdhsa_float_denorm_mode_32 3
		.amdhsa_float_denorm_mode_16_64 3
		.amdhsa_dx10_clamp 1
		.amdhsa_ieee_mode 1
		.amdhsa_fp16_overflow 0
		.amdhsa_tg_split 0
		.amdhsa_exception_fp_ieee_invalid_op 0
		.amdhsa_exception_fp_denorm_src 0
		.amdhsa_exception_fp_ieee_div_zero 0
		.amdhsa_exception_fp_ieee_overflow 0
		.amdhsa_exception_fp_ieee_underflow 0
		.amdhsa_exception_fp_ieee_inexact 0
		.amdhsa_exception_int_div_zero 0
	.end_amdhsa_kernel
	.section	.text._ZN2at6native12_GLOBAL__N_135GammaBetaBackwardCUDAKernelTemplateIffLj64ELj16ELj128ELb0ELb1ELb0EEEvllPKT_S5_PKT0_S8_PS3_S9_,"axG",@progbits,_ZN2at6native12_GLOBAL__N_135GammaBetaBackwardCUDAKernelTemplateIffLj64ELj16ELj128ELb0ELb1ELb0EEEvllPKT_S5_PKT0_S8_PS3_S9_,comdat
.Lfunc_end56:
	.size	_ZN2at6native12_GLOBAL__N_135GammaBetaBackwardCUDAKernelTemplateIffLj64ELj16ELj128ELb0ELb1ELb0EEEvllPKT_S5_PKT0_S8_PS3_S9_, .Lfunc_end56-_ZN2at6native12_GLOBAL__N_135GammaBetaBackwardCUDAKernelTemplateIffLj64ELj16ELj128ELb0ELb1ELb0EEEvllPKT_S5_PKT0_S8_PS3_S9_
                                        ; -- End function
	.section	.AMDGPU.csdata,"",@progbits
; Kernel info:
; codeLenInByte = 1684
; NumSgprs: 36
; NumVgprs: 49
; NumAgprs: 0
; TotalNumVgprs: 49
; ScratchSize: 0
; MemoryBound: 0
; FloatMode: 240
; IeeeMode: 1
; LDSByteSize: 0 bytes/workgroup (compile time only)
; SGPRBlocks: 4
; VGPRBlocks: 6
; NumSGPRsForWavesPerEU: 36
; NumVGPRsForWavesPerEU: 49
; AccumOffset: 52
; Occupancy: 8
; WaveLimiterHint : 0
; COMPUTE_PGM_RSRC2:SCRATCH_EN: 0
; COMPUTE_PGM_RSRC2:USER_SGPR: 6
; COMPUTE_PGM_RSRC2:TRAP_HANDLER: 0
; COMPUTE_PGM_RSRC2:TGID_X_EN: 1
; COMPUTE_PGM_RSRC2:TGID_Y_EN: 1
; COMPUTE_PGM_RSRC2:TGID_Z_EN: 0
; COMPUTE_PGM_RSRC2:TIDIG_COMP_CNT: 1
; COMPUTE_PGM_RSRC3_GFX90A:ACCUM_OFFSET: 12
; COMPUTE_PGM_RSRC3_GFX90A:TG_SPLIT: 0
	.section	.text._ZN2at6native12_GLOBAL__N_135GammaBetaBackwardCUDAKernelTemplateIffLj64ELj16ELj128ELb0ELb0ELb0EEEvllPKT_S5_PKT0_S8_PS3_S9_,"axG",@progbits,_ZN2at6native12_GLOBAL__N_135GammaBetaBackwardCUDAKernelTemplateIffLj64ELj16ELj128ELb0ELb0ELb0EEEvllPKT_S5_PKT0_S8_PS3_S9_,comdat
	.globl	_ZN2at6native12_GLOBAL__N_135GammaBetaBackwardCUDAKernelTemplateIffLj64ELj16ELj128ELb0ELb0ELb0EEEvllPKT_S5_PKT0_S8_PS3_S9_ ; -- Begin function _ZN2at6native12_GLOBAL__N_135GammaBetaBackwardCUDAKernelTemplateIffLj64ELj16ELj128ELb0ELb0ELb0EEEvllPKT_S5_PKT0_S8_PS3_S9_
	.p2align	8
	.type	_ZN2at6native12_GLOBAL__N_135GammaBetaBackwardCUDAKernelTemplateIffLj64ELj16ELj128ELb0ELb0ELb0EEEvllPKT_S5_PKT0_S8_PS3_S9_,@function
_ZN2at6native12_GLOBAL__N_135GammaBetaBackwardCUDAKernelTemplateIffLj64ELj16ELj128ELb0ELb0ELb0EEEvllPKT_S5_PKT0_S8_PS3_S9_: ; @_ZN2at6native12_GLOBAL__N_135GammaBetaBackwardCUDAKernelTemplateIffLj64ELj16ELj128ELb0ELb0ELb0EEEvllPKT_S5_PKT0_S8_PS3_S9_
; %bb.0:
	s_load_dwordx8 s[12:19], s[4:5], 0x0
	s_load_dwordx4 s[28:31], s[4:5], 0x20
	s_lshl_b32 s33, s6, 6
	s_mov_b32 s20, 0
	s_or_b32 s0, s33, 63
	s_mov_b32 s1, s20
	s_waitcnt lgkmcnt(0)
	v_pk_mov_b32 v[2:3], s[14:15], s[14:15] op_sel:[0,1]
	v_cmp_ge_i64_e32 vcc, s[0:1], v[2:3]
	s_lshl_b32 s10, s7, 7
	s_mov_b32 s11, s20
	v_pk_mov_b32 v[2:3], s[12:13], s[12:13] op_sel:[0,1]
	v_cmp_lt_i64_e64 s[0:1], s[10:11], v[2:3]
	v_cndmask_b32_e64 v1, 0, 1, s[0:1]
	v_cmp_ne_u32_e64 s[0:1], 1, v1
	s_cbranch_vccz .LBB57_48
; %bb.1:
	v_mov_b32_e32 v27, 0
	s_and_b64 vcc, exec, s[0:1]
	v_mov_b32_e32 v26, v27
	s_cbranch_vccnz .LBB57_49
; %bb.2:
	v_and_b32_e32 v61, 0x3ff, v0
	v_bfe_u32 v63, v0, 10, 10
	v_add_u32_e32 v2, s33, v61
	v_mov_b32_e32 v3, 0
	v_lshlrev_b32_e32 v28, 3, v63
	v_cmp_gt_i64_e64 s[2:3], s[14:15], v[2:3]
	v_lshlrev_b64 v[30:31], 2, v[2:3]
	v_mov_b32_e32 v1, s11
	v_add_co_u32_e32 v2, vcc, s10, v28
	v_addc_co_u32_e32 v6, vcc, 0, v1, vcc
	v_add_co_u32_e32 v1, vcc, 7, v2
	v_addc_co_u32_e32 v4, vcc, 0, v6, vcc
	v_mul_lo_u32 v7, s15, v1
	v_mul_lo_u32 v8, s14, v4
	v_mad_u64_u32 v[4:5], s[8:9], s14, v1, 0
	s_load_dword s7, s[4:5], 0x44
	v_add3_u32 v5, v5, v8, v7
	v_lshlrev_b64 v[4:5], 2, v[4:5]
	v_mov_b32_e32 v7, s17
	v_add_co_u32_e32 v32, vcc, s16, v4
	v_addc_co_u32_e32 v1, vcc, v7, v5, vcc
	s_add_u32 s34, s4, 64
	v_mov_b32_e32 v8, s19
	v_add_co_u32_e32 v34, vcc, s18, v4
	s_addc_u32 s35, s5, 0
	s_waitcnt lgkmcnt(0)
	s_lshl_b32 s7, s7, 7
	v_addc_co_u32_e32 v29, vcc, v8, v5, vcc
	s_mul_i32 s8, s15, s7
	s_mul_hi_u32 s9, s14, s7
	v_add_co_u32_e32 v4, vcc, 6, v2
	s_add_i32 s9, s9, s8
	s_mul_i32 s8, s14, s7
	v_addc_co_u32_e32 v5, vcc, 0, v6, vcc
	s_lshl_b64 s[36:37], s[8:9], 2
	v_mul_lo_u32 v9, s15, v4
	v_mul_lo_u32 v10, s14, v5
	v_mad_u64_u32 v[4:5], s[8:9], s14, v4, 0
	v_add3_u32 v5, v5, v10, v9
	v_lshlrev_b64 v[4:5], 2, v[4:5]
	v_add_co_u32_e32 v36, vcc, s16, v4
	v_addc_co_u32_e32 v33, vcc, v7, v5, vcc
	v_add_co_u32_e32 v38, vcc, s18, v4
	v_addc_co_u32_e32 v35, vcc, v8, v5, vcc
	v_add_co_u32_e32 v4, vcc, 5, v2
	v_addc_co_u32_e32 v5, vcc, 0, v6, vcc
	v_mul_lo_u32 v9, s15, v4
	v_mul_lo_u32 v10, s14, v5
	v_mad_u64_u32 v[4:5], s[8:9], s14, v4, 0
	v_add3_u32 v5, v5, v10, v9
	v_lshlrev_b64 v[4:5], 2, v[4:5]
	v_add_co_u32_e32 v40, vcc, s16, v4
	v_addc_co_u32_e32 v37, vcc, v7, v5, vcc
	v_add_co_u32_e32 v42, vcc, s18, v4
	v_addc_co_u32_e32 v39, vcc, v8, v5, vcc
	v_add_co_u32_e32 v4, vcc, 4, v2
	v_addc_co_u32_e32 v5, vcc, 0, v6, vcc
	;; [unrolled: 11-line block ×4, first 2 shown]
	v_mul_lo_u32 v9, s15, v4
	v_mul_lo_u32 v10, s14, v5
	v_mad_u64_u32 v[4:5], s[8:9], s14, v4, 0
	v_add3_u32 v5, v5, v10, v9
	v_lshlrev_b64 v[4:5], 2, v[4:5]
	v_add_co_u32_e32 v52, vcc, s16, v4
	v_addc_co_u32_e32 v49, vcc, v7, v5, vcc
	v_add_co_u32_e32 v54, vcc, s18, v4
	v_addc_co_u32_e32 v51, vcc, v8, v5, vcc
	v_pk_mov_b32 v[4:5], s[14:15], s[14:15] op_sel:[0,1]
	v_mad_u64_u32 v[4:5], s[8:9], s14, v2, v[4:5]
	v_mul_lo_u32 v6, s14, v6
	v_mul_lo_u32 v9, s15, v2
	v_add3_u32 v5, v9, v5, v6
	v_lshlrev_b64 v[4:5], 2, v[4:5]
	v_add_co_u32_e32 v56, vcc, s16, v4
	v_addc_co_u32_e32 v53, vcc, v7, v5, vcc
	v_add_co_u32_e32 v58, vcc, s18, v4
	v_addc_co_u32_e32 v55, vcc, v8, v5, vcc
	v_mad_u64_u32 v[4:5], s[8:9], s14, v2, 0
	v_add3_u32 v5, v5, v6, v9
	v_lshlrev_b64 v[4:5], 2, v[4:5]
	v_add_co_u32_e32 v60, vcc, s16, v4
	v_mbcnt_lo_u32_b32 v2, -1, 0
	v_addc_co_u32_e32 v57, vcc, v7, v5, vcc
	v_mbcnt_hi_u32_b32 v2, -1, v2
	s_add_u32 s38, s10, 0x7f
	v_add_co_u32_e32 v62, vcc, s18, v4
	v_lshlrev_b32_e32 v2, 2, v2
	s_addc_u32 s39, 0, 0
	v_addc_co_u32_e32 v59, vcc, v8, v5, vcc
	v_and_b32_e32 v64, 0x100, v2
	s_mov_b64 s[40:41], s[10:11]
	v_mov_b32_e32 v26, v3
	v_mov_b32_e32 v27, v3
	s_branch .LBB57_5
.LBB57_3:                               ;   in Loop: Header=BB57_5 Depth=1
	s_or_b64 exec, exec, s[8:9]
	s_waitcnt vmcnt(1)
	ds_bpermute_b32 v2, v64, v68
	ds_bpermute_b32 v4, v64, v68 offset:4
	s_waitcnt vmcnt(0)
	ds_bpermute_b32 v5, v64, v67
	ds_bpermute_b32 v6, v64, v67 offset:4
	ds_bpermute_b32 v9, v64, v67 offset:12
	s_waitcnt lgkmcnt(4)
	v_sub_f32_e32 v2, v10, v2
	v_mul_f32_e32 v2, v18, v2
	s_waitcnt lgkmcnt(3)
	v_sub_f32_e32 v7, v11, v4
	s_waitcnt lgkmcnt(2)
	v_mul_f32_e32 v4, v2, v5
	ds_bpermute_b32 v2, v64, v68 offset:8
	v_mul_f32_e32 v5, v19, v7
	s_waitcnt lgkmcnt(2)
	v_mul_f32_e32 v6, v5, v6
	ds_bpermute_b32 v5, v64, v67 offset:8
	ds_bpermute_b32 v7, v64, v68 offset:12
	s_waitcnt lgkmcnt(2)
	v_sub_f32_e32 v2, v12, v2
	v_mul_f32_e32 v2, v20, v2
	v_mov_b32_e32 v11, v21
	s_waitcnt lgkmcnt(1)
	v_mul_f32_e32 v8, v2, v5
	s_waitcnt lgkmcnt(0)
	v_sub_f32_e32 v2, v13, v7
	ds_bpermute_b32 v5, v64, v68 offset:16
	v_mul_f32_e32 v2, v21, v2
	v_mul_f32_e32 v10, v2, v9
	ds_bpermute_b32 v2, v64, v67 offset:16
	ds_bpermute_b32 v7, v64, v68 offset:20
	;; [unrolled: 1-line block ×3, first 2 shown]
	s_waitcnt lgkmcnt(3)
	v_sub_f32_e32 v5, v14, v5
	v_mul_f32_e32 v5, v22, v5
	s_waitcnt lgkmcnt(2)
	v_mul_f32_e32 v12, v5, v2
	s_waitcnt lgkmcnt(1)
	v_sub_f32_e32 v2, v15, v7
	v_mul_f32_e32 v2, v23, v2
	s_waitcnt lgkmcnt(0)
	v_mul_f32_e32 v14, v2, v9
	v_mov_b32_e32 v5, v18
	ds_bpermute_b32 v2, v64, v68 offset:24
	v_pk_add_f32 v[4:5], v[26:27], v[4:5]
	v_mov_b32_e32 v7, v19
	v_pk_add_f32 v[4:5], v[6:7], v[4:5]
	ds_bpermute_b32 v7, v64, v67 offset:24
	v_mov_b32_e32 v9, v20
	v_pk_add_f32 v[4:5], v[8:9], v[4:5]
	v_pk_add_f32 v[4:5], v[10:11], v[4:5]
	v_mov_b32_e32 v13, v22
	s_waitcnt lgkmcnt(1)
	v_sub_f32_e32 v8, v16, v2
	v_pk_add_f32 v[4:5], v[12:13], v[4:5]
	v_mov_b32_e32 v15, v23
	v_mul_f32_e32 v8, v24, v8
	v_pk_add_f32 v[4:5], v[14:15], v[4:5]
	s_waitcnt lgkmcnt(0)
	v_mul_f32_e32 v8, v8, v7
	v_mov_b32_e32 v9, v24
	ds_bpermute_b32 v2, v64, v67 offset:28
	ds_bpermute_b32 v6, v64, v68 offset:28
	v_pk_add_f32 v[4:5], v[8:9], v[4:5]
.LBB57_4:                               ;   in Loop: Header=BB57_5 Depth=1
	s_waitcnt lgkmcnt(0)
	v_sub_f32_e32 v6, v17, v6
	v_mul_f32_e32 v6, v25, v6
	v_mul_f32_e32 v24, v6, v2
	v_mov_b32_e32 v2, s37
	v_add_co_u32_e32 v32, vcc, s36, v32
	v_addc_co_u32_e32 v1, vcc, v1, v2, vcc
	v_add_co_u32_e32 v34, vcc, s36, v34
	v_addc_co_u32_e32 v29, vcc, v29, v2, vcc
	;; [unrolled: 2-line block ×15, first 2 shown]
	s_add_u32 s40, s40, s7
	v_add_co_u32_e32 v62, vcc, s36, v62
	v_pk_add_f32 v[26:27], v[4:5], v[24:25]
	s_addc_u32 s41, s41, 0
	v_addc_co_u32_e32 v59, vcc, v59, v2, vcc
	v_pk_mov_b32 v[4:5], s[12:13], s[12:13] op_sel:[0,1]
	s_add_u32 s38, s38, s7
	v_cmp_lt_i64_e32 vcc, s[40:41], v[4:5]
	s_addc_u32 s39, s39, 0
	s_cbranch_vccz .LBB57_49
.LBB57_5:                               ; =>This Inner Loop Header: Depth=1
	v_pk_mov_b32 v[4:5], s[12:13], s[12:13] op_sel:[0,1]
	v_cmp_ge_i64_e32 vcc, s[38:39], v[4:5]
	v_mov_b32_e32 v2, s39
	v_add_co_u32_e64 v65, s[8:9], s38, v28
	v_addc_co_u32_e64 v66, s[8:9], 0, v2, s[8:9]
	s_cbranch_vccz .LBB57_27
; %bb.6:                                ;   in Loop: Header=BB57_5 Depth=1
	s_load_dword s8, s[34:35], 0xc
	v_mov_b32_e32 v67, 0
	v_mov_b32_e32 v68, 0
	s_waitcnt lgkmcnt(0)
	s_and_b32 s8, s8, 0xffff
	v_mad_u32_u24 v2, v63, s8, v61
	v_and_b32_e32 v2, 63, v2
	v_cmp_gt_u32_e32 vcc, 8, v2
	s_and_saveexec_b64 s[8:9], vcc
	s_cbranch_execz .LBB57_10
; %bb.7:                                ;   in Loop: Header=BB57_5 Depth=1
	v_add_co_u32_e32 v2, vcc, v65, v2
	v_addc_co_u32_e32 v5, vcc, 0, v66, vcc
	v_add_co_u32_e32 v4, vcc, 0xffffff81, v2
	v_addc_co_u32_e32 v5, vcc, -1, v5, vcc
	v_cmp_gt_i64_e32 vcc, s[12:13], v[4:5]
	v_mov_b32_e32 v68, 0
	v_mov_b32_e32 v67, 0
	s_and_saveexec_b64 s[22:23], vcc
	s_cbranch_execz .LBB57_9
; %bb.8:                                ;   in Loop: Header=BB57_5 Depth=1
	v_lshlrev_b64 v[4:5], 2, v[4:5]
	v_mov_b32_e32 v2, s31
	v_add_co_u32_e32 v6, vcc, s30, v4
	v_addc_co_u32_e32 v7, vcc, v2, v5, vcc
	v_mov_b32_e32 v2, s29
	v_add_co_u32_e32 v4, vcc, s28, v4
	v_addc_co_u32_e32 v5, vcc, v2, v5, vcc
	global_load_dword v68, v[4:5], off
	global_load_dword v67, v[6:7], off
.LBB57_9:                               ;   in Loop: Header=BB57_5 Depth=1
	s_or_b64 exec, exec, s[22:23]
.LBB57_10:                              ;   in Loop: Header=BB57_5 Depth=1
	s_or_b64 exec, exec, s[8:9]
	s_mov_b32 s21, s20
	v_add_co_u32_e32 v4, vcc, 0xffffff81, v65
	s_mov_b32 s22, s20
	s_mov_b32 s23, s20
	;; [unrolled: 1-line block ×6, first 2 shown]
	v_pk_mov_b32 v[10:11], s[20:21], s[20:21] op_sel:[0,1]
	v_addc_co_u32_e32 v5, vcc, -1, v66, vcc
	v_pk_mov_b32 v[16:17], s[26:27], s[26:27] op_sel:[0,1]
	v_cmp_gt_i64_e32 vcc, s[12:13], v[4:5]
	v_pk_mov_b32 v[12:13], s[22:23], s[22:23] op_sel:[0,1]
	v_pk_mov_b32 v[14:15], s[24:25], s[24:25] op_sel:[0,1]
	;; [unrolled: 1-line block ×3, first 2 shown]
	s_and_b64 s[42:43], s[2:3], vcc
	v_pk_mov_b32 v[22:23], v[14:15], v[14:15] op_sel:[0,1]
	v_pk_mov_b32 v[20:21], v[12:13], v[12:13] op_sel:[0,1]
	;; [unrolled: 1-line block ×3, first 2 shown]
	s_and_saveexec_b64 s[8:9], s[42:43]
	s_cbranch_execz .LBB57_12
; %bb.11:                               ;   in Loop: Header=BB57_5 Depth=1
	v_add_co_u32_e32 v4, vcc, v60, v30
	v_addc_co_u32_e32 v5, vcc, v57, v31, vcc
	global_load_dword v2, v[4:5], off
	v_add_co_u32_e32 v4, vcc, v62, v30
	v_addc_co_u32_e32 v5, vcc, v59, v31, vcc
	global_load_dword v10, v[4:5], off
	v_mov_b32_e32 v8, v3
	v_mov_b32_e32 v9, v3
	v_mov_b32_e32 v4, v3
	v_mov_b32_e32 v5, v3
	v_mov_b32_e32 v6, v3
	v_mov_b32_e32 v7, v3
	s_waitcnt vmcnt(1)
	v_pk_mov_b32 v[24:25], v[8:9], v[8:9] op_sel:[0,1]
	v_mov_b32_e32 v11, v3
	v_mov_b32_e32 v12, v3
	;; [unrolled: 1-line block ×7, first 2 shown]
	v_pk_mov_b32 v[22:23], v[6:7], v[6:7] op_sel:[0,1]
	v_pk_mov_b32 v[20:21], v[4:5], v[4:5] op_sel:[0,1]
	;; [unrolled: 1-line block ×3, first 2 shown]
.LBB57_12:                              ;   in Loop: Header=BB57_5 Depth=1
	s_or_b64 exec, exec, s[8:9]
	v_add_co_u32_e32 v4, vcc, 0xffffff82, v65
	v_addc_co_u32_e32 v5, vcc, -1, v66, vcc
	v_cmp_gt_i64_e32 vcc, s[12:13], v[4:5]
	s_and_b64 s[22:23], s[2:3], vcc
	s_and_saveexec_b64 s[8:9], s[22:23]
	s_cbranch_execz .LBB57_14
; %bb.13:                               ;   in Loop: Header=BB57_5 Depth=1
	v_add_co_u32_e32 v4, vcc, v56, v30
	v_addc_co_u32_e32 v5, vcc, v53, v31, vcc
	global_load_dword v19, v[4:5], off
	v_add_co_u32_e32 v4, vcc, v58, v30
	v_addc_co_u32_e32 v5, vcc, v55, v31, vcc
	global_load_dword v11, v[4:5], off
.LBB57_14:                              ;   in Loop: Header=BB57_5 Depth=1
	s_or_b64 exec, exec, s[8:9]
	v_add_co_u32_e32 v4, vcc, 0xffffff83, v65
	v_addc_co_u32_e32 v5, vcc, -1, v66, vcc
	v_cmp_gt_i64_e32 vcc, s[12:13], v[4:5]
	s_and_b64 s[22:23], s[2:3], vcc
	s_and_saveexec_b64 s[8:9], s[22:23]
	s_cbranch_execz .LBB57_16
; %bb.15:                               ;   in Loop: Header=BB57_5 Depth=1
	v_add_co_u32_e32 v4, vcc, v52, v30
	v_addc_co_u32_e32 v5, vcc, v49, v31, vcc
	global_load_dword v20, v[4:5], off
	v_add_co_u32_e32 v4, vcc, v54, v30
	v_addc_co_u32_e32 v5, vcc, v51, v31, vcc
	global_load_dword v12, v[4:5], off
.LBB57_16:                              ;   in Loop: Header=BB57_5 Depth=1
	;; [unrolled: 15-line block ×7, first 2 shown]
	s_or_b64 exec, exec, s[8:9]
	s_waitcnt vmcnt(1)
	ds_bpermute_b32 v2, v64, v68
	ds_bpermute_b32 v4, v64, v68 offset:4
	s_waitcnt vmcnt(0)
	ds_bpermute_b32 v5, v64, v67
	ds_bpermute_b32 v6, v64, v67 offset:4
	ds_bpermute_b32 v9, v64, v67 offset:12
	s_waitcnt lgkmcnt(4)
	v_sub_f32_e32 v2, v10, v2
	v_mul_f32_e32 v2, v18, v2
	s_waitcnt lgkmcnt(3)
	v_sub_f32_e32 v7, v11, v4
	s_waitcnt lgkmcnt(2)
	v_mul_f32_e32 v4, v2, v5
	ds_bpermute_b32 v2, v64, v68 offset:8
	v_mul_f32_e32 v5, v19, v7
	s_waitcnt lgkmcnt(2)
	v_mul_f32_e32 v6, v5, v6
	ds_bpermute_b32 v5, v64, v67 offset:8
	ds_bpermute_b32 v7, v64, v68 offset:12
	s_waitcnt lgkmcnt(2)
	v_sub_f32_e32 v2, v12, v2
	v_mul_f32_e32 v2, v20, v2
	v_mov_b32_e32 v11, v21
	s_waitcnt lgkmcnt(1)
	v_mul_f32_e32 v8, v2, v5
	s_waitcnt lgkmcnt(0)
	v_sub_f32_e32 v2, v13, v7
	ds_bpermute_b32 v5, v64, v68 offset:16
	v_mul_f32_e32 v2, v21, v2
	v_mul_f32_e32 v10, v2, v9
	ds_bpermute_b32 v2, v64, v67 offset:16
	ds_bpermute_b32 v7, v64, v68 offset:20
	;; [unrolled: 1-line block ×3, first 2 shown]
	s_waitcnt lgkmcnt(3)
	v_sub_f32_e32 v5, v14, v5
	v_mul_f32_e32 v5, v22, v5
	s_waitcnt lgkmcnt(2)
	v_mul_f32_e32 v12, v5, v2
	s_waitcnt lgkmcnt(1)
	v_sub_f32_e32 v2, v15, v7
	v_mul_f32_e32 v2, v23, v2
	s_waitcnt lgkmcnt(0)
	v_mul_f32_e32 v14, v2, v9
	ds_bpermute_b32 v2, v64, v68 offset:24
	v_mov_b32_e32 v5, v18
	v_pk_add_f32 v[4:5], v[26:27], v[4:5]
	v_mov_b32_e32 v7, v19
	v_pk_add_f32 v[4:5], v[6:7], v[4:5]
	ds_bpermute_b32 v7, v64, v67 offset:24
	v_mov_b32_e32 v9, v20
	s_waitcnt lgkmcnt(1)
	v_sub_f32_e32 v2, v16, v2
	v_pk_add_f32 v[4:5], v[8:9], v[4:5]
	v_mul_f32_e32 v8, v24, v2
	ds_bpermute_b32 v2, v64, v67 offset:28
	ds_bpermute_b32 v6, v64, v68 offset:28
	v_pk_add_f32 v[4:5], v[10:11], v[4:5]
	v_mov_b32_e32 v13, v22
	v_pk_add_f32 v[4:5], v[12:13], v[4:5]
	v_mov_b32_e32 v15, v23
	v_pk_add_f32 v[4:5], v[14:15], v[4:5]
	s_waitcnt lgkmcnt(2)
	v_mul_f32_e32 v8, v8, v7
	v_mov_b32_e32 v9, v24
	v_pk_add_f32 v[4:5], v[8:9], v[4:5]
	s_branch .LBB57_4
.LBB57_27:                              ;   in Loop: Header=BB57_5 Depth=1
                                        ; implicit-def: $vgpr4_vgpr5
                                        ; implicit-def: $vgpr2
                                        ; implicit-def: $vgpr10_vgpr11_vgpr12_vgpr13_vgpr14_vgpr15_vgpr16_vgpr17
                                        ; implicit-def: $vgpr18_vgpr19_vgpr20_vgpr21_vgpr22_vgpr23_vgpr24_vgpr25
                                        ; implicit-def: $vgpr6
	s_cbranch_execz .LBB57_4
; %bb.28:                               ;   in Loop: Header=BB57_5 Depth=1
	s_load_dword s8, s[34:35], 0x0
	v_mov_b32_e32 v67, 0
	v_mov_b32_e32 v68, 0
	s_waitcnt lgkmcnt(0)
	s_cmp_lt_u32 s6, s8
	s_cselect_b32 s8, 12, 18
	s_add_u32 s8, s34, s8
	s_addc_u32 s9, s35, 0
	global_load_ushort v2, v3, s[8:9]
	s_waitcnt vmcnt(0)
	v_mad_u32_u24 v2, v63, v2, v61
	v_and_b32_e32 v2, 63, v2
	v_cmp_gt_u32_e32 vcc, 8, v2
	s_and_saveexec_b64 s[8:9], vcc
	s_cbranch_execz .LBB57_32
; %bb.29:                               ;   in Loop: Header=BB57_5 Depth=1
	v_add_co_u32_e32 v2, vcc, v65, v2
	v_addc_co_u32_e32 v5, vcc, 0, v66, vcc
	v_add_co_u32_e32 v4, vcc, 0xffffff81, v2
	v_addc_co_u32_e32 v5, vcc, -1, v5, vcc
	v_cmp_gt_i64_e32 vcc, s[12:13], v[4:5]
	v_mov_b32_e32 v68, 0
	v_mov_b32_e32 v67, 0
	s_and_saveexec_b64 s[22:23], vcc
	s_cbranch_execz .LBB57_31
; %bb.30:                               ;   in Loop: Header=BB57_5 Depth=1
	v_lshlrev_b64 v[4:5], 2, v[4:5]
	v_mov_b32_e32 v2, s31
	v_add_co_u32_e32 v6, vcc, s30, v4
	v_addc_co_u32_e32 v7, vcc, v2, v5, vcc
	v_mov_b32_e32 v2, s29
	v_add_co_u32_e32 v4, vcc, s28, v4
	v_addc_co_u32_e32 v5, vcc, v2, v5, vcc
	global_load_dword v68, v[4:5], off
	global_load_dword v67, v[6:7], off
.LBB57_31:                              ;   in Loop: Header=BB57_5 Depth=1
	s_or_b64 exec, exec, s[22:23]
.LBB57_32:                              ;   in Loop: Header=BB57_5 Depth=1
	s_or_b64 exec, exec, s[8:9]
	s_mov_b32 s21, s20
	s_mov_b32 s22, s20
	;; [unrolled: 1-line block ×7, first 2 shown]
	v_pk_mov_b32 v[10:11], s[20:21], s[20:21] op_sel:[0,1]
	v_pk_mov_b32 v[16:17], s[26:27], s[26:27] op_sel:[0,1]
	;; [unrolled: 1-line block ×8, first 2 shown]
	s_and_saveexec_b64 s[8:9], s[2:3]
	s_cbranch_execnz .LBB57_40
; %bb.33:                               ;   in Loop: Header=BB57_5 Depth=1
	s_or_b64 exec, exec, s[8:9]
	s_and_saveexec_b64 s[8:9], s[2:3]
	s_cbranch_execnz .LBB57_41
.LBB57_34:                              ;   in Loop: Header=BB57_5 Depth=1
	s_or_b64 exec, exec, s[8:9]
	s_and_saveexec_b64 s[8:9], s[2:3]
	s_cbranch_execnz .LBB57_42
.LBB57_35:                              ;   in Loop: Header=BB57_5 Depth=1
	s_or_b64 exec, exec, s[8:9]
	s_and_saveexec_b64 s[8:9], s[2:3]
	s_cbranch_execnz .LBB57_43
.LBB57_36:                              ;   in Loop: Header=BB57_5 Depth=1
	s_or_b64 exec, exec, s[8:9]
	s_and_saveexec_b64 s[8:9], s[2:3]
	s_cbranch_execnz .LBB57_44
.LBB57_37:                              ;   in Loop: Header=BB57_5 Depth=1
	s_or_b64 exec, exec, s[8:9]
	s_and_saveexec_b64 s[8:9], s[2:3]
	s_cbranch_execnz .LBB57_45
.LBB57_38:                              ;   in Loop: Header=BB57_5 Depth=1
	s_or_b64 exec, exec, s[8:9]
	s_and_saveexec_b64 s[8:9], s[2:3]
	s_cbranch_execnz .LBB57_46
.LBB57_39:                              ;   in Loop: Header=BB57_5 Depth=1
	s_or_b64 exec, exec, s[8:9]
	s_and_saveexec_b64 s[8:9], s[2:3]
	s_cbranch_execz .LBB57_3
	s_branch .LBB57_47
.LBB57_40:                              ;   in Loop: Header=BB57_5 Depth=1
	v_add_co_u32_e32 v4, vcc, v60, v30
	v_addc_co_u32_e32 v5, vcc, v57, v31, vcc
	global_load_dword v2, v[4:5], off
	v_add_co_u32_e32 v4, vcc, v62, v30
	v_addc_co_u32_e32 v5, vcc, v59, v31, vcc
	global_load_dword v10, v[4:5], off
	v_mov_b32_e32 v8, v3
	v_mov_b32_e32 v9, v3
	;; [unrolled: 1-line block ×6, first 2 shown]
	s_waitcnt vmcnt(1)
	v_pk_mov_b32 v[24:25], v[8:9], v[8:9] op_sel:[0,1]
	v_mov_b32_e32 v11, v3
	v_mov_b32_e32 v12, v3
	;; [unrolled: 1-line block ×7, first 2 shown]
	v_pk_mov_b32 v[22:23], v[6:7], v[6:7] op_sel:[0,1]
	v_pk_mov_b32 v[20:21], v[4:5], v[4:5] op_sel:[0,1]
	;; [unrolled: 1-line block ×3, first 2 shown]
	s_or_b64 exec, exec, s[8:9]
	s_and_saveexec_b64 s[8:9], s[2:3]
	s_cbranch_execz .LBB57_34
.LBB57_41:                              ;   in Loop: Header=BB57_5 Depth=1
	v_add_co_u32_e32 v4, vcc, v56, v30
	v_addc_co_u32_e32 v5, vcc, v53, v31, vcc
	global_load_dword v19, v[4:5], off
	v_add_co_u32_e32 v4, vcc, v58, v30
	v_addc_co_u32_e32 v5, vcc, v55, v31, vcc
	global_load_dword v11, v[4:5], off
	s_or_b64 exec, exec, s[8:9]
	s_and_saveexec_b64 s[8:9], s[2:3]
	s_cbranch_execz .LBB57_35
.LBB57_42:                              ;   in Loop: Header=BB57_5 Depth=1
	v_add_co_u32_e32 v4, vcc, v52, v30
	v_addc_co_u32_e32 v5, vcc, v49, v31, vcc
	global_load_dword v20, v[4:5], off
	v_add_co_u32_e32 v4, vcc, v54, v30
	v_addc_co_u32_e32 v5, vcc, v51, v31, vcc
	global_load_dword v12, v[4:5], off
	s_or_b64 exec, exec, s[8:9]
	s_and_saveexec_b64 s[8:9], s[2:3]
	s_cbranch_execz .LBB57_36
.LBB57_43:                              ;   in Loop: Header=BB57_5 Depth=1
	v_add_co_u32_e32 v4, vcc, v48, v30
	v_addc_co_u32_e32 v5, vcc, v45, v31, vcc
	global_load_dword v21, v[4:5], off
	v_add_co_u32_e32 v4, vcc, v50, v30
	v_addc_co_u32_e32 v5, vcc, v47, v31, vcc
	global_load_dword v13, v[4:5], off
	s_or_b64 exec, exec, s[8:9]
	s_and_saveexec_b64 s[8:9], s[2:3]
	s_cbranch_execz .LBB57_37
.LBB57_44:                              ;   in Loop: Header=BB57_5 Depth=1
	v_add_co_u32_e32 v4, vcc, v44, v30
	v_addc_co_u32_e32 v5, vcc, v41, v31, vcc
	global_load_dword v22, v[4:5], off
	v_add_co_u32_e32 v4, vcc, v46, v30
	v_addc_co_u32_e32 v5, vcc, v43, v31, vcc
	global_load_dword v14, v[4:5], off
	s_or_b64 exec, exec, s[8:9]
	s_and_saveexec_b64 s[8:9], s[2:3]
	s_cbranch_execz .LBB57_38
.LBB57_45:                              ;   in Loop: Header=BB57_5 Depth=1
	v_add_co_u32_e32 v4, vcc, v40, v30
	v_addc_co_u32_e32 v5, vcc, v37, v31, vcc
	global_load_dword v23, v[4:5], off
	v_add_co_u32_e32 v4, vcc, v42, v30
	v_addc_co_u32_e32 v5, vcc, v39, v31, vcc
	global_load_dword v15, v[4:5], off
	s_or_b64 exec, exec, s[8:9]
	s_and_saveexec_b64 s[8:9], s[2:3]
	s_cbranch_execz .LBB57_39
.LBB57_46:                              ;   in Loop: Header=BB57_5 Depth=1
	v_add_co_u32_e32 v4, vcc, v36, v30
	v_addc_co_u32_e32 v5, vcc, v33, v31, vcc
	global_load_dword v24, v[4:5], off
	v_add_co_u32_e32 v4, vcc, v38, v30
	v_addc_co_u32_e32 v5, vcc, v35, v31, vcc
	global_load_dword v16, v[4:5], off
	s_or_b64 exec, exec, s[8:9]
	s_and_saveexec_b64 s[8:9], s[2:3]
	s_cbranch_execz .LBB57_3
.LBB57_47:                              ;   in Loop: Header=BB57_5 Depth=1
	v_add_co_u32_e32 v4, vcc, v32, v30
	v_addc_co_u32_e32 v5, vcc, v1, v31, vcc
	global_load_dword v25, v[4:5], off
	v_add_co_u32_e32 v4, vcc, v34, v30
	v_addc_co_u32_e32 v5, vcc, v29, v31, vcc
	global_load_dword v17, v[4:5], off
	s_branch .LBB57_3
.LBB57_48:
                                        ; implicit-def: $vgpr27
	s_branch .LBB57_50
.LBB57_49:
	s_cbranch_execnz .LBB57_81
.LBB57_50:
	v_mov_b32_e32 v27, 0
	s_mov_b32 s20, 0
	s_and_b64 vcc, exec, s[0:1]
	v_mov_b32_e32 v26, v27
	s_cbranch_vccnz .LBB57_81
; %bb.51:
	s_load_dword s0, s[4:5], 0x44
	s_add_u32 s2, s4, 64
	s_addc_u32 s3, s5, 0
	v_bfe_u32 v81, v0, 10, 10
	v_lshlrev_b32_e32 v1, 5, v81
	s_waitcnt lgkmcnt(0)
	s_lshl_b32 s7, s0, 7
	s_add_u32 s8, s10, 0x7f
	s_addc_u32 s9, 0, 0
	s_lshl_b64 s[0:1], s[10:11], 2
	v_mov_b32_e32 v2, s1
	v_add_co_u32_e32 v1, vcc, s0, v1
	v_addc_co_u32_e32 v4, vcc, 0, v2, vcc
	v_add_co_u32_e32 v6, vcc, 4, v1
	v_addc_co_u32_e32 v5, vcc, 0, v4, vcc
	v_add_co_u32_e32 v9, vcc, 8, v1
	v_mul_lo_u32 v7, s14, v5
	v_addc_co_u32_e32 v5, vcc, 0, v4, vcc
	v_add_co_u32_e32 v12, vcc, 12, v1
	v_mul_lo_u32 v10, s14, v5
	;; [unrolled: 3-line block ×5, first 2 shown]
	v_addc_co_u32_e32 v5, vcc, 0, v4, vcc
	v_add_co_u32_e32 v52, vcc, 28, v1
	v_lshlrev_b32_e32 v20, 3, v81
	v_addc_co_u32_e32 v1, vcc, 0, v4, vcc
	v_mul_lo_u32 v54, s14, v1
	v_mov_b32_e32 v1, s11
	v_add_co_u32_e32 v56, vcc, s10, v20
	v_pk_mov_b32 v[2:3], s[16:17], s[16:17] op_sel:[0,1]
	v_addc_co_u32_e32 v57, vcc, 0, v1, vcc
	v_mad_u64_u32 v[22:23], s[0:1], s14, v6, v[2:3]
	v_mad_u64_u32 v[24:25], s[0:1], s14, v9, v[2:3]
	;; [unrolled: 1-line block ×7, first 2 shown]
	v_mul_lo_u32 v58, s15, v56
	v_mul_lo_u32 v59, s14, v57
	v_mad_u64_u32 v[2:3], s[0:1], s14, v56, 0
	v_add3_u32 v3, v3, v59, v58
	v_lshlrev_b64 v[2:3], 2, v[2:3]
	v_mul_lo_u32 v27, s14, v5
	v_mov_b32_e32 v77, s17
	v_add_co_u32_e32 v38, vcc, s16, v2
	v_pk_mov_b32 v[4:5], s[18:19], s[18:19] op_sel:[0,1]
	v_mul_lo_u32 v17, s15, v15
	v_mul_lo_u32 v55, s15, v52
	v_addc_co_u32_e32 v1, vcc, v77, v3, vcc
	v_mad_u64_u32 v[46:47], s[0:1], s14, v15, v[4:5]
	v_mad_u64_u32 v[52:53], s[0:1], s14, v52, v[4:5]
	v_add3_u32 v31, v17, v31, v16
	v_mul_lo_u32 v21, s15, v18
	v_add3_u32 v37, v55, v37, v54
	v_add3_u32 v47, v17, v47, v16
	v_mad_u64_u32 v[48:49], s[0:1], s14, v18, v[4:5]
	v_add3_u32 v53, v55, v53, v54
	v_mov_b32_e32 v16, s19
	v_add_co_u32_e32 v54, vcc, s18, v2
	v_add3_u32 v33, v21, v33, v19
	v_add3_u32 v49, v21, v49, v19
	v_addc_co_u32_e32 v21, vcc, v16, v3, vcc
	v_add_co_u32_e32 v2, vcc, 7, v56
	v_addc_co_u32_e32 v3, vcc, 0, v57, vcc
	v_mad_u64_u32 v[40:41], s[0:1], s14, v6, v[4:5]
	v_mad_u64_u32 v[42:43], s[0:1], s14, v9, v[4:5]
	v_mad_u64_u32 v[44:45], s[0:1], s14, v12, v[4:5]
	v_mad_u64_u32 v[50:51], s[0:1], s14, v26, v[4:5]
	v_mul_lo_u32 v4, s15, v2
	v_mul_lo_u32 v5, s14, v3
	v_mad_u64_u32 v[2:3], s[0:1], s14, v2, 0
	v_add3_u32 v3, v3, v5, v4
	v_add_co_u32_e32 v4, vcc, 6, v56
	v_mul_lo_u32 v8, s15, v6
	v_addc_co_u32_e32 v5, vcc, 0, v57, vcc
	v_add3_u32 v23, v8, v23, v7
	v_add3_u32 v41, v8, v41, v7
	v_mul_lo_u32 v6, s15, v4
	v_mul_lo_u32 v7, s14, v5
	v_mad_u64_u32 v[4:5], s[0:1], s14, v4, 0
	v_add3_u32 v5, v5, v7, v6
	v_add_co_u32_e32 v6, vcc, 5, v56
	v_addc_co_u32_e32 v7, vcc, 0, v57, vcc
	v_mul_lo_u32 v11, s15, v9
	v_mul_lo_u32 v8, s15, v6
	;; [unrolled: 1-line block ×3, first 2 shown]
	v_mad_u64_u32 v[6:7], s[0:1], s14, v6, 0
	v_add3_u32 v7, v7, v9, v8
	v_add_co_u32_e32 v8, vcc, 4, v56
	v_addc_co_u32_e32 v9, vcc, 0, v57, vcc
	v_add3_u32 v25, v11, v25, v10
	v_add3_u32 v43, v11, v43, v10
	v_mul_lo_u32 v10, s15, v8
	v_mul_lo_u32 v11, s14, v9
	v_mad_u64_u32 v[8:9], s[0:1], s14, v8, 0
	v_add3_u32 v9, v9, v11, v10
	v_add_co_u32_e32 v10, vcc, 3, v56
	v_mul_lo_u32 v14, s15, v12
	v_addc_co_u32_e32 v11, vcc, 0, v57, vcc
	v_add3_u32 v29, v14, v29, v13
	v_add3_u32 v45, v14, v45, v13
	v_mul_lo_u32 v12, s15, v10
	v_mul_lo_u32 v13, s14, v11
	v_mad_u64_u32 v[10:11], s[0:1], s14, v10, 0
	v_add3_u32 v11, v11, v13, v12
	v_add_co_u32_e32 v12, vcc, 2, v56
	v_addc_co_u32_e32 v13, vcc, 0, v57, vcc
	v_mul_lo_u32 v14, s15, v12
	v_mul_lo_u32 v15, s14, v13
	v_mad_u64_u32 v[12:13], s[0:1], s14, v12, 0
	v_lshlrev_b64 v[2:3], 2, v[2:3]
	v_add3_u32 v13, v13, v15, v14
	v_pk_mov_b32 v[14:15], s[14:15], s[14:15] op_sel:[0,1]
	v_mul_lo_u32 v39, s15, v26
	v_mad_u64_u32 v[14:15], s[0:1], s14, v56, v[14:15]
	v_add_co_u32_e32 v56, vcc, s16, v2
	v_add3_u32 v35, v39, v35, v27
	v_add3_u32 v51, v39, v51, v27
	v_addc_co_u32_e32 v39, vcc, v77, v3, vcc
	v_add3_u32 v15, v58, v15, v59
	v_add_co_u32_e32 v58, vcc, s18, v2
	v_addc_co_u32_e32 v55, vcc, v16, v3, vcc
	v_lshlrev_b64 v[2:3], 2, v[4:5]
	v_add_co_u32_e32 v60, vcc, s16, v2
	v_addc_co_u32_e32 v57, vcc, v77, v3, vcc
	v_add_co_u32_e32 v62, vcc, s18, v2
	v_addc_co_u32_e32 v59, vcc, v16, v3, vcc
	v_lshlrev_b64 v[2:3], 2, v[6:7]
	v_add_co_u32_e32 v64, vcc, s16, v2
	v_addc_co_u32_e32 v61, vcc, v77, v3, vcc
	v_add_co_u32_e32 v66, vcc, s18, v2
	v_addc_co_u32_e32 v63, vcc, v16, v3, vcc
	v_lshlrev_b64 v[2:3], 2, v[8:9]
	v_add_co_u32_e32 v68, vcc, s16, v2
	v_addc_co_u32_e32 v65, vcc, v77, v3, vcc
	v_add_co_u32_e32 v70, vcc, s18, v2
	v_addc_co_u32_e32 v67, vcc, v16, v3, vcc
	v_lshlrev_b64 v[2:3], 2, v[10:11]
	v_add_co_u32_e32 v72, vcc, s16, v2
	v_addc_co_u32_e32 v69, vcc, v77, v3, vcc
	v_add_co_u32_e32 v74, vcc, s18, v2
	v_addc_co_u32_e32 v71, vcc, v16, v3, vcc
	v_lshlrev_b64 v[2:3], 2, v[12:13]
	v_add_co_u32_e32 v76, vcc, s16, v2
	v_addc_co_u32_e32 v73, vcc, v77, v3, vcc
	v_add_co_u32_e32 v78, vcc, s18, v2
	v_addc_co_u32_e32 v75, vcc, v16, v3, vcc
	v_lshlrev_b64 v[2:3], 2, v[14:15]
	v_add_co_u32_e32 v80, vcc, s16, v2
	v_addc_co_u32_e32 v77, vcc, v77, v3, vcc
	v_mbcnt_lo_u32_b32 v4, -1, 0
	v_add_co_u32_e32 v82, vcc, s18, v2
	v_and_b32_e32 v83, 0x3ff, v0
	s_mul_i32 s0, s15, s7
	s_mul_hi_u32 s1, s14, s7
	v_mbcnt_hi_u32_b32 v4, -1, v4
	v_addc_co_u32_e32 v79, vcc, v16, v3, vcc
	v_add_u32_e32 v2, s33, v83
	v_mov_b32_e32 v3, 0
	s_add_i32 s1, s1, s0
	s_mul_i32 s0, s14, s7
	v_lshlrev_b32_e32 v4, 2, v4
	s_lshl_b64 s[16:17], s[0:1], 2
	v_and_b32_e32 v86, 0x100, v4
	v_mov_b32_e32 v26, v3
	v_mov_b32_e32 v27, v3
	v_lshlrev_b64 v[84:85], 2, v[2:3]
	s_branch .LBB57_55
.LBB57_52:                              ;   in Loop: Header=BB57_55 Depth=1
	s_or_b64 exec, exec, s[18:19]
.LBB57_53:                              ;   in Loop: Header=BB57_55 Depth=1
	s_or_b64 exec, exec, s[0:1]
	v_add_co_u32_e32 v4, vcc, v38, v84
	v_addc_co_u32_e32 v5, vcc, v1, v85, vcc
	v_add_co_u32_e32 v8, vcc, v54, v84
	v_addc_co_u32_e32 v9, vcc, v21, v85, vcc
	global_load_dword v5, v[4:5], off
	s_waitcnt vmcnt(2)
	ds_bpermute_b32 v90, v86, v6 offset:4
	global_load_dword v4, v[8:9], off
	v_add_co_u32_e32 v8, vcc, v22, v84
	v_addc_co_u32_e32 v9, vcc, v23, v85, vcc
	v_add_co_u32_e32 v10, vcc, v40, v84
	v_addc_co_u32_e32 v11, vcc, v41, v85, vcc
	global_load_dword v9, v[8:9], off
	s_nop 0
	global_load_dword v8, v[10:11], off
	v_add_co_u32_e32 v10, vcc, v24, v84
	v_addc_co_u32_e32 v11, vcc, v25, v85, vcc
	global_load_dword v13, v[10:11], off
	v_add_co_u32_e32 v10, vcc, v42, v84
	v_addc_co_u32_e32 v11, vcc, v43, v85, vcc
	;; [unrolled: 3-line block ×11, first 2 shown]
	v_add_co_u32_e32 v88, vcc, v52, v84
	v_addc_co_u32_e32 v89, vcc, v53, v85, vcc
	global_load_dword v88, v[88:89], off
	s_nop 0
	global_load_dword v11, v[10:11], off
	ds_bpermute_b32 v10, v86, v6
	s_waitcnt vmcnt(16)
	ds_bpermute_b32 v89, v86, v2
	s_waitcnt vmcnt(14) lgkmcnt(1)
	v_sub_f32_e32 v4, v4, v10
	ds_bpermute_b32 v10, v86, v2 offset:4
	v_mul_f32_e32 v4, v5, v4
	s_waitcnt lgkmcnt(1)
	v_mul_f32_e32 v4, v4, v89
	ds_bpermute_b32 v89, v86, v6 offset:8
	v_pk_add_f32 v[4:5], v[26:27], v[4:5]
	s_waitcnt vmcnt(12)
	v_sub_f32_e32 v8, v8, v90
	v_mul_f32_e32 v8, v9, v8
	s_waitcnt lgkmcnt(1)
	v_mul_f32_e32 v8, v8, v10
	ds_bpermute_b32 v10, v86, v2 offset:8
	ds_bpermute_b32 v90, v86, v6 offset:12
	v_pk_add_f32 v[4:5], v[4:5], v[8:9]
	ds_bpermute_b32 v8, v86, v6 offset:24
	ds_bpermute_b32 v9, v86, v2 offset:24
	s_waitcnt vmcnt(10) lgkmcnt(4)
	v_sub_f32_e32 v12, v12, v89
	ds_bpermute_b32 v89, v86, v2 offset:12
	v_mul_f32_e32 v12, v13, v12
	s_waitcnt lgkmcnt(4)
	v_mul_f32_e32 v12, v12, v10
	v_pk_add_f32 v[4:5], v[4:5], v[12:13]
	s_waitcnt vmcnt(8) lgkmcnt(3)
	v_sub_f32_e32 v10, v14, v90
	ds_bpermute_b32 v90, v86, v6 offset:16
	v_mul_f32_e32 v10, v15, v10
	s_waitcnt lgkmcnt(1)
	v_mul_f32_e32 v14, v10, v89
	ds_bpermute_b32 v10, v86, v2 offset:16
	ds_bpermute_b32 v89, v86, v6 offset:20
	v_pk_add_f32 v[4:5], v[4:5], v[14:15]
	s_waitcnt vmcnt(6) lgkmcnt(2)
	v_sub_f32_e32 v16, v16, v90
	ds_bpermute_b32 v90, v86, v2 offset:20
	v_mul_f32_e32 v16, v17, v16
	s_waitcnt lgkmcnt(2)
	v_mul_f32_e32 v16, v16, v10
	ds_bpermute_b32 v2, v86, v2 offset:28
	v_pk_add_f32 v[4:5], v[4:5], v[16:17]
	s_waitcnt vmcnt(4) lgkmcnt(2)
	v_sub_f32_e32 v10, v18, v89
	v_mul_f32_e32 v10, v19, v10
	s_waitcnt lgkmcnt(1)
	v_mul_f32_e32 v18, v10, v90
	ds_bpermute_b32 v10, v86, v6 offset:28
	v_pk_add_f32 v[4:5], v[4:5], v[18:19]
	s_waitcnt vmcnt(2)
	v_sub_f32_e32 v8, v87, v8
	v_mul_f32_e32 v6, v7, v8
	v_mul_f32_e32 v6, v6, v9
	v_pk_add_f32 v[4:5], v[4:5], v[6:7]
	s_waitcnt vmcnt(1) lgkmcnt(0)
	v_sub_f32_e32 v6, v88, v10
	s_waitcnt vmcnt(0)
	v_mul_f32_e32 v6, v11, v6
	v_mul_f32_e32 v10, v6, v2
.LBB57_54:                              ;   in Loop: Header=BB57_55 Depth=1
	v_mov_b32_e32 v2, s17
	v_add_co_u32_e32 v22, vcc, s16, v22
	v_addc_co_u32_e32 v23, vcc, v23, v2, vcc
	v_add_co_u32_e32 v24, vcc, s16, v24
	v_addc_co_u32_e32 v25, vcc, v25, v2, vcc
	;; [unrolled: 2-line block ×29, first 2 shown]
	s_add_u32 s10, s10, s7
	v_add_co_u32_e32 v82, vcc, s16, v82
	v_pk_add_f32 v[26:27], v[4:5], v[10:11]
	s_addc_u32 s11, s11, 0
	v_addc_co_u32_e32 v79, vcc, v79, v2, vcc
	v_pk_mov_b32 v[4:5], s[12:13], s[12:13] op_sel:[0,1]
	s_add_u32 s8, s8, s7
	v_cmp_ge_i64_e32 vcc, s[10:11], v[4:5]
	s_addc_u32 s9, s9, 0
	s_cbranch_vccnz .LBB57_81
.LBB57_55:                              ; =>This Inner Loop Header: Depth=1
	v_pk_mov_b32 v[4:5], s[12:13], s[12:13] op_sel:[0,1]
	v_cmp_ge_i64_e32 vcc, s[8:9], v[4:5]
	v_mov_b32_e32 v2, s9
	v_add_co_u32_e64 v87, s[0:1], s8, v20
	v_addc_co_u32_e64 v88, s[0:1], 0, v2, s[0:1]
	s_cbranch_vccz .LBB57_77
; %bb.56:                               ;   in Loop: Header=BB57_55 Depth=1
	s_load_dword s0, s[2:3], 0xc
	v_mov_b32_e32 v89, 0
	v_mov_b32_e32 v90, 0
	s_waitcnt lgkmcnt(0)
	s_and_b32 s0, s0, 0xffff
	v_mad_u32_u24 v2, v81, s0, v83
	v_and_b32_e32 v2, 63, v2
	v_cmp_gt_u32_e32 vcc, 8, v2
	s_and_saveexec_b64 s[0:1], vcc
	s_cbranch_execz .LBB57_60
; %bb.57:                               ;   in Loop: Header=BB57_55 Depth=1
	v_add_co_u32_e32 v2, vcc, v87, v2
	v_addc_co_u32_e32 v5, vcc, 0, v88, vcc
	v_add_co_u32_e32 v4, vcc, 0xffffff81, v2
	v_addc_co_u32_e32 v5, vcc, -1, v5, vcc
	v_cmp_gt_i64_e32 vcc, s[12:13], v[4:5]
	v_mov_b32_e32 v90, 0
	v_mov_b32_e32 v89, 0
	s_and_saveexec_b64 s[18:19], vcc
	s_cbranch_execz .LBB57_59
; %bb.58:                               ;   in Loop: Header=BB57_55 Depth=1
	v_lshlrev_b64 v[4:5], 2, v[4:5]
	v_mov_b32_e32 v2, s31
	v_add_co_u32_e32 v6, vcc, s30, v4
	v_addc_co_u32_e32 v7, vcc, v2, v5, vcc
	v_mov_b32_e32 v2, s29
	v_add_co_u32_e32 v4, vcc, s28, v4
	v_addc_co_u32_e32 v5, vcc, v2, v5, vcc
	global_load_dword v90, v[4:5], off
	global_load_dword v89, v[6:7], off
.LBB57_59:                              ;   in Loop: Header=BB57_55 Depth=1
	s_or_b64 exec, exec, s[18:19]
.LBB57_60:                              ;   in Loop: Header=BB57_55 Depth=1
	s_or_b64 exec, exec, s[0:1]
	v_add_co_u32_e32 v4, vcc, 0xffffff81, v87
	s_mov_b32 s21, s20
	v_addc_co_u32_e32 v5, vcc, -1, v88, vcc
	s_mov_b32 s22, s20
	s_mov_b32 s23, s20
	;; [unrolled: 1-line block ×6, first 2 shown]
	v_pk_mov_b32 v[12:13], s[20:21], s[20:21] op_sel:[0,1]
	v_cmp_gt_i64_e32 vcc, s[12:13], v[4:5]
	v_pk_mov_b32 v[14:15], s[22:23], s[22:23] op_sel:[0,1]
	v_pk_mov_b32 v[16:17], s[24:25], s[24:25] op_sel:[0,1]
	;; [unrolled: 1-line block ×7, first 2 shown]
	s_and_saveexec_b64 s[0:1], vcc
	s_cbranch_execz .LBB57_62
; %bb.61:                               ;   in Loop: Header=BB57_55 Depth=1
	v_add_co_u32_e32 v4, vcc, v38, v84
	v_addc_co_u32_e32 v5, vcc, v1, v85, vcc
	global_load_dword v2, v[4:5], off
	v_add_co_u32_e32 v4, vcc, v54, v84
	v_addc_co_u32_e32 v5, vcc, v21, v85, vcc
	global_load_dword v12, v[4:5], off
	v_mov_b32_e32 v4, v3
	v_mov_b32_e32 v5, v3
	;; [unrolled: 1-line block ×6, first 2 shown]
	s_waitcnt vmcnt(1)
	v_pk_mov_b32 v[10:11], v[8:9], v[8:9] op_sel:[0,1]
	v_mov_b32_e32 v13, v3
	v_mov_b32_e32 v14, v3
	v_mov_b32_e32 v15, v3
	v_mov_b32_e32 v16, v3
	v_mov_b32_e32 v17, v3
	v_mov_b32_e32 v18, v3
	v_mov_b32_e32 v19, v3
	v_pk_mov_b32 v[8:9], v[6:7], v[6:7] op_sel:[0,1]
	v_pk_mov_b32 v[6:7], v[4:5], v[4:5] op_sel:[0,1]
	;; [unrolled: 1-line block ×3, first 2 shown]
.LBB57_62:                              ;   in Loop: Header=BB57_55 Depth=1
	s_or_b64 exec, exec, s[0:1]
	v_add_co_u32_e32 v92, vcc, 0xffffff82, v87
	v_addc_co_u32_e32 v93, vcc, -1, v88, vcc
	v_cmp_gt_i64_e32 vcc, s[12:13], v[92:93]
	s_and_saveexec_b64 s[0:1], vcc
	s_cbranch_execz .LBB57_64
; %bb.63:                               ;   in Loop: Header=BB57_55 Depth=1
	v_add_co_u32_e32 v92, vcc, v80, v84
	v_addc_co_u32_e32 v93, vcc, v77, v85, vcc
	global_load_dword v5, v[92:93], off
	v_add_co_u32_e32 v92, vcc, v82, v84
	v_addc_co_u32_e32 v93, vcc, v79, v85, vcc
	global_load_dword v13, v[92:93], off
.LBB57_64:                              ;   in Loop: Header=BB57_55 Depth=1
	s_or_b64 exec, exec, s[0:1]
	v_add_co_u32_e32 v92, vcc, 0xffffff83, v87
	v_addc_co_u32_e32 v93, vcc, -1, v88, vcc
	v_cmp_gt_i64_e32 vcc, s[12:13], v[92:93]
	s_and_saveexec_b64 s[0:1], vcc
	s_cbranch_execz .LBB57_66
; %bb.65:                               ;   in Loop: Header=BB57_55 Depth=1
	v_add_co_u32_e32 v92, vcc, v76, v84
	v_addc_co_u32_e32 v93, vcc, v73, v85, vcc
	global_load_dword v6, v[92:93], off
	v_add_co_u32_e32 v92, vcc, v78, v84
	v_addc_co_u32_e32 v93, vcc, v75, v85, vcc
	global_load_dword v14, v[92:93], off
.LBB57_66:                              ;   in Loop: Header=BB57_55 Depth=1
	s_or_b64 exec, exec, s[0:1]
	v_add_co_u32_e32 v92, vcc, 0xffffff84, v87
	v_addc_co_u32_e32 v93, vcc, -1, v88, vcc
	v_cmp_gt_i64_e32 vcc, s[12:13], v[92:93]
	s_and_saveexec_b64 s[0:1], vcc
	s_cbranch_execz .LBB57_68
; %bb.67:                               ;   in Loop: Header=BB57_55 Depth=1
	v_add_co_u32_e32 v92, vcc, v72, v84
	v_addc_co_u32_e32 v93, vcc, v69, v85, vcc
	global_load_dword v7, v[92:93], off
	v_add_co_u32_e32 v92, vcc, v74, v84
	v_addc_co_u32_e32 v93, vcc, v71, v85, vcc
	global_load_dword v15, v[92:93], off
.LBB57_68:                              ;   in Loop: Header=BB57_55 Depth=1
	s_or_b64 exec, exec, s[0:1]
	v_add_co_u32_e32 v92, vcc, 0xffffff85, v87
	v_addc_co_u32_e32 v93, vcc, -1, v88, vcc
	v_cmp_gt_i64_e32 vcc, s[12:13], v[92:93]
	s_and_saveexec_b64 s[0:1], vcc
	s_cbranch_execz .LBB57_70
; %bb.69:                               ;   in Loop: Header=BB57_55 Depth=1
	v_add_co_u32_e32 v92, vcc, v68, v84
	v_addc_co_u32_e32 v93, vcc, v65, v85, vcc
	global_load_dword v8, v[92:93], off
	v_add_co_u32_e32 v92, vcc, v70, v84
	v_addc_co_u32_e32 v93, vcc, v67, v85, vcc
	global_load_dword v16, v[92:93], off
.LBB57_70:                              ;   in Loop: Header=BB57_55 Depth=1
	s_or_b64 exec, exec, s[0:1]
	v_add_co_u32_e32 v92, vcc, 0xffffff86, v87
	v_addc_co_u32_e32 v93, vcc, -1, v88, vcc
	v_cmp_gt_i64_e32 vcc, s[12:13], v[92:93]
	s_and_saveexec_b64 s[0:1], vcc
	s_cbranch_execz .LBB57_72
; %bb.71:                               ;   in Loop: Header=BB57_55 Depth=1
	v_add_co_u32_e32 v92, vcc, v64, v84
	v_addc_co_u32_e32 v93, vcc, v61, v85, vcc
	global_load_dword v9, v[92:93], off
	v_add_co_u32_e32 v92, vcc, v66, v84
	v_addc_co_u32_e32 v93, vcc, v63, v85, vcc
	global_load_dword v17, v[92:93], off
.LBB57_72:                              ;   in Loop: Header=BB57_55 Depth=1
	s_or_b64 exec, exec, s[0:1]
	v_add_co_u32_e32 v92, vcc, 0xffffff87, v87
	v_addc_co_u32_e32 v93, vcc, -1, v88, vcc
	v_cmp_gt_i64_e32 vcc, s[12:13], v[92:93]
	s_and_saveexec_b64 s[0:1], vcc
	s_cbranch_execz .LBB57_74
; %bb.73:                               ;   in Loop: Header=BB57_55 Depth=1
	v_add_co_u32_e32 v92, vcc, v60, v84
	v_addc_co_u32_e32 v93, vcc, v57, v85, vcc
	global_load_dword v10, v[92:93], off
	v_add_co_u32_e32 v92, vcc, v62, v84
	v_addc_co_u32_e32 v93, vcc, v59, v85, vcc
	global_load_dword v18, v[92:93], off
.LBB57_74:                              ;   in Loop: Header=BB57_55 Depth=1
	s_or_b64 exec, exec, s[0:1]
	v_add_co_u32_e32 v92, vcc, 0xffffff88, v87
	v_addc_co_u32_e32 v93, vcc, -1, v88, vcc
	v_cmp_gt_i64_e32 vcc, s[12:13], v[92:93]
	s_and_saveexec_b64 s[0:1], vcc
	s_cbranch_execz .LBB57_76
; %bb.75:                               ;   in Loop: Header=BB57_55 Depth=1
	v_add_co_u32_e32 v92, vcc, v56, v84
	v_addc_co_u32_e32 v93, vcc, v39, v85, vcc
	global_load_dword v11, v[92:93], off
	v_add_co_u32_e32 v92, vcc, v58, v84
	v_addc_co_u32_e32 v93, vcc, v55, v85, vcc
	global_load_dword v19, v[92:93], off
.LBB57_76:                              ;   in Loop: Header=BB57_55 Depth=1
	s_or_b64 exec, exec, s[0:1]
	s_waitcnt vmcnt(1)
	ds_bpermute_b32 v2, v86, v90
	ds_bpermute_b32 v91, v86, v90 offset:4
	s_waitcnt vmcnt(0)
	ds_bpermute_b32 v92, v86, v89
	ds_bpermute_b32 v93, v86, v89 offset:4
	v_mov_b32_e32 v95, v7
	s_waitcnt lgkmcnt(3)
	v_sub_f32_e32 v2, v12, v2
	v_mul_f32_e32 v2, v4, v2
	s_waitcnt lgkmcnt(2)
	v_sub_f32_e32 v13, v13, v91
	s_waitcnt lgkmcnt(1)
	v_mul_f32_e32 v12, v2, v92
	ds_bpermute_b32 v2, v86, v90 offset:8
	v_mul_f32_e32 v13, v5, v13
	s_waitcnt lgkmcnt(1)
	v_mul_f32_e32 v92, v13, v93
	ds_bpermute_b32 v13, v86, v89 offset:8
	ds_bpermute_b32 v91, v86, v90 offset:12
	;; [unrolled: 1-line block ×3, first 2 shown]
	s_waitcnt lgkmcnt(3)
	v_sub_f32_e32 v2, v14, v2
	v_mul_f32_e32 v2, v6, v2
	s_waitcnt lgkmcnt(2)
	v_mul_f32_e32 v14, v2, v13
	s_waitcnt lgkmcnt(1)
	v_sub_f32_e32 v2, v15, v91
	ds_bpermute_b32 v13, v86, v90 offset:16
	v_mul_f32_e32 v2, v7, v2
	s_waitcnt lgkmcnt(1)
	v_mul_f32_e32 v94, v2, v93
	ds_bpermute_b32 v2, v86, v89 offset:16
	ds_bpermute_b32 v15, v86, v90 offset:20
	;; [unrolled: 1-line block ×3, first 2 shown]
	s_waitcnt lgkmcnt(3)
	v_sub_f32_e32 v13, v16, v13
	v_mul_f32_e32 v13, v8, v13
	s_waitcnt lgkmcnt(2)
	v_mul_f32_e32 v16, v13, v2
	s_waitcnt lgkmcnt(1)
	v_sub_f32_e32 v2, v17, v15
	v_mul_f32_e32 v2, v9, v2
	s_waitcnt lgkmcnt(0)
	v_mul_f32_e32 v96, v2, v91
	ds_bpermute_b32 v2, v86, v90 offset:24
	v_mov_b32_e32 v15, v6
	ds_bpermute_b32 v6, v86, v89 offset:24
	v_mov_b32_e32 v13, v4
	v_pk_add_f32 v[12:13], v[26:27], v[12:13]
	v_mov_b32_e32 v93, v5
	v_pk_add_f32 v[4:5], v[92:93], v[12:13]
	v_mov_b32_e32 v17, v8
	s_waitcnt lgkmcnt(1)
	v_sub_f32_e32 v2, v18, v2
	ds_bpermute_b32 v8, v86, v90 offset:28
	v_pk_add_f32 v[4:5], v[14:15], v[4:5]
	v_mul_f32_e32 v2, v10, v2
	v_pk_add_f32 v[4:5], v[94:95], v[4:5]
	s_waitcnt lgkmcnt(1)
	v_mul_f32_e32 v6, v2, v6
	ds_bpermute_b32 v2, v86, v89 offset:28
	v_pk_add_f32 v[4:5], v[16:17], v[4:5]
	v_mov_b32_e32 v97, v9
	v_pk_add_f32 v[4:5], v[96:97], v[4:5]
	v_mov_b32_e32 v7, v10
	v_pk_add_f32 v[4:5], v[6:7], v[4:5]
	s_waitcnt lgkmcnt(1)
	v_sub_f32_e32 v6, v19, v8
	v_mul_f32_e32 v6, v11, v6
	s_waitcnt lgkmcnt(0)
	v_mul_f32_e32 v10, v6, v2
	s_branch .LBB57_54
.LBB57_77:                              ;   in Loop: Header=BB57_55 Depth=1
                                        ; implicit-def: $vgpr4_vgpr5
                                        ; implicit-def: $vgpr10_vgpr11
	s_cbranch_execz .LBB57_54
; %bb.78:                               ;   in Loop: Header=BB57_55 Depth=1
	s_load_dword s0, s[2:3], 0x0
	v_mov_b32_e32 v2, 0
	v_mov_b32_e32 v6, 0
	s_waitcnt lgkmcnt(0)
	s_cmp_lt_u32 s6, s0
	s_cselect_b32 s0, 12, 18
	s_add_u32 s0, s2, s0
	s_addc_u32 s1, s3, 0
	global_load_ushort v4, v3, s[0:1]
	s_waitcnt vmcnt(0)
	v_mad_u32_u24 v4, v81, v4, v83
	v_and_b32_e32 v4, 63, v4
	v_cmp_gt_u32_e32 vcc, 8, v4
	s_and_saveexec_b64 s[0:1], vcc
	s_cbranch_execz .LBB57_53
; %bb.79:                               ;   in Loop: Header=BB57_55 Depth=1
	v_add_co_u32_e32 v2, vcc, v87, v4
	v_addc_co_u32_e32 v5, vcc, 0, v88, vcc
	v_add_co_u32_e32 v4, vcc, 0xffffff81, v2
	v_addc_co_u32_e32 v5, vcc, -1, v5, vcc
	v_cmp_gt_i64_e32 vcc, s[12:13], v[4:5]
	v_mov_b32_e32 v6, 0
	v_mov_b32_e32 v2, 0
	s_and_saveexec_b64 s[18:19], vcc
	s_cbranch_execz .LBB57_52
; %bb.80:                               ;   in Loop: Header=BB57_55 Depth=1
	v_lshlrev_b64 v[4:5], 2, v[4:5]
	v_mov_b32_e32 v2, s31
	v_add_co_u32_e32 v8, vcc, s30, v4
	v_addc_co_u32_e32 v9, vcc, v2, v5, vcc
	v_mov_b32_e32 v2, s29
	v_add_co_u32_e32 v4, vcc, s28, v4
	v_addc_co_u32_e32 v5, vcc, v2, v5, vcc
	global_load_dword v6, v[4:5], off
	global_load_dword v2, v[8:9], off
	s_branch .LBB57_52
.LBB57_81:
	v_bfe_u32 v6, v0, 10, 10
	v_and_b32_e32 v0, 0x3ff, v0
	s_movk_i32 s0, 0x41
	v_mad_u32_u24 v1, v6, s0, v0
	v_lshl_add_u32 v1, v1, 2, 0
	v_lshrrev_b32_e32 v7, 6, v0
	ds_write_b32 v1, v26
	ds_write_b32 v1, v27 offset:4160
	v_add_u32_e32 v1, v7, v6
	s_mov_b32 s7, 0
	v_cmp_gt_u32_e32 vcc, 64, v1
	s_waitcnt lgkmcnt(0)
	s_barrier
	s_and_saveexec_b64 s[0:1], vcc
	s_cbranch_execz .LBB57_91
; %bb.82:
	v_and_b32_e32 v1, 63, v0
	v_cmp_gt_u32_e64 s[0:1], 16, v1
	v_mul_u32_u24_e32 v12, 0x41, v1
	v_mbcnt_lo_u32_b32 v1, -1, 0
	v_mbcnt_hi_u32_b32 v1, -1, v1
	v_and_b32_e32 v2, 64, v1
	v_add_u32_e32 v2, 64, v2
	v_cmp_eq_u32_e64 s[2:3], 0, v0
	v_xor_b32_e32 v0, 8, v1
	v_cmp_lt_i32_e32 vcc, v0, v2
	v_cndmask_b32_e32 v0, v1, v0, vcc
	v_lshlrev_b32_e32 v8, 2, v0
	v_xor_b32_e32 v0, 4, v1
	v_cmp_lt_i32_e32 vcc, v0, v2
	v_cndmask_b32_e32 v0, v1, v0, vcc
	v_lshlrev_b32_e32 v9, 2, v0
	;; [unrolled: 4-line block ×3, first 2 shown]
	v_xor_b32_e32 v0, 1, v1
	s_load_dwordx4 s[8:11], s[4:5], 0x30
	v_cmp_lt_i32_e32 vcc, v0, v2
	v_cndmask_b32_e32 v0, v1, v0, vcc
	s_lshl_b64 s[12:13], s[6:7], 6
	v_lshlrev_b32_e32 v11, 2, v0
	v_add_co_u32_e32 v0, vcc, v7, v6
	v_addc_co_u32_e64 v1, s[6:7], 0, 0, vcc
	v_mov_b32_e32 v3, s13
	v_add_co_u32_e32 v2, vcc, s12, v0
	v_addc_co_u32_e32 v3, vcc, v1, v3, vcc
	s_waitcnt lgkmcnt(0)
	s_cmp_lg_u64 s[8:9], 0
	v_lshlrev_b64 v[4:5], 2, v[2:3]
	s_cselect_b64 s[4:5], -1, 0
	s_cmp_lg_u64 s[10:11], 0
	v_mov_b32_e32 v3, s11
	v_add_co_u32_e32 v2, vcc, s10, v4
	v_add3_u32 v6, v12, v6, v7
	v_addc_co_u32_e32 v3, vcc, v3, v5, vcc
	v_lshl_add_u32 v12, v6, 2, 0
	v_cndmask_b32_e64 v6, 0, 1, s[4:5]
	s_cselect_b64 s[6:7], -1, 0
	v_mov_b32_e32 v13, s9
	v_add_co_u32_e32 v4, vcc, s8, v4
	v_cmp_ne_u32_e64 s[4:5], 1, v6
	v_cndmask_b32_e64 v6, 0, 1, s[6:7]
	s_mov_b64 s[16:17], 0
	v_addc_co_u32_e32 v5, vcc, v13, v5, vcc
	v_mov_b32_e32 v13, s13
	v_cmp_ne_u32_e64 s[6:7], 1, v6
                                        ; implicit-def: $vgpr6
	s_branch .LBB57_84
.LBB57_83:                              ;   in Loop: Header=BB57_84 Depth=1
	s_or_b64 exec, exec, s[8:9]
	v_add_co_u32_e32 v0, vcc, 16, v0
	v_addc_co_u32_e32 v1, vcc, 0, v1, vcc
	v_add_co_u32_e32 v2, vcc, 64, v2
	v_addc_co_u32_e32 v3, vcc, 0, v3, vcc
	v_add_co_u32_e32 v4, vcc, 64, v4
	v_add_u32_e32 v14, -16, v0
	v_addc_co_u32_e32 v5, vcc, 0, v5, vcc
	v_cmp_lt_u32_e32 vcc, 47, v14
	s_or_b64 s[16:17], vcc, s[16:17]
	v_add_u32_e32 v12, 64, v12
	s_andn2_b64 exec, exec, s[16:17]
	s_cbranch_execz .LBB57_91
.LBB57_84:                              ; =>This Inner Loop Header: Depth=1
	s_and_saveexec_b64 s[8:9], s[0:1]
	s_cbranch_execz .LBB57_86
; %bb.85:                               ;   in Loop: Header=BB57_84 Depth=1
	ds_read_b32 v7, v12
	ds_read_b32 v6, v12 offset:4160
.LBB57_86:                              ;   in Loop: Header=BB57_84 Depth=1
	s_or_b64 exec, exec, s[8:9]
	s_waitcnt lgkmcnt(1)
	ds_bpermute_b32 v15, v8, v7
	s_waitcnt lgkmcnt(1)
	ds_bpermute_b32 v14, v8, v6
	v_add_co_u32_e32 v16, vcc, s12, v0
	v_addc_co_u32_e32 v17, vcc, v13, v1, vcc
	s_waitcnt lgkmcnt(0)
	v_pk_add_f32 v[6:7], v[6:7], v[14:15]
	ds_bpermute_b32 v15, v9, v7
	ds_bpermute_b32 v14, v9, v6
	v_cmp_gt_i64_e32 vcc, s[14:15], v[16:17]
	s_and_b64 s[10:11], s[2:3], vcc
	s_waitcnt lgkmcnt(0)
	v_pk_add_f32 v[6:7], v[6:7], v[14:15]
	ds_bpermute_b32 v15, v10, v7
	ds_bpermute_b32 v14, v10, v6
	s_waitcnt lgkmcnt(0)
	v_pk_add_f32 v[6:7], v[6:7], v[14:15]
	ds_bpermute_b32 v15, v11, v7
	ds_bpermute_b32 v14, v11, v6
	s_waitcnt lgkmcnt(0)
	v_pk_add_f32 v[6:7], v[6:7], v[14:15]
	s_and_saveexec_b64 s[8:9], s[10:11]
	s_cbranch_execz .LBB57_83
; %bb.87:                               ;   in Loop: Header=BB57_84 Depth=1
	s_and_b64 vcc, exec, s[4:5]
	s_cbranch_vccnz .LBB57_89
; %bb.88:                               ;   in Loop: Header=BB57_84 Depth=1
	global_store_dword v[4:5], v7, off
.LBB57_89:                              ;   in Loop: Header=BB57_84 Depth=1
	s_and_b64 vcc, exec, s[6:7]
	s_cbranch_vccnz .LBB57_83
; %bb.90:                               ;   in Loop: Header=BB57_84 Depth=1
	global_store_dword v[2:3], v6, off
	s_branch .LBB57_83
.LBB57_91:
	s_endpgm
	.section	.rodata,"a",@progbits
	.p2align	6, 0x0
	.amdhsa_kernel _ZN2at6native12_GLOBAL__N_135GammaBetaBackwardCUDAKernelTemplateIffLj64ELj16ELj128ELb0ELb0ELb0EEEvllPKT_S5_PKT0_S8_PS3_S9_
		.amdhsa_group_segment_fixed_size 0
		.amdhsa_private_segment_fixed_size 0
		.amdhsa_kernarg_size 320
		.amdhsa_user_sgpr_count 6
		.amdhsa_user_sgpr_private_segment_buffer 1
		.amdhsa_user_sgpr_dispatch_ptr 0
		.amdhsa_user_sgpr_queue_ptr 0
		.amdhsa_user_sgpr_kernarg_segment_ptr 1
		.amdhsa_user_sgpr_dispatch_id 0
		.amdhsa_user_sgpr_flat_scratch_init 0
		.amdhsa_user_sgpr_kernarg_preload_length 0
		.amdhsa_user_sgpr_kernarg_preload_offset 0
		.amdhsa_user_sgpr_private_segment_size 0
		.amdhsa_uses_dynamic_stack 0
		.amdhsa_system_sgpr_private_segment_wavefront_offset 0
		.amdhsa_system_sgpr_workgroup_id_x 1
		.amdhsa_system_sgpr_workgroup_id_y 1
		.amdhsa_system_sgpr_workgroup_id_z 0
		.amdhsa_system_sgpr_workgroup_info 0
		.amdhsa_system_vgpr_workitem_id 1
		.amdhsa_next_free_vgpr 98
		.amdhsa_next_free_sgpr 44
		.amdhsa_accum_offset 100
		.amdhsa_reserve_vcc 1
		.amdhsa_reserve_flat_scratch 0
		.amdhsa_float_round_mode_32 0
		.amdhsa_float_round_mode_16_64 0
		.amdhsa_float_denorm_mode_32 3
		.amdhsa_float_denorm_mode_16_64 3
		.amdhsa_dx10_clamp 1
		.amdhsa_ieee_mode 1
		.amdhsa_fp16_overflow 0
		.amdhsa_tg_split 0
		.amdhsa_exception_fp_ieee_invalid_op 0
		.amdhsa_exception_fp_denorm_src 0
		.amdhsa_exception_fp_ieee_div_zero 0
		.amdhsa_exception_fp_ieee_overflow 0
		.amdhsa_exception_fp_ieee_underflow 0
		.amdhsa_exception_fp_ieee_inexact 0
		.amdhsa_exception_int_div_zero 0
	.end_amdhsa_kernel
	.section	.text._ZN2at6native12_GLOBAL__N_135GammaBetaBackwardCUDAKernelTemplateIffLj64ELj16ELj128ELb0ELb0ELb0EEEvllPKT_S5_PKT0_S8_PS3_S9_,"axG",@progbits,_ZN2at6native12_GLOBAL__N_135GammaBetaBackwardCUDAKernelTemplateIffLj64ELj16ELj128ELb0ELb0ELb0EEEvllPKT_S5_PKT0_S8_PS3_S9_,comdat
.Lfunc_end57:
	.size	_ZN2at6native12_GLOBAL__N_135GammaBetaBackwardCUDAKernelTemplateIffLj64ELj16ELj128ELb0ELb0ELb0EEEvllPKT_S5_PKT0_S8_PS3_S9_, .Lfunc_end57-_ZN2at6native12_GLOBAL__N_135GammaBetaBackwardCUDAKernelTemplateIffLj64ELj16ELj128ELb0ELb0ELb0EEEvllPKT_S5_PKT0_S8_PS3_S9_
                                        ; -- End function
	.section	.AMDGPU.csdata,"",@progbits
; Kernel info:
; codeLenInByte = 7344
; NumSgprs: 48
; NumVgprs: 98
; NumAgprs: 0
; TotalNumVgprs: 98
; ScratchSize: 0
; MemoryBound: 0
; FloatMode: 240
; IeeeMode: 1
; LDSByteSize: 0 bytes/workgroup (compile time only)
; SGPRBlocks: 5
; VGPRBlocks: 12
; NumSGPRsForWavesPerEU: 48
; NumVGPRsForWavesPerEU: 98
; AccumOffset: 100
; Occupancy: 4
; WaveLimiterHint : 0
; COMPUTE_PGM_RSRC2:SCRATCH_EN: 0
; COMPUTE_PGM_RSRC2:USER_SGPR: 6
; COMPUTE_PGM_RSRC2:TRAP_HANDLER: 0
; COMPUTE_PGM_RSRC2:TGID_X_EN: 1
; COMPUTE_PGM_RSRC2:TGID_Y_EN: 1
; COMPUTE_PGM_RSRC2:TGID_Z_EN: 0
; COMPUTE_PGM_RSRC2:TIDIG_COMP_CNT: 1
; COMPUTE_PGM_RSRC3_GFX90A:ACCUM_OFFSET: 24
; COMPUTE_PGM_RSRC3_GFX90A:TG_SPLIT: 0
	.section	.text._ZN2at6native12_GLOBAL__N_135GammaBetaBackwardCUDAKernelTemplateIffLj64ELj16ELj256ELb0ELb1ELb0EEEvllPKT_S5_PKT0_S8_PS3_S9_,"axG",@progbits,_ZN2at6native12_GLOBAL__N_135GammaBetaBackwardCUDAKernelTemplateIffLj64ELj16ELj256ELb0ELb1ELb0EEEvllPKT_S5_PKT0_S8_PS3_S9_,comdat
	.globl	_ZN2at6native12_GLOBAL__N_135GammaBetaBackwardCUDAKernelTemplateIffLj64ELj16ELj256ELb0ELb1ELb0EEEvllPKT_S5_PKT0_S8_PS3_S9_ ; -- Begin function _ZN2at6native12_GLOBAL__N_135GammaBetaBackwardCUDAKernelTemplateIffLj64ELj16ELj256ELb0ELb1ELb0EEEvllPKT_S5_PKT0_S8_PS3_S9_
	.p2align	8
	.type	_ZN2at6native12_GLOBAL__N_135GammaBetaBackwardCUDAKernelTemplateIffLj64ELj16ELj256ELb0ELb1ELb0EEEvllPKT_S5_PKT0_S8_PS3_S9_,@function
_ZN2at6native12_GLOBAL__N_135GammaBetaBackwardCUDAKernelTemplateIffLj64ELj16ELj256ELb0ELb1ELb0EEEvllPKT_S5_PKT0_S8_PS3_S9_: ; @_ZN2at6native12_GLOBAL__N_135GammaBetaBackwardCUDAKernelTemplateIffLj64ELj16ELj256ELb0ELb1ELb0EEEvllPKT_S5_PKT0_S8_PS3_S9_
; %bb.0:
	s_load_dwordx4 s[20:23], s[4:5], 0x0
	s_lshl_b32 s2, s7, 8
	s_mov_b32 s3, 0
	v_bfe_u32 v22, v0, 10, 10
	s_waitcnt lgkmcnt(0)
	v_pk_mov_b32 v[2:3], s[20:21], s[20:21] op_sel:[0,1]
	v_cmp_lt_i64_e32 vcc, s[2:3], v[2:3]
	s_cbranch_vccnz .LBB58_2
; %bb.1:
	s_mov_b64 s[0:1], 0
	v_bfe_u32 v4, v0, 10, 10
	s_branch .LBB58_3
.LBB58_2:
	s_mov_b64 s[0:1], -1
                                        ; implicit-def: $vgpr4
.LBB58_3:
	s_load_dwordx4 s[16:19], s[4:5], 0x30
	v_and_b32_e32 v20, 0x3ff, v0
	s_andn2_b64 vcc, exec, s[0:1]
	v_mov_b32_e32 v7, s3
	v_mbcnt_lo_u32_b32 v21, -1, 0
	v_mov_b32_e32 v6, s3
	s_cbranch_vccnz .LBB58_11
; %bb.4:
	s_load_dword s0, s[4:5], 0x4c
	s_load_dword s7, s[4:5], 0x44
	s_load_dwordx8 s[8:15], s[4:5], 0x10
	v_mbcnt_hi_u32_b32 v2, -1, v21
	v_lshlrev_b32_e32 v0, 4, v22
	s_waitcnt lgkmcnt(0)
	s_and_b32 s0, s0, 0xffff
	v_lshlrev_b32_e32 v2, 2, v2
	v_mad_u32_u24 v1, v22, s0, v20
	v_and_b32_e32 v23, 0x100, v2
	v_mov_b32_e32 v2, s3
	v_add_co_u32_e32 v4, vcc, s2, v0
	v_and_b32_e32 v1, 63, v1
	v_addc_co_u32_e32 v5, vcc, 0, v2, vcc
	v_add_co_u32_e32 v0, vcc, v4, v1
	v_cmp_gt_u32_e64 s[0:1], 16, v1
	s_lshl_b32 s4, s7, 8
	v_addc_co_u32_e32 v1, vcc, 0, v5, vcc
	v_mul_lo_u32 v8, s23, v4
	v_mul_lo_u32 v9, s22, v5
	v_mad_u64_u32 v[4:5], s[26:27], s22, v4, 0
	v_mov_b32_e32 v7, 0
	v_lshl_add_u32 v6, s6, 6, v20
	v_add3_u32 v5, v5, v9, v8
	s_mul_i32 s7, s23, s4
	s_mul_hi_u32 s26, s22, s4
	s_mov_b32 s5, 0
	v_lshlrev_b64 v[4:5], 2, v[4:5]
	v_lshlrev_b64 v[8:9], 2, v[6:7]
	s_add_i32 s27, s26, s7
	s_mul_i32 s26, s22, s4
	s_lshl_b64 s[24:25], s[4:5], 2
	v_add_co_u32_e32 v4, vcc, v4, v8
	s_lshl_b64 s[26:27], s[26:27], 2
	s_lshl_b64 s[22:23], s[22:23], 2
	v_or_b32_e32 v24, 4, v23
	v_or_b32_e32 v25, 8, v23
	;; [unrolled: 1-line block ×15, first 2 shown]
	v_lshlrev_b64 v[2:3], 2, v[0:1]
	v_addc_co_u32_e32 v5, vcc, v5, v9, vcc
	v_mov_b32_e32 v39, s9
	v_mov_b32_e32 v40, s11
	;; [unrolled: 1-line block ×7, first 2 shown]
	s_branch .LBB58_7
.LBB58_5:                               ;   in Loop: Header=BB58_7 Depth=1
	s_or_b64 exec, exec, s[30:31]
.LBB58_6:                               ;   in Loop: Header=BB58_7 Depth=1
	s_or_b64 exec, exec, s[28:29]
	v_add_co_u32_e32 v10, vcc, s8, v4
	v_addc_co_u32_e32 v11, vcc, v39, v5, vcc
	v_add_co_u32_e32 v12, vcc, s10, v4
	v_addc_co_u32_e32 v13, vcc, v40, v5, vcc
	global_load_dword v8, v[12:13], off
	global_load_dword v9, v[10:11], off
	v_add_co_u32_e32 v14, vcc, s22, v10
	v_addc_co_u32_e32 v15, vcc, v11, v41, vcc
	v_add_co_u32_e32 v12, vcc, s22, v12
	v_addc_co_u32_e32 v13, vcc, v13, v41, vcc
	global_load_dword v11, v[14:15], off
	global_load_dword v10, v[12:13], off
	;; [unrolled: 6-line block ×4, first 2 shown]
	v_add_co_u32_e32 v48, vcc, s22, v16
	v_addc_co_u32_e32 v49, vcc, v17, v41, vcc
	global_load_dword v16, v[48:49], off
	v_add_co_u32_e32 v18, vcc, s22, v18
	v_addc_co_u32_e32 v19, vcc, v19, v41, vcc
	global_load_dword v17, v[18:19], off
	s_waitcnt vmcnt(11)
	ds_bpermute_b32 v52, v23, v46
	s_waitcnt vmcnt(10)
	ds_bpermute_b32 v47, v23, v45
	v_add_co_u32_e32 v18, vcc, s22, v18
	v_addc_co_u32_e32 v19, vcc, v19, v41, vcc
	v_add_co_u32_e32 v48, vcc, s22, v48
	v_addc_co_u32_e32 v49, vcc, v49, v41, vcc
	global_load_dword v56, v[48:49], off
	v_add_co_u32_e32 v48, vcc, s22, v48
	v_addc_co_u32_e32 v49, vcc, v49, v41, vcc
	global_load_dword v57, v[48:49], off
	;; [unrolled: 3-line block ×3, first 2 shown]
	v_add_co_u32_e32 v48, vcc, s22, v48
	v_addc_co_u32_e32 v49, vcc, v49, v41, vcc
	v_add_co_u32_e32 v50, vcc, s22, v48
	v_addc_co_u32_e32 v51, vcc, v49, v41, vcc
	global_load_dword v59, v[48:49], off
	v_add_co_u32_e32 v48, vcc, s22, v50
	v_addc_co_u32_e32 v49, vcc, v51, v41, vcc
	global_load_dword v60, v[50:51], off
	v_add_co_u32_e32 v50, vcc, s22, v18
	ds_bpermute_b32 v53, v24, v45
	v_addc_co_u32_e32 v51, vcc, v19, v41, vcc
	s_waitcnt vmcnt(14) lgkmcnt(2)
	v_sub_f32_e32 v8, v8, v52
	s_waitcnt vmcnt(13)
	v_mul_f32_e32 v8, v9, v8
	s_waitcnt lgkmcnt(1)
	v_mul_f32_e32 v8, v8, v47
	ds_bpermute_b32 v47, v24, v46
	ds_bpermute_b32 v52, v25, v46
	global_load_dword v19, v[18:19], off
	v_pk_add_f32 v[6:7], v[6:7], v[8:9]
	global_load_dword v61, v[48:49], off
	ds_bpermute_b32 v18, v27, v46
	s_add_u32 s2, s2, s4
	s_addc_u32 s3, s3, 0
	s_waitcnt vmcnt(13) lgkmcnt(2)
	v_sub_f32_e32 v10, v10, v47
	ds_bpermute_b32 v47, v25, v45
	v_mul_f32_e32 v10, v11, v10
	v_mul_f32_e32 v10, v10, v53
	v_pk_add_f32 v[6:7], v[6:7], v[10:11]
	s_waitcnt vmcnt(12) lgkmcnt(2)
	v_sub_f32_e32 v12, v12, v52
	s_waitcnt vmcnt(11)
	v_mul_f32_e32 v12, v13, v12
	s_waitcnt lgkmcnt(0)
	v_mul_f32_e32 v12, v12, v47
	ds_bpermute_b32 v47, v26, v46
	v_add_co_u32_e32 v52, vcc, s22, v48
	ds_bpermute_b32 v48, v26, v45
	v_addc_co_u32_e32 v53, vcc, v49, v41, vcc
	s_waitcnt vmcnt(10) lgkmcnt(1)
	v_sub_f32_e32 v14, v14, v47
	s_waitcnt vmcnt(9)
	v_mul_f32_e32 v14, v15, v14
	s_waitcnt lgkmcnt(0)
	v_mul_f32_e32 v14, v14, v48
	v_add_co_u32_e32 v48, vcc, s22, v50
	v_addc_co_u32_e32 v49, vcc, v51, v41, vcc
	global_load_dword v51, v[50:51], off
	v_add_co_u32_e32 v54, vcc, s22, v48
	v_addc_co_u32_e32 v55, vcc, v49, v41, vcc
	global_load_dword v49, v[48:49], off
	;; [unrolled: 3-line block ×4, first 2 shown]
	v_pk_add_f32 v[6:7], v[6:7], v[12:13]
	v_add_co_u32_e32 v12, vcc, s22, v10
	v_addc_co_u32_e32 v13, vcc, v11, v41, vcc
	global_load_dword v11, v[10:11], off
	s_waitcnt vmcnt(13)
	v_sub_f32_e32 v16, v16, v18
	ds_bpermute_b32 v18, v27, v45
	s_waitcnt vmcnt(12)
	v_mul_f32_e32 v16, v17, v16
	v_pk_add_f32 v[6:7], v[6:7], v[14:15]
	v_add_co_u32_e32 v14, vcc, s22, v52
	s_waitcnt lgkmcnt(0)
	v_mul_f32_e32 v16, v16, v18
	v_addc_co_u32_e32 v15, vcc, v53, v41, vcc
	global_load_dword v47, v[52:53], off
	v_pk_add_f32 v[6:7], v[6:7], v[16:17]
	v_add_co_u32_e32 v16, vcc, s22, v12
	v_addc_co_u32_e32 v17, vcc, v13, v41, vcc
	v_add_co_u32_e32 v52, vcc, s22, v14
	v_addc_co_u32_e32 v53, vcc, v15, v41, vcc
	global_load_dword v62, v[14:15], off
	v_add_co_u32_e32 v14, vcc, s22, v16
	v_addc_co_u32_e32 v15, vcc, v17, v41, vcc
	global_load_dword v17, v[16:17], off
	ds_bpermute_b32 v10, v28, v46
	ds_bpermute_b32 v8, v28, v45
	global_load_dword v13, v[12:13], off
	ds_bpermute_b32 v12, v33, v45
	ds_bpermute_b32 v16, v34, v45
	s_waitcnt vmcnt(15) lgkmcnt(3)
	v_sub_f32_e32 v10, v56, v10
	s_waitcnt vmcnt(10)
	v_mul_f32_e32 v10, v19, v10
	s_waitcnt lgkmcnt(2)
	v_mul_f32_e32 v18, v10, v8
	ds_bpermute_b32 v10, v29, v46
	ds_bpermute_b32 v8, v29, v45
	v_add_co_u32_e32 v56, vcc, s22, v52
	v_pk_add_f32 v[6:7], v[6:7], v[18:19]
	s_waitcnt lgkmcnt(1)
	v_sub_f32_e32 v10, v57, v10
	v_addc_co_u32_e32 v57, vcc, v53, v41, vcc
	global_load_dword v63, v[56:57], off
	s_waitcnt vmcnt(9)
	v_mul_f32_e32 v10, v51, v10
	s_waitcnt lgkmcnt(0)
	v_mul_f32_e32 v50, v10, v8
	ds_bpermute_b32 v8, v30, v46
	ds_bpermute_b32 v10, v30, v45
	v_pk_add_f32 v[6:7], v[6:7], v[50:51]
	s_waitcnt lgkmcnt(1)
	v_sub_f32_e32 v8, v58, v8
	s_waitcnt vmcnt(8)
	v_mul_f32_e32 v8, v49, v8
	s_waitcnt lgkmcnt(0)
	v_mul_f32_e32 v48, v8, v10
	ds_bpermute_b32 v8, v31, v46
	ds_bpermute_b32 v10, v31, v45
	v_pk_add_f32 v[6:7], v[6:7], v[48:49]
	s_waitcnt lgkmcnt(1)
	v_sub_f32_e32 v8, v59, v8
	;; [unrolled: 9-line block ×3, first 2 shown]
	s_waitcnt vmcnt(6)
	v_mul_f32_e32 v8, v9, v8
	s_waitcnt lgkmcnt(0)
	v_mul_f32_e32 v8, v8, v10
	ds_bpermute_b32 v10, v33, v46
	global_load_dword v60, v[52:53], off
	v_add_co_u32_e32 v52, vcc, s22, v56
	v_addc_co_u32_e32 v53, vcc, v57, v41, vcc
	s_waitcnt lgkmcnt(0)
	v_sub_f32_e32 v10, v61, v10
	s_waitcnt vmcnt(6)
	v_mul_f32_e32 v10, v11, v10
	v_mul_f32_e32 v10, v10, v12
	ds_bpermute_b32 v12, v34, v46
	v_add_co_u32_e32 v56, vcc, s22, v14
	v_addc_co_u32_e32 v57, vcc, v15, v41, vcc
	global_load_dword v15, v[14:15], off
	s_waitcnt vmcnt(6) lgkmcnt(0)
	v_sub_f32_e32 v12, v47, v12
	ds_bpermute_b32 v47, v35, v46
	v_add_co_u32_e32 v58, vcc, s22, v56
	v_addc_co_u32_e32 v59, vcc, v57, v41, vcc
	s_waitcnt vmcnt(5) lgkmcnt(0)
	v_sub_f32_e32 v47, v62, v47
	s_waitcnt vmcnt(4)
	v_mul_f32_e32 v14, v17, v47
	global_load_dword v61, v[56:57], off
	global_load_dword v62, v[52:53], off
	;; [unrolled: 1-line block ×3, first 2 shown]
	s_waitcnt vmcnt(6)
	v_mul_f32_e32 v12, v13, v12
	v_mul_f32_e32 v12, v12, v16
	ds_bpermute_b32 v16, v35, v45
	ds_bpermute_b32 v52, v36, v45
	v_pk_add_f32 v[6:7], v[6:7], v[8:9]
	ds_bpermute_b32 v8, v38, v46
	ds_bpermute_b32 v53, v37, v45
	s_waitcnt lgkmcnt(3)
	v_mul_f32_e32 v16, v14, v16
	ds_bpermute_b32 v14, v36, v46
	ds_bpermute_b32 v9, v38, v45
	v_add_co_u32_e32 v2, vcc, s24, v2
	v_addc_co_u32_e32 v3, vcc, v3, v42, vcc
	v_pk_add_f32 v[6:7], v[6:7], v[10:11]
	v_add_co_u32_e32 v0, vcc, s4, v0
	v_pk_add_f32 v[6:7], v[6:7], v[12:13]
	v_addc_co_u32_e32 v1, vcc, v1, v43, vcc
	v_pk_add_f32 v[6:7], v[6:7], v[16:17]
	v_add_co_u32_e32 v4, vcc, s26, v4
	v_addc_co_u32_e32 v5, vcc, v5, v44, vcc
	s_waitcnt vmcnt(4) lgkmcnt(1)
	v_sub_f32_e32 v14, v60, v14
	s_waitcnt vmcnt(3)
	v_mul_f32_e32 v14, v15, v14
	v_mul_f32_e32 v14, v14, v52
	ds_bpermute_b32 v52, v37, v46
	v_pk_add_f32 v[6:7], v[6:7], v[14:15]
	s_waitcnt lgkmcnt(0)
	v_sub_f32_e32 v52, v63, v52
	s_waitcnt vmcnt(1)
	v_sub_f32_e32 v8, v62, v8
	v_mul_f32_e32 v52, v61, v52
	s_waitcnt vmcnt(0)
	v_mul_f32_e32 v8, v47, v8
	v_mul_f32_e32 v60, v52, v53
	;; [unrolled: 1-line block ×3, first 2 shown]
	v_pk_mov_b32 v[8:9], s[20:21], s[20:21] op_sel:[0,1]
	v_pk_add_f32 v[6:7], v[6:7], v[60:61]
	v_cmp_lt_i64_e32 vcc, s[2:3], v[8:9]
	v_pk_add_f32 v[6:7], v[6:7], v[46:47]
	s_cbranch_vccz .LBB58_10
.LBB58_7:                               ; =>This Inner Loop Header: Depth=1
	v_mov_b32_e32 v45, 0
	v_mov_b32_e32 v46, 0
	s_and_saveexec_b64 s[28:29], s[0:1]
	s_cbranch_execz .LBB58_6
; %bb.8:                                ;   in Loop: Header=BB58_7 Depth=1
	v_cmp_gt_i64_e32 vcc, s[20:21], v[0:1]
	v_mov_b32_e32 v46, 0
	v_mov_b32_e32 v45, 0
	s_and_saveexec_b64 s[30:31], vcc
	s_cbranch_execz .LBB58_5
; %bb.9:                                ;   in Loop: Header=BB58_7 Depth=1
	v_mov_b32_e32 v9, s15
	v_add_co_u32_e32 v8, vcc, s14, v2
	v_addc_co_u32_e32 v9, vcc, v9, v3, vcc
	v_mov_b32_e32 v11, s13
	v_add_co_u32_e32 v10, vcc, s12, v2
	v_addc_co_u32_e32 v11, vcc, v11, v3, vcc
	global_load_dword v46, v[10:11], off
	global_load_dword v45, v[8:9], off
	s_branch .LBB58_5
.LBB58_10:
	v_mov_b32_e32 v4, v22
.LBB58_11:
	s_movk_i32 s0, 0x41
	v_mad_u32_u24 v0, v4, s0, v20
	v_lshl_add_u32 v0, v0, 2, 0
	v_lshrrev_b32_e32 v5, 6, v20
	ds_write_b32 v0, v6
	ds_write_b32 v0, v7 offset:4160
	v_add_u32_e32 v0, v5, v4
	s_mov_b32 s7, 0
	v_cmp_gt_u32_e32 vcc, 64, v0
	s_waitcnt lgkmcnt(0)
	s_barrier
	s_and_saveexec_b64 s[0:1], vcc
	s_cbranch_execz .LBB58_21
; %bb.12:
	v_and_b32_e32 v1, 63, v20
	v_cmp_gt_u32_e64 s[0:1], 16, v1
	v_mul_u32_u24_e32 v11, 0x41, v1
	v_mbcnt_hi_u32_b32 v1, -1, v21
	v_and_b32_e32 v2, 64, v1
	v_add_u32_e32 v2, 64, v2
	v_xor_b32_e32 v3, 8, v1
	v_cmp_lt_i32_e32 vcc, v3, v2
	v_cndmask_b32_e32 v3, v1, v3, vcc
	v_lshlrev_b32_e32 v6, 2, v3
	v_xor_b32_e32 v3, 4, v1
	v_cmp_lt_i32_e32 vcc, v3, v2
	v_cndmask_b32_e32 v3, v1, v3, vcc
	v_lshlrev_b32_e32 v7, 2, v3
	;; [unrolled: 4-line block ×3, first 2 shown]
	v_xor_b32_e32 v3, 1, v1
	s_lshl_b64 s[4:5], s[6:7], 6
	v_cmp_lt_i32_e32 vcc, v3, v2
	v_cndmask_b32_e32 v1, v1, v3, vcc
	v_add_u32_e32 v10, -16, v0
	v_or_b32_e32 v0, s4, v5
	v_lshlrev_b32_e32 v9, 2, v1
	v_mov_b32_e32 v1, s5
	v_add_co_u32_e32 v0, vcc, v0, v4
	v_addc_co_u32_e32 v1, vcc, 0, v1, vcc
	s_cmp_lg_u64 s[16:17], 0
	v_lshlrev_b64 v[2:3], 2, v[0:1]
	s_cselect_b64 s[6:7], -1, 0
	s_cmp_lg_u64 s[18:19], 0
	v_mov_b32_e32 v1, s19
	v_add_co_u32_e32 v0, vcc, s18, v2
	v_add3_u32 v4, v11, v4, v5
	v_addc_co_u32_e32 v1, vcc, v1, v3, vcc
	v_lshl_add_u32 v11, v4, 2, 0
	v_cndmask_b32_e64 v4, 0, 1, s[6:7]
	s_cselect_b64 s[6:7], -1, 0
	v_mov_b32_e32 v12, s17
	v_add_co_u32_e32 v2, vcc, s16, v2
	v_cmp_ne_u32_e64 s[4:5], 1, v4
	v_cndmask_b32_e64 v4, 0, 1, s[6:7]
	v_cmp_eq_u32_e64 s[2:3], 0, v20
	s_mov_b64 s[8:9], 0
	v_addc_co_u32_e32 v3, vcc, v12, v3, vcc
	v_cmp_ne_u32_e64 s[6:7], 1, v4
                                        ; implicit-def: $vgpr4
	s_branch .LBB58_14
.LBB58_13:                              ;   in Loop: Header=BB58_14 Depth=1
	s_or_b64 exec, exec, s[10:11]
	v_add_co_u32_e32 v0, vcc, 64, v0
	v_addc_co_u32_e32 v1, vcc, 0, v1, vcc
	v_add_co_u32_e32 v2, vcc, 64, v2
	v_add_u32_e32 v10, 16, v10
	v_addc_co_u32_e32 v3, vcc, 0, v3, vcc
	v_cmp_lt_u32_e32 vcc, 47, v10
	s_or_b64 s[8:9], vcc, s[8:9]
	v_add_u32_e32 v11, 64, v11
	s_andn2_b64 exec, exec, s[8:9]
	s_cbranch_execz .LBB58_21
.LBB58_14:                              ; =>This Inner Loop Header: Depth=1
	s_and_saveexec_b64 s[10:11], s[0:1]
	s_cbranch_execz .LBB58_16
; %bb.15:                               ;   in Loop: Header=BB58_14 Depth=1
	ds_read_b32 v5, v11
	ds_read_b32 v4, v11 offset:4160
.LBB58_16:                              ;   in Loop: Header=BB58_14 Depth=1
	s_or_b64 exec, exec, s[10:11]
	s_waitcnt lgkmcnt(1)
	ds_bpermute_b32 v13, v6, v5
	s_waitcnt lgkmcnt(1)
	ds_bpermute_b32 v12, v6, v4
	s_waitcnt lgkmcnt(0)
	v_pk_add_f32 v[4:5], v[4:5], v[12:13]
	ds_bpermute_b32 v13, v7, v5
	ds_bpermute_b32 v12, v7, v4
	s_waitcnt lgkmcnt(0)
	v_pk_add_f32 v[4:5], v[4:5], v[12:13]
	ds_bpermute_b32 v13, v8, v5
	;; [unrolled: 4-line block ×3, first 2 shown]
	ds_bpermute_b32 v12, v9, v4
	s_waitcnt lgkmcnt(0)
	v_pk_add_f32 v[4:5], v[4:5], v[12:13]
	s_and_saveexec_b64 s[10:11], s[2:3]
	s_cbranch_execz .LBB58_13
; %bb.17:                               ;   in Loop: Header=BB58_14 Depth=1
	s_and_b64 vcc, exec, s[4:5]
	s_cbranch_vccnz .LBB58_19
; %bb.18:                               ;   in Loop: Header=BB58_14 Depth=1
	global_store_dword v[2:3], v5, off
.LBB58_19:                              ;   in Loop: Header=BB58_14 Depth=1
	s_and_b64 vcc, exec, s[6:7]
	s_cbranch_vccnz .LBB58_13
; %bb.20:                               ;   in Loop: Header=BB58_14 Depth=1
	global_store_dword v[0:1], v4, off
	s_branch .LBB58_13
.LBB58_21:
	s_endpgm
	.section	.rodata,"a",@progbits
	.p2align	6, 0x0
	.amdhsa_kernel _ZN2at6native12_GLOBAL__N_135GammaBetaBackwardCUDAKernelTemplateIffLj64ELj16ELj256ELb0ELb1ELb0EEEvllPKT_S5_PKT0_S8_PS3_S9_
		.amdhsa_group_segment_fixed_size 0
		.amdhsa_private_segment_fixed_size 0
		.amdhsa_kernarg_size 320
		.amdhsa_user_sgpr_count 6
		.amdhsa_user_sgpr_private_segment_buffer 1
		.amdhsa_user_sgpr_dispatch_ptr 0
		.amdhsa_user_sgpr_queue_ptr 0
		.amdhsa_user_sgpr_kernarg_segment_ptr 1
		.amdhsa_user_sgpr_dispatch_id 0
		.amdhsa_user_sgpr_flat_scratch_init 0
		.amdhsa_user_sgpr_kernarg_preload_length 0
		.amdhsa_user_sgpr_kernarg_preload_offset 0
		.amdhsa_user_sgpr_private_segment_size 0
		.amdhsa_uses_dynamic_stack 0
		.amdhsa_system_sgpr_private_segment_wavefront_offset 0
		.amdhsa_system_sgpr_workgroup_id_x 1
		.amdhsa_system_sgpr_workgroup_id_y 1
		.amdhsa_system_sgpr_workgroup_id_z 0
		.amdhsa_system_sgpr_workgroup_info 0
		.amdhsa_system_vgpr_workitem_id 1
		.amdhsa_next_free_vgpr 64
		.amdhsa_next_free_sgpr 32
		.amdhsa_accum_offset 64
		.amdhsa_reserve_vcc 1
		.amdhsa_reserve_flat_scratch 0
		.amdhsa_float_round_mode_32 0
		.amdhsa_float_round_mode_16_64 0
		.amdhsa_float_denorm_mode_32 3
		.amdhsa_float_denorm_mode_16_64 3
		.amdhsa_dx10_clamp 1
		.amdhsa_ieee_mode 1
		.amdhsa_fp16_overflow 0
		.amdhsa_tg_split 0
		.amdhsa_exception_fp_ieee_invalid_op 0
		.amdhsa_exception_fp_denorm_src 0
		.amdhsa_exception_fp_ieee_div_zero 0
		.amdhsa_exception_fp_ieee_overflow 0
		.amdhsa_exception_fp_ieee_underflow 0
		.amdhsa_exception_fp_ieee_inexact 0
		.amdhsa_exception_int_div_zero 0
	.end_amdhsa_kernel
	.section	.text._ZN2at6native12_GLOBAL__N_135GammaBetaBackwardCUDAKernelTemplateIffLj64ELj16ELj256ELb0ELb1ELb0EEEvllPKT_S5_PKT0_S8_PS3_S9_,"axG",@progbits,_ZN2at6native12_GLOBAL__N_135GammaBetaBackwardCUDAKernelTemplateIffLj64ELj16ELj256ELb0ELb1ELb0EEEvllPKT_S5_PKT0_S8_PS3_S9_,comdat
.Lfunc_end58:
	.size	_ZN2at6native12_GLOBAL__N_135GammaBetaBackwardCUDAKernelTemplateIffLj64ELj16ELj256ELb0ELb1ELb0EEEvllPKT_S5_PKT0_S8_PS3_S9_, .Lfunc_end58-_ZN2at6native12_GLOBAL__N_135GammaBetaBackwardCUDAKernelTemplateIffLj64ELj16ELj256ELb0ELb1ELb0EEEvllPKT_S5_PKT0_S8_PS3_S9_
                                        ; -- End function
	.section	.AMDGPU.csdata,"",@progbits
; Kernel info:
; codeLenInByte = 2348
; NumSgprs: 36
; NumVgprs: 64
; NumAgprs: 0
; TotalNumVgprs: 64
; ScratchSize: 0
; MemoryBound: 0
; FloatMode: 240
; IeeeMode: 1
; LDSByteSize: 0 bytes/workgroup (compile time only)
; SGPRBlocks: 4
; VGPRBlocks: 7
; NumSGPRsForWavesPerEU: 36
; NumVGPRsForWavesPerEU: 64
; AccumOffset: 64
; Occupancy: 8
; WaveLimiterHint : 0
; COMPUTE_PGM_RSRC2:SCRATCH_EN: 0
; COMPUTE_PGM_RSRC2:USER_SGPR: 6
; COMPUTE_PGM_RSRC2:TRAP_HANDLER: 0
; COMPUTE_PGM_RSRC2:TGID_X_EN: 1
; COMPUTE_PGM_RSRC2:TGID_Y_EN: 1
; COMPUTE_PGM_RSRC2:TGID_Z_EN: 0
; COMPUTE_PGM_RSRC2:TIDIG_COMP_CNT: 1
; COMPUTE_PGM_RSRC3_GFX90A:ACCUM_OFFSET: 15
; COMPUTE_PGM_RSRC3_GFX90A:TG_SPLIT: 0
	.section	.text._ZN2at6native12_GLOBAL__N_135GammaBetaBackwardCUDAKernelTemplateIffLj64ELj16ELj256ELb0ELb0ELb0EEEvllPKT_S5_PKT0_S8_PS3_S9_,"axG",@progbits,_ZN2at6native12_GLOBAL__N_135GammaBetaBackwardCUDAKernelTemplateIffLj64ELj16ELj256ELb0ELb0ELb0EEEvllPKT_S5_PKT0_S8_PS3_S9_,comdat
	.globl	_ZN2at6native12_GLOBAL__N_135GammaBetaBackwardCUDAKernelTemplateIffLj64ELj16ELj256ELb0ELb0ELb0EEEvllPKT_S5_PKT0_S8_PS3_S9_ ; -- Begin function _ZN2at6native12_GLOBAL__N_135GammaBetaBackwardCUDAKernelTemplateIffLj64ELj16ELj256ELb0ELb0ELb0EEEvllPKT_S5_PKT0_S8_PS3_S9_
	.p2align	8
	.type	_ZN2at6native12_GLOBAL__N_135GammaBetaBackwardCUDAKernelTemplateIffLj64ELj16ELj256ELb0ELb0ELb0EEEvllPKT_S5_PKT0_S8_PS3_S9_,@function
_ZN2at6native12_GLOBAL__N_135GammaBetaBackwardCUDAKernelTemplateIffLj64ELj16ELj256ELb0ELb0ELb0EEEvllPKT_S5_PKT0_S8_PS3_S9_: ; @_ZN2at6native12_GLOBAL__N_135GammaBetaBackwardCUDAKernelTemplateIffLj64ELj16ELj256ELb0ELb0ELb0EEEvllPKT_S5_PKT0_S8_PS3_S9_
; %bb.0:
	s_mov_b64 s[54:55], s[2:3]
	s_load_dwordx8 s[36:43], s[4:5], 0x0
	s_load_dwordx4 s[28:31], s[4:5], 0x20
	s_mov_b64 s[52:53], s[0:1]
	s_add_u32 s52, s52, s8
	s_addc_u32 s53, s53, 0
	s_lshl_b32 s33, s6, 6
	s_mov_b32 s12, 0
	v_mov_b32_e32 v122, v0
	s_or_b32 s0, s33, 63
	s_mov_b32 s1, s12
	s_waitcnt lgkmcnt(0)
	v_pk_mov_b32 v[0:1], s[38:39], s[38:39] op_sel:[0,1]
	v_cmp_ge_i64_e32 vcc, s[0:1], v[0:1]
	s_lshl_b32 s34, s7, 8
	s_mov_b32 s35, s12
	v_pk_mov_b32 v[0:1], s[36:37], s[36:37] op_sel:[0,1]
	v_cmp_lt_i64_e64 s[0:1], s[34:35], v[0:1]
	v_cndmask_b32_e64 v0, 0, 1, s[0:1]
	v_cmp_ne_u32_e64 s[0:1], 1, v0
	s_cbranch_vccz .LBB59_80
; %bb.1:
	v_mov_b32_e32 v125, 0
	s_and_b64 vcc, exec, s[0:1]
	v_mov_b32_e32 v124, v125
	s_cbranch_vccnz .LBB59_81
; %bb.2:
	v_bfe_u32 v0, v122, 10, 10
	v_lshlrev_b32_e32 v50, 4, v0
	v_mov_b32_e32 v1, s35
	v_add_co_u32_e32 v2, vcc, s34, v50
	v_addc_co_u32_e32 v8, vcc, 0, v1, vcc
	v_add_co_u32_e32 v1, vcc, 15, v2
	v_addc_co_u32_e32 v3, vcc, 0, v8, vcc
	v_mul_lo_u32 v6, s39, v1
	v_mul_lo_u32 v3, s38, v3
	v_mad_u64_u32 v[4:5], s[2:3], s38, v1, 0
	v_add3_u32 v5, v5, v3, v6
	v_lshlrev_b64 v[6:7], 2, v[4:5]
	v_mov_b32_e32 v3, s41
	v_add_co_u32_e32 v52, vcc, s40, v6
	v_addc_co_u32_e32 v1, vcc, v3, v7, vcc
	v_mov_b32_e32 v4, s43
	v_add_co_u32_e32 v54, vcc, s42, v6
	v_addc_co_u32_e32 v51, vcc, v4, v7, vcc
	v_add_co_u32_e32 v5, vcc, 14, v2
	v_addc_co_u32_e32 v6, vcc, 0, v8, vcc
	v_mul_lo_u32 v9, s39, v5
	v_mul_lo_u32 v10, s38, v6
	v_mad_u64_u32 v[6:7], s[2:3], s38, v5, 0
	v_add3_u32 v7, v7, v10, v9
	v_lshlrev_b64 v[6:7], 2, v[6:7]
	v_add_co_u32_e32 v56, vcc, s40, v6
	v_addc_co_u32_e32 v53, vcc, v3, v7, vcc
	v_add_co_u32_e32 v58, vcc, s42, v6
	v_addc_co_u32_e32 v55, vcc, v4, v7, vcc
	v_add_co_u32_e32 v5, vcc, 13, v2
	v_addc_co_u32_e32 v6, vcc, 0, v8, vcc
	v_mul_lo_u32 v9, s39, v5
	v_mul_lo_u32 v10, s38, v6
	v_mad_u64_u32 v[6:7], s[2:3], s38, v5, 0
	v_add3_u32 v7, v7, v10, v9
	v_lshlrev_b64 v[6:7], 2, v[6:7]
	v_add_co_u32_e32 v60, vcc, s40, v6
	v_addc_co_u32_e32 v57, vcc, v3, v7, vcc
	;; [unrolled: 11-line block ×13, first 2 shown]
	v_add_co_u32_e32 v106, vcc, s42, v6
	v_addc_co_u32_e32 v103, vcc, v4, v7, vcc
	v_pk_mov_b32 v[6:7], s[38:39], s[38:39] op_sel:[0,1]
	v_mad_u64_u32 v[6:7], s[2:3], s38, v2, v[6:7]
	v_mul_lo_u32 v5, s38, v8
	v_mul_lo_u32 v10, s39, v2
	v_add3_u32 v7, v10, v7, v5
	v_lshlrev_b64 v[6:7], 2, v[6:7]
	v_add_co_u32_e32 v108, vcc, s40, v6
	s_load_dword s7, s[4:5], 0x44
	v_mad_u64_u32 v[8:9], s[2:3], s38, v2, 0
	v_addc_co_u32_e32 v105, vcc, v3, v7, vcc
	v_add3_u32 v9, v9, v5, v10
	v_add_co_u32_e32 v110, vcc, s42, v6
	v_addc_co_u32_e32 v107, vcc, v4, v7, vcc
	v_lshlrev_b64 v[6:7], 2, v[8:9]
	v_add_co_u32_e32 v112, vcc, s40, v6
	s_add_u32 s10, s4, 64
	v_addc_co_u32_e32 v109, vcc, v3, v7, vcc
	s_addc_u32 s11, s5, 0
	s_waitcnt lgkmcnt(0)
	s_lshl_b32 s7, s7, 8
	v_add_co_u32_e32 v114, vcc, s42, v6
	s_mul_i32 s8, s39, s7
	s_mul_hi_u32 s9, s38, s7
	v_addc_co_u32_e32 v111, vcc, v4, v7, vcc
	s_add_i32 s9, s9, s8
	s_mul_i32 s8, s38, s7
	v_mbcnt_lo_u32_b32 v4, -1, 0
	v_and_b32_e32 v113, 0x3ff, v122
	s_lshl_b64 s[44:45], s[8:9], 2
	v_mbcnt_hi_u32_b32 v4, -1, v4
	v_add_u32_e32 v2, s33, v113
	v_mov_b32_e32 v3, 0
	s_add_u32 s46, s34, 0xff
	v_lshlrev_b32_e32 v4, 2, v4
	v_cmp_gt_i64_e64 s[2:3], s[38:39], v[2:3]
	s_addc_u32 s47, 0, 0
	v_and_b32_e32 v115, 0x100, v4
	s_mov_b64 s[48:49], s[34:35]
	v_mov_b32_e32 v124, v3
	v_mov_b32_e32 v125, v3
	v_lshlrev_b64 v[116:117], 2, v[2:3]
	s_branch .LBB59_5
.LBB59_3:                               ;   in Loop: Header=BB59_5 Depth=1
	s_or_b64 exec, exec, s[8:9]
	s_waitcnt vmcnt(1)
	ds_bpermute_b32 v2, v115, v121
	ds_bpermute_b32 v4, v115, v121 offset:4
	s_waitcnt vmcnt(0)
	ds_bpermute_b32 v5, v115, v120
	ds_bpermute_b32 v6, v115, v120 offset:4
	ds_bpermute_b32 v9, v115, v120 offset:12
	s_waitcnt lgkmcnt(4)
	v_sub_f32_e32 v2, v18, v2
	v_mul_f32_e32 v2, v34, v2
	s_waitcnt lgkmcnt(3)
	v_sub_f32_e32 v7, v19, v4
	s_waitcnt lgkmcnt(2)
	v_mul_f32_e32 v4, v2, v5
	ds_bpermute_b32 v2, v115, v121 offset:8
	v_mul_f32_e32 v5, v35, v7
	s_waitcnt lgkmcnt(2)
	v_mul_f32_e32 v6, v5, v6
	ds_bpermute_b32 v5, v115, v120 offset:8
	ds_bpermute_b32 v7, v115, v121 offset:12
	s_waitcnt lgkmcnt(2)
	v_sub_f32_e32 v2, v20, v2
	v_mul_f32_e32 v2, v36, v2
	v_mov_b32_e32 v11, v37
	s_waitcnt lgkmcnt(1)
	v_mul_f32_e32 v8, v2, v5
	s_waitcnt lgkmcnt(0)
	v_sub_f32_e32 v2, v21, v7
	ds_bpermute_b32 v5, v115, v121 offset:16
	v_mul_f32_e32 v2, v37, v2
	v_mul_f32_e32 v10, v2, v9
	ds_bpermute_b32 v2, v115, v120 offset:16
	ds_bpermute_b32 v7, v115, v121 offset:20
	;; [unrolled: 1-line block ×3, first 2 shown]
	s_waitcnt lgkmcnt(3)
	v_sub_f32_e32 v5, v22, v5
	v_mul_f32_e32 v5, v38, v5
	s_waitcnt lgkmcnt(2)
	v_mul_f32_e32 v12, v5, v2
	s_waitcnt lgkmcnt(1)
	v_sub_f32_e32 v2, v23, v7
	v_mul_f32_e32 v2, v39, v2
	s_waitcnt lgkmcnt(0)
	v_mul_f32_e32 v14, v2, v9
	v_mov_b32_e32 v5, v34
	ds_bpermute_b32 v2, v115, v121 offset:24
	v_pk_add_f32 v[4:5], v[124:125], v[4:5]
	v_mov_b32_e32 v7, v35
	v_pk_add_f32 v[4:5], v[6:7], v[4:5]
	ds_bpermute_b32 v6, v115, v120 offset:24
	ds_bpermute_b32 v7, v115, v121 offset:28
	v_mov_b32_e32 v9, v36
	v_pk_add_f32 v[4:5], v[8:9], v[4:5]
	ds_bpermute_b32 v8, v115, v120 offset:28
	s_waitcnt lgkmcnt(3)
	v_sub_f32_e32 v2, v24, v2
	v_mul_f32_e32 v2, v40, v2
	s_waitcnt lgkmcnt(2)
	v_mul_f32_e32 v6, v2, v6
	s_waitcnt lgkmcnt(1)
	v_sub_f32_e32 v2, v25, v7
	ds_bpermute_b32 v7, v115, v121 offset:32
	v_mul_f32_e32 v2, v41, v2
	s_waitcnt lgkmcnt(1)
	v_mul_f32_e32 v8, v2, v8
	ds_bpermute_b32 v2, v115, v120 offset:32
	ds_bpermute_b32 v9, v115, v121 offset:36
	v_pk_add_f32 v[4:5], v[10:11], v[4:5]
	ds_bpermute_b32 v11, v115, v120 offset:36
	s_waitcnt lgkmcnt(3)
	v_sub_f32_e32 v7, v26, v7
	v_mul_f32_e32 v7, v42, v7
	s_waitcnt lgkmcnt(2)
	v_mul_f32_e32 v10, v7, v2
	s_waitcnt lgkmcnt(1)
	v_sub_f32_e32 v2, v27, v9
	ds_bpermute_b32 v7, v115, v121 offset:40
	v_mov_b32_e32 v13, v38
	v_mul_f32_e32 v2, v43, v2
	v_pk_add_f32 v[4:5], v[12:13], v[4:5]
	s_waitcnt lgkmcnt(1)
	v_mul_f32_e32 v12, v2, v11
	ds_bpermute_b32 v2, v115, v120 offset:40
	ds_bpermute_b32 v9, v115, v121 offset:44
	;; [unrolled: 1-line block ×3, first 2 shown]
	s_waitcnt lgkmcnt(3)
	v_sub_f32_e32 v7, v28, v7
	v_mov_b32_e32 v15, v39
	v_mul_f32_e32 v7, v44, v7
	v_pk_add_f32 v[4:5], v[14:15], v[4:5]
	s_waitcnt lgkmcnt(2)
	v_mul_f32_e32 v14, v7, v2
	s_waitcnt lgkmcnt(1)
	v_sub_f32_e32 v2, v29, v9
	ds_bpermute_b32 v7, v115, v121 offset:48
	v_mul_f32_e32 v2, v45, v2
	s_waitcnt lgkmcnt(1)
	v_mul_f32_e32 v16, v2, v11
	ds_bpermute_b32 v2, v115, v120 offset:48
	ds_bpermute_b32 v9, v115, v121 offset:52
	;; [unrolled: 1-line block ×3, first 2 shown]
	s_waitcnt lgkmcnt(3)
	v_sub_f32_e32 v7, v30, v7
	v_mul_f32_e32 v7, v46, v7
	s_waitcnt lgkmcnt(2)
	v_mul_f32_e32 v18, v7, v2
	s_waitcnt lgkmcnt(1)
	v_sub_f32_e32 v2, v31, v9
	v_mul_f32_e32 v2, v47, v2
	v_mov_b32_e32 v7, v40
	s_waitcnt lgkmcnt(0)
	v_mul_f32_e32 v20, v2, v11
	v_pk_add_f32 v[4:5], v[6:7], v[4:5]
	v_mov_b32_e32 v9, v41
	ds_bpermute_b32 v2, v115, v121 offset:56
	v_pk_add_f32 v[4:5], v[8:9], v[4:5]
	v_mov_b32_e32 v11, v42
	v_pk_add_f32 v[4:5], v[10:11], v[4:5]
	v_mov_b32_e32 v13, v43
	ds_bpermute_b32 v7, v115, v120 offset:56
	v_pk_add_f32 v[4:5], v[12:13], v[4:5]
	v_mov_b32_e32 v15, v44
	v_pk_add_f32 v[4:5], v[14:15], v[4:5]
	v_mov_b32_e32 v17, v45
	;; [unrolled: 2-line block ×3, first 2 shown]
	s_waitcnt lgkmcnt(1)
	v_sub_f32_e32 v8, v32, v2
	v_pk_add_f32 v[4:5], v[18:19], v[4:5]
	v_mov_b32_e32 v21, v47
	v_mul_f32_e32 v8, v48, v8
	v_pk_add_f32 v[4:5], v[20:21], v[4:5]
	s_waitcnt lgkmcnt(0)
	v_mul_f32_e32 v8, v8, v7
	v_mov_b32_e32 v9, v48
	ds_bpermute_b32 v2, v115, v120 offset:60
	ds_bpermute_b32 v6, v115, v121 offset:60
	v_pk_add_f32 v[4:5], v[8:9], v[4:5]
.LBB59_4:                               ;   in Loop: Header=BB59_5 Depth=1
	s_waitcnt lgkmcnt(0)
	v_sub_f32_e32 v6, v33, v6
	v_mul_f32_e32 v6, v49, v6
	v_mul_f32_e32 v48, v6, v2
	v_mov_b32_e32 v2, s45
	v_add_co_u32_e64 v52, s[8:9], s44, v52
	v_addc_co_u32_e64 v1, s[8:9], v1, v2, s[8:9]
	v_add_co_u32_e64 v54, s[8:9], s44, v54
	v_addc_co_u32_e64 v51, s[8:9], v51, v2, s[8:9]
	;; [unrolled: 2-line block ×30, first 2 shown]
	s_add_u32 s48, s48, s7
	v_add_co_u32_e64 v112, s[8:9], s44, v112
	v_pk_add_f32 v[124:125], v[4:5], v[48:49]
	s_addc_u32 s49, s49, 0
	v_pk_mov_b32 v[4:5], s[36:37], s[36:37] op_sel:[0,1]
	v_addc_co_u32_e64 v109, s[8:9], v109, v2, s[8:9]
	v_cmp_lt_i64_e32 vcc, s[48:49], v[4:5]
	v_add_co_u32_e64 v114, s[8:9], s44, v114
	s_add_u32 s46, s46, s7
	v_addc_co_u32_e64 v111, s[8:9], v111, v2, s[8:9]
	s_addc_u32 s47, s47, 0
	s_cbranch_vccz .LBB59_81
.LBB59_5:                               ; =>This Inner Loop Header: Depth=1
	v_pk_mov_b32 v[4:5], s[36:37], s[36:37] op_sel:[0,1]
	v_cmp_ge_i64_e32 vcc, s[46:47], v[4:5]
	v_mov_b32_e32 v2, s47
	v_add_co_u32_e64 v118, s[8:9], s46, v50
	v_addc_co_u32_e64 v119, s[8:9], 0, v2, s[8:9]
	s_cbranch_vccz .LBB59_43
; %bb.6:                                ;   in Loop: Header=BB59_5 Depth=1
	s_load_dword s8, s[10:11], 0xc
	v_mov_b32_e32 v120, 0
	v_mov_b32_e32 v121, 0
	s_waitcnt lgkmcnt(0)
	s_and_b32 s8, s8, 0xffff
	v_mad_u32_u24 v2, v0, s8, v113
	v_and_b32_e32 v2, 63, v2
	v_cmp_gt_u32_e32 vcc, 16, v2
	s_and_saveexec_b64 s[8:9], vcc
	s_cbranch_execz .LBB59_10
; %bb.7:                                ;   in Loop: Header=BB59_5 Depth=1
	v_add_co_u32_e32 v2, vcc, v118, v2
	v_addc_co_u32_e32 v5, vcc, 0, v119, vcc
	v_add_co_u32_e32 v4, vcc, 0xffffff01, v2
	v_addc_co_u32_e32 v5, vcc, -1, v5, vcc
	v_cmp_gt_i64_e32 vcc, s[36:37], v[4:5]
	v_mov_b32_e32 v121, 0
	v_mov_b32_e32 v120, 0
	s_and_saveexec_b64 s[14:15], vcc
	s_cbranch_execz .LBB59_9
; %bb.8:                                ;   in Loop: Header=BB59_5 Depth=1
	v_lshlrev_b64 v[4:5], 2, v[4:5]
	v_mov_b32_e32 v2, s31
	v_add_co_u32_e32 v6, vcc, s30, v4
	v_addc_co_u32_e32 v7, vcc, v2, v5, vcc
	v_mov_b32_e32 v2, s29
	v_add_co_u32_e32 v4, vcc, s28, v4
	v_addc_co_u32_e32 v5, vcc, v2, v5, vcc
	global_load_dword v121, v[4:5], off
	global_load_dword v120, v[6:7], off
.LBB59_9:                               ;   in Loop: Header=BB59_5 Depth=1
	s_or_b64 exec, exec, s[14:15]
.LBB59_10:                              ;   in Loop: Header=BB59_5 Depth=1
	s_or_b64 exec, exec, s[8:9]
	v_add_co_u32_e32 v4, vcc, 0xffffff01, v118
	s_mov_b32 s26, s12
	s_mov_b32 s27, s12
	v_addc_co_u32_e32 v5, vcc, -1, v119, vcc
	s_mov_b32 s13, s12
	s_mov_b32 s14, s12
	;; [unrolled: 1-line block ×13, first 2 shown]
	v_pk_mov_b32 v[32:33], s[26:27], s[26:27] op_sel:[0,1]
	v_cmp_gt_i64_e32 vcc, s[36:37], v[4:5]
	v_pk_mov_b32 v[30:31], s[24:25], s[24:25] op_sel:[0,1]
	v_pk_mov_b32 v[28:29], s[22:23], s[22:23] op_sel:[0,1]
	;; [unrolled: 1-line block ×8, first 2 shown]
	s_and_b64 s[50:51], s[2:3], vcc
	v_pk_mov_b32 v[46:47], v[30:31], v[30:31] op_sel:[0,1]
	v_pk_mov_b32 v[44:45], v[28:29], v[28:29] op_sel:[0,1]
	;; [unrolled: 1-line block ×7, first 2 shown]
	s_and_saveexec_b64 s[8:9], s[50:51]
	s_cbranch_execz .LBB59_12
; %bb.11:                               ;   in Loop: Header=BB59_5 Depth=1
	v_add_co_u32_e32 v4, vcc, v112, v116
	v_addc_co_u32_e32 v5, vcc, v109, v117, vcc
	global_load_dword v2, v[4:5], off
	v_add_co_u32_e32 v4, vcc, v114, v116
	v_addc_co_u32_e32 v5, vcc, v111, v117, vcc
	global_load_dword v18, v[4:5], off
	v_mov_b32_e32 v16, v3
	v_mov_b32_e32 v17, v3
	v_mov_b32_e32 v4, v3
	v_mov_b32_e32 v5, v3
	v_mov_b32_e32 v6, v3
	v_mov_b32_e32 v7, v3
	v_mov_b32_e32 v8, v3
	v_mov_b32_e32 v9, v3
	v_mov_b32_e32 v10, v3
	v_mov_b32_e32 v11, v3
	v_mov_b32_e32 v12, v3
	v_mov_b32_e32 v13, v3
	v_mov_b32_e32 v14, v3
	v_mov_b32_e32 v15, v3
	s_waitcnt vmcnt(1)
	v_pk_mov_b32 v[48:49], v[16:17], v[16:17] op_sel:[0,1]
	v_mov_b32_e32 v19, v3
	v_mov_b32_e32 v20, v3
	;; [unrolled: 1-line block ×15, first 2 shown]
	v_pk_mov_b32 v[46:47], v[14:15], v[14:15] op_sel:[0,1]
	v_pk_mov_b32 v[44:45], v[12:13], v[12:13] op_sel:[0,1]
	;; [unrolled: 1-line block ×7, first 2 shown]
.LBB59_12:                              ;   in Loop: Header=BB59_5 Depth=1
	s_or_b64 exec, exec, s[8:9]
	v_add_co_u32_e32 v4, vcc, 0xffffff02, v118
	v_addc_co_u32_e32 v5, vcc, -1, v119, vcc
	v_cmp_gt_i64_e32 vcc, s[36:37], v[4:5]
	s_and_b64 s[14:15], s[2:3], vcc
	s_and_saveexec_b64 s[8:9], s[14:15]
	s_cbranch_execz .LBB59_14
; %bb.13:                               ;   in Loop: Header=BB59_5 Depth=1
	v_add_co_u32_e32 v4, vcc, v108, v116
	v_addc_co_u32_e32 v5, vcc, v105, v117, vcc
	global_load_dword v35, v[4:5], off
	v_add_co_u32_e32 v4, vcc, v110, v116
	v_addc_co_u32_e32 v5, vcc, v107, v117, vcc
	global_load_dword v19, v[4:5], off
.LBB59_14:                              ;   in Loop: Header=BB59_5 Depth=1
	s_or_b64 exec, exec, s[8:9]
	v_add_co_u32_e32 v4, vcc, 0xffffff03, v118
	v_addc_co_u32_e32 v5, vcc, -1, v119, vcc
	v_cmp_gt_i64_e32 vcc, s[36:37], v[4:5]
	s_and_b64 s[14:15], s[2:3], vcc
	s_and_saveexec_b64 s[8:9], s[14:15]
	s_cbranch_execz .LBB59_16
; %bb.15:                               ;   in Loop: Header=BB59_5 Depth=1
	v_add_co_u32_e32 v4, vcc, v104, v116
	v_addc_co_u32_e32 v5, vcc, v101, v117, vcc
	global_load_dword v36, v[4:5], off
	v_add_co_u32_e32 v4, vcc, v106, v116
	v_addc_co_u32_e32 v5, vcc, v103, v117, vcc
	global_load_dword v20, v[4:5], off
.LBB59_16:                              ;   in Loop: Header=BB59_5 Depth=1
	;; [unrolled: 15-line block ×15, first 2 shown]
	s_or_b64 exec, exec, s[8:9]
	s_waitcnt vmcnt(1)
	ds_bpermute_b32 v2, v115, v121
	ds_bpermute_b32 v4, v115, v121 offset:4
	s_waitcnt vmcnt(0)
	ds_bpermute_b32 v5, v115, v120
	ds_bpermute_b32 v6, v115, v120 offset:4
	ds_bpermute_b32 v9, v115, v120 offset:12
	s_waitcnt lgkmcnt(4)
	v_sub_f32_e32 v2, v18, v2
	v_mul_f32_e32 v2, v34, v2
	s_waitcnt lgkmcnt(3)
	v_sub_f32_e32 v7, v19, v4
	s_waitcnt lgkmcnt(2)
	v_mul_f32_e32 v4, v2, v5
	ds_bpermute_b32 v2, v115, v121 offset:8
	v_mul_f32_e32 v5, v35, v7
	s_waitcnt lgkmcnt(2)
	v_mul_f32_e32 v6, v5, v6
	ds_bpermute_b32 v5, v115, v120 offset:8
	ds_bpermute_b32 v7, v115, v121 offset:12
	s_waitcnt lgkmcnt(2)
	v_sub_f32_e32 v2, v20, v2
	v_mul_f32_e32 v2, v36, v2
	v_mov_b32_e32 v11, v37
	s_waitcnt lgkmcnt(1)
	v_mul_f32_e32 v8, v2, v5
	s_waitcnt lgkmcnt(0)
	v_sub_f32_e32 v2, v21, v7
	ds_bpermute_b32 v5, v115, v121 offset:16
	v_mul_f32_e32 v2, v37, v2
	v_mul_f32_e32 v10, v2, v9
	ds_bpermute_b32 v2, v115, v120 offset:16
	ds_bpermute_b32 v7, v115, v121 offset:20
	;; [unrolled: 1-line block ×3, first 2 shown]
	s_waitcnt lgkmcnt(3)
	v_sub_f32_e32 v5, v22, v5
	v_mul_f32_e32 v5, v38, v5
	s_waitcnt lgkmcnt(2)
	v_mul_f32_e32 v12, v5, v2
	s_waitcnt lgkmcnt(1)
	v_sub_f32_e32 v2, v23, v7
	v_mul_f32_e32 v2, v39, v2
	s_waitcnt lgkmcnt(0)
	v_mul_f32_e32 v14, v2, v9
	v_mov_b32_e32 v5, v34
	ds_bpermute_b32 v2, v115, v121 offset:24
	v_pk_add_f32 v[4:5], v[124:125], v[4:5]
	v_mov_b32_e32 v7, v35
	v_pk_add_f32 v[4:5], v[6:7], v[4:5]
	ds_bpermute_b32 v6, v115, v120 offset:24
	ds_bpermute_b32 v7, v115, v121 offset:28
	v_mov_b32_e32 v9, v36
	v_pk_add_f32 v[4:5], v[8:9], v[4:5]
	ds_bpermute_b32 v8, v115, v120 offset:28
	s_waitcnt lgkmcnt(3)
	v_sub_f32_e32 v2, v24, v2
	v_mul_f32_e32 v2, v40, v2
	s_waitcnt lgkmcnt(2)
	v_mul_f32_e32 v6, v2, v6
	s_waitcnt lgkmcnt(1)
	v_sub_f32_e32 v2, v25, v7
	ds_bpermute_b32 v7, v115, v121 offset:32
	v_mul_f32_e32 v2, v41, v2
	s_waitcnt lgkmcnt(1)
	v_mul_f32_e32 v8, v2, v8
	ds_bpermute_b32 v2, v115, v120 offset:32
	ds_bpermute_b32 v9, v115, v121 offset:36
	v_pk_add_f32 v[4:5], v[10:11], v[4:5]
	ds_bpermute_b32 v11, v115, v120 offset:36
	s_waitcnt lgkmcnt(3)
	v_sub_f32_e32 v7, v26, v7
	v_mul_f32_e32 v7, v42, v7
	s_waitcnt lgkmcnt(2)
	v_mul_f32_e32 v10, v7, v2
	s_waitcnt lgkmcnt(1)
	v_sub_f32_e32 v2, v27, v9
	ds_bpermute_b32 v7, v115, v121 offset:40
	v_mov_b32_e32 v13, v38
	v_mul_f32_e32 v2, v43, v2
	v_pk_add_f32 v[4:5], v[12:13], v[4:5]
	s_waitcnt lgkmcnt(1)
	v_mul_f32_e32 v12, v2, v11
	ds_bpermute_b32 v2, v115, v120 offset:40
	ds_bpermute_b32 v9, v115, v121 offset:44
	;; [unrolled: 1-line block ×3, first 2 shown]
	s_waitcnt lgkmcnt(3)
	v_sub_f32_e32 v7, v28, v7
	v_mov_b32_e32 v15, v39
	v_mul_f32_e32 v7, v44, v7
	v_pk_add_f32 v[4:5], v[14:15], v[4:5]
	s_waitcnt lgkmcnt(2)
	v_mul_f32_e32 v14, v7, v2
	s_waitcnt lgkmcnt(1)
	v_sub_f32_e32 v2, v29, v9
	ds_bpermute_b32 v7, v115, v121 offset:48
	v_mul_f32_e32 v2, v45, v2
	s_waitcnt lgkmcnt(1)
	v_mul_f32_e32 v16, v2, v11
	ds_bpermute_b32 v2, v115, v120 offset:48
	ds_bpermute_b32 v9, v115, v121 offset:52
	;; [unrolled: 1-line block ×3, first 2 shown]
	s_waitcnt lgkmcnt(3)
	v_sub_f32_e32 v7, v30, v7
	v_mul_f32_e32 v7, v46, v7
	s_waitcnt lgkmcnt(2)
	v_mul_f32_e32 v18, v7, v2
	s_waitcnt lgkmcnt(1)
	v_sub_f32_e32 v2, v31, v9
	v_mul_f32_e32 v2, v47, v2
	s_waitcnt lgkmcnt(0)
	v_mul_f32_e32 v20, v2, v11
	ds_bpermute_b32 v2, v115, v121 offset:56
	v_mov_b32_e32 v7, v40
	v_pk_add_f32 v[4:5], v[6:7], v[4:5]
	v_mov_b32_e32 v9, v41
	v_pk_add_f32 v[4:5], v[8:9], v[4:5]
	v_mov_b32_e32 v11, v42
	v_pk_add_f32 v[4:5], v[10:11], v[4:5]
	v_mov_b32_e32 v13, v43
	ds_bpermute_b32 v7, v115, v120 offset:56
	v_pk_add_f32 v[4:5], v[12:13], v[4:5]
	v_mov_b32_e32 v15, v44
	s_waitcnt lgkmcnt(1)
	v_sub_f32_e32 v2, v32, v2
	v_pk_add_f32 v[4:5], v[14:15], v[4:5]
	v_mov_b32_e32 v17, v45
	v_mul_f32_e32 v8, v48, v2
	ds_bpermute_b32 v2, v115, v120 offset:60
	ds_bpermute_b32 v6, v115, v121 offset:60
	v_pk_add_f32 v[4:5], v[16:17], v[4:5]
	v_mov_b32_e32 v19, v46
	v_pk_add_f32 v[4:5], v[18:19], v[4:5]
	v_mov_b32_e32 v21, v47
	v_pk_add_f32 v[4:5], v[20:21], v[4:5]
	s_waitcnt lgkmcnt(2)
	v_mul_f32_e32 v8, v8, v7
	v_mov_b32_e32 v9, v48
	v_pk_add_f32 v[4:5], v[8:9], v[4:5]
	s_branch .LBB59_4
.LBB59_43:                              ;   in Loop: Header=BB59_5 Depth=1
                                        ; implicit-def: $vgpr4_vgpr5
                                        ; implicit-def: $vgpr2
                                        ; implicit-def: $vgpr18_vgpr19_vgpr20_vgpr21_vgpr22_vgpr23_vgpr24_vgpr25_vgpr26_vgpr27_vgpr28_vgpr29_vgpr30_vgpr31_vgpr32_vgpr33
                                        ; implicit-def: $vgpr34_vgpr35_vgpr36_vgpr37_vgpr38_vgpr39_vgpr40_vgpr41_vgpr42_vgpr43_vgpr44_vgpr45_vgpr46_vgpr47_vgpr48_vgpr49
                                        ; implicit-def: $vgpr6
	s_cbranch_execz .LBB59_4
; %bb.44:                               ;   in Loop: Header=BB59_5 Depth=1
	s_load_dword s8, s[10:11], 0x0
	v_mov_b32_e32 v120, 0
	v_mov_b32_e32 v121, 0
	s_waitcnt lgkmcnt(0)
	s_cmp_lt_u32 s6, s8
	s_cselect_b32 s8, 12, 18
	s_add_u32 s8, s10, s8
	s_addc_u32 s9, s11, 0
	global_load_ushort v2, v3, s[8:9]
	s_waitcnt vmcnt(0)
	v_mad_u32_u24 v2, v0, v2, v113
	v_and_b32_e32 v2, 63, v2
	v_cmp_gt_u32_e32 vcc, 16, v2
	s_and_saveexec_b64 s[8:9], vcc
	s_cbranch_execz .LBB59_48
; %bb.45:                               ;   in Loop: Header=BB59_5 Depth=1
	v_add_co_u32_e32 v2, vcc, v118, v2
	v_addc_co_u32_e32 v5, vcc, 0, v119, vcc
	v_add_co_u32_e32 v4, vcc, 0xffffff01, v2
	v_addc_co_u32_e32 v5, vcc, -1, v5, vcc
	v_cmp_gt_i64_e32 vcc, s[36:37], v[4:5]
	v_mov_b32_e32 v121, 0
	v_mov_b32_e32 v120, 0
	s_and_saveexec_b64 s[14:15], vcc
	s_cbranch_execz .LBB59_47
; %bb.46:                               ;   in Loop: Header=BB59_5 Depth=1
	v_lshlrev_b64 v[4:5], 2, v[4:5]
	v_mov_b32_e32 v2, s31
	v_add_co_u32_e32 v6, vcc, s30, v4
	v_addc_co_u32_e32 v7, vcc, v2, v5, vcc
	v_mov_b32_e32 v2, s29
	v_add_co_u32_e32 v4, vcc, s28, v4
	v_addc_co_u32_e32 v5, vcc, v2, v5, vcc
	global_load_dword v121, v[4:5], off
	global_load_dword v120, v[6:7], off
.LBB59_47:                              ;   in Loop: Header=BB59_5 Depth=1
	s_or_b64 exec, exec, s[14:15]
.LBB59_48:                              ;   in Loop: Header=BB59_5 Depth=1
	s_or_b64 exec, exec, s[8:9]
	s_mov_b32 s26, s12
	s_mov_b32 s27, s12
	;; [unrolled: 1-line block ×15, first 2 shown]
	v_pk_mov_b32 v[32:33], s[26:27], s[26:27] op_sel:[0,1]
	v_pk_mov_b32 v[30:31], s[24:25], s[24:25] op_sel:[0,1]
	;; [unrolled: 1-line block ×16, first 2 shown]
	s_and_saveexec_b64 s[8:9], s[2:3]
	s_cbranch_execnz .LBB59_64
; %bb.49:                               ;   in Loop: Header=BB59_5 Depth=1
	s_or_b64 exec, exec, s[8:9]
	s_and_saveexec_b64 s[8:9], s[2:3]
	s_cbranch_execnz .LBB59_65
.LBB59_50:                              ;   in Loop: Header=BB59_5 Depth=1
	s_or_b64 exec, exec, s[8:9]
	s_and_saveexec_b64 s[8:9], s[2:3]
	s_cbranch_execnz .LBB59_66
.LBB59_51:                              ;   in Loop: Header=BB59_5 Depth=1
	s_or_b64 exec, exec, s[8:9]
	s_and_saveexec_b64 s[8:9], s[2:3]
	s_cbranch_execnz .LBB59_67
.LBB59_52:                              ;   in Loop: Header=BB59_5 Depth=1
	s_or_b64 exec, exec, s[8:9]
	s_and_saveexec_b64 s[8:9], s[2:3]
	s_cbranch_execnz .LBB59_68
.LBB59_53:                              ;   in Loop: Header=BB59_5 Depth=1
	s_or_b64 exec, exec, s[8:9]
	s_and_saveexec_b64 s[8:9], s[2:3]
	s_cbranch_execnz .LBB59_69
.LBB59_54:                              ;   in Loop: Header=BB59_5 Depth=1
	s_or_b64 exec, exec, s[8:9]
	s_and_saveexec_b64 s[8:9], s[2:3]
	s_cbranch_execnz .LBB59_70
.LBB59_55:                              ;   in Loop: Header=BB59_5 Depth=1
	s_or_b64 exec, exec, s[8:9]
	s_and_saveexec_b64 s[8:9], s[2:3]
	s_cbranch_execnz .LBB59_71
.LBB59_56:                              ;   in Loop: Header=BB59_5 Depth=1
	s_or_b64 exec, exec, s[8:9]
	s_and_saveexec_b64 s[8:9], s[2:3]
	s_cbranch_execnz .LBB59_72
.LBB59_57:                              ;   in Loop: Header=BB59_5 Depth=1
	s_or_b64 exec, exec, s[8:9]
	s_and_saveexec_b64 s[8:9], s[2:3]
	s_cbranch_execnz .LBB59_73
.LBB59_58:                              ;   in Loop: Header=BB59_5 Depth=1
	s_or_b64 exec, exec, s[8:9]
	s_and_saveexec_b64 s[8:9], s[2:3]
	s_cbranch_execnz .LBB59_74
.LBB59_59:                              ;   in Loop: Header=BB59_5 Depth=1
	s_or_b64 exec, exec, s[8:9]
	s_and_saveexec_b64 s[8:9], s[2:3]
	s_cbranch_execnz .LBB59_75
.LBB59_60:                              ;   in Loop: Header=BB59_5 Depth=1
	s_or_b64 exec, exec, s[8:9]
	s_and_saveexec_b64 s[8:9], s[2:3]
	s_cbranch_execnz .LBB59_76
.LBB59_61:                              ;   in Loop: Header=BB59_5 Depth=1
	s_or_b64 exec, exec, s[8:9]
	s_and_saveexec_b64 s[8:9], s[2:3]
	s_cbranch_execnz .LBB59_77
.LBB59_62:                              ;   in Loop: Header=BB59_5 Depth=1
	s_or_b64 exec, exec, s[8:9]
	s_and_saveexec_b64 s[8:9], s[2:3]
	s_cbranch_execnz .LBB59_78
.LBB59_63:                              ;   in Loop: Header=BB59_5 Depth=1
	s_or_b64 exec, exec, s[8:9]
	s_and_saveexec_b64 s[8:9], s[2:3]
	s_cbranch_execz .LBB59_3
	s_branch .LBB59_79
.LBB59_64:                              ;   in Loop: Header=BB59_5 Depth=1
	v_add_co_u32_e32 v4, vcc, v112, v116
	v_addc_co_u32_e32 v5, vcc, v109, v117, vcc
	global_load_dword v2, v[4:5], off
	v_add_co_u32_e32 v4, vcc, v114, v116
	v_addc_co_u32_e32 v5, vcc, v111, v117, vcc
	global_load_dword v18, v[4:5], off
	v_mov_b32_e32 v16, v3
	v_mov_b32_e32 v17, v3
	;; [unrolled: 1-line block ×14, first 2 shown]
	s_waitcnt vmcnt(1)
	v_pk_mov_b32 v[48:49], v[16:17], v[16:17] op_sel:[0,1]
	v_mov_b32_e32 v19, v3
	v_mov_b32_e32 v20, v3
	;; [unrolled: 1-line block ×15, first 2 shown]
	v_pk_mov_b32 v[46:47], v[14:15], v[14:15] op_sel:[0,1]
	v_pk_mov_b32 v[44:45], v[12:13], v[12:13] op_sel:[0,1]
	;; [unrolled: 1-line block ×7, first 2 shown]
	s_or_b64 exec, exec, s[8:9]
	s_and_saveexec_b64 s[8:9], s[2:3]
	s_cbranch_execz .LBB59_50
.LBB59_65:                              ;   in Loop: Header=BB59_5 Depth=1
	v_add_co_u32_e32 v4, vcc, v108, v116
	v_addc_co_u32_e32 v5, vcc, v105, v117, vcc
	global_load_dword v35, v[4:5], off
	v_add_co_u32_e32 v4, vcc, v110, v116
	v_addc_co_u32_e32 v5, vcc, v107, v117, vcc
	global_load_dword v19, v[4:5], off
	s_or_b64 exec, exec, s[8:9]
	s_and_saveexec_b64 s[8:9], s[2:3]
	s_cbranch_execz .LBB59_51
.LBB59_66:                              ;   in Loop: Header=BB59_5 Depth=1
	v_add_co_u32_e32 v4, vcc, v104, v116
	v_addc_co_u32_e32 v5, vcc, v101, v117, vcc
	global_load_dword v36, v[4:5], off
	v_add_co_u32_e32 v4, vcc, v106, v116
	v_addc_co_u32_e32 v5, vcc, v103, v117, vcc
	global_load_dword v20, v[4:5], off
	s_or_b64 exec, exec, s[8:9]
	s_and_saveexec_b64 s[8:9], s[2:3]
	s_cbranch_execz .LBB59_52
.LBB59_67:                              ;   in Loop: Header=BB59_5 Depth=1
	v_add_co_u32_e32 v4, vcc, v100, v116
	v_addc_co_u32_e32 v5, vcc, v97, v117, vcc
	global_load_dword v37, v[4:5], off
	v_add_co_u32_e32 v4, vcc, v102, v116
	v_addc_co_u32_e32 v5, vcc, v99, v117, vcc
	global_load_dword v21, v[4:5], off
	s_or_b64 exec, exec, s[8:9]
	s_and_saveexec_b64 s[8:9], s[2:3]
	s_cbranch_execz .LBB59_53
.LBB59_68:                              ;   in Loop: Header=BB59_5 Depth=1
	v_add_co_u32_e32 v4, vcc, v96, v116
	v_addc_co_u32_e32 v5, vcc, v93, v117, vcc
	global_load_dword v38, v[4:5], off
	v_add_co_u32_e32 v4, vcc, v98, v116
	v_addc_co_u32_e32 v5, vcc, v95, v117, vcc
	global_load_dword v22, v[4:5], off
	s_or_b64 exec, exec, s[8:9]
	s_and_saveexec_b64 s[8:9], s[2:3]
	s_cbranch_execz .LBB59_54
.LBB59_69:                              ;   in Loop: Header=BB59_5 Depth=1
	v_add_co_u32_e32 v4, vcc, v92, v116
	v_addc_co_u32_e32 v5, vcc, v89, v117, vcc
	global_load_dword v39, v[4:5], off
	v_add_co_u32_e32 v4, vcc, v94, v116
	v_addc_co_u32_e32 v5, vcc, v91, v117, vcc
	global_load_dword v23, v[4:5], off
	s_or_b64 exec, exec, s[8:9]
	s_and_saveexec_b64 s[8:9], s[2:3]
	s_cbranch_execz .LBB59_55
.LBB59_70:                              ;   in Loop: Header=BB59_5 Depth=1
	v_add_co_u32_e32 v4, vcc, v88, v116
	v_addc_co_u32_e32 v5, vcc, v85, v117, vcc
	global_load_dword v40, v[4:5], off
	v_add_co_u32_e32 v4, vcc, v90, v116
	v_addc_co_u32_e32 v5, vcc, v87, v117, vcc
	global_load_dword v24, v[4:5], off
	s_or_b64 exec, exec, s[8:9]
	s_and_saveexec_b64 s[8:9], s[2:3]
	s_cbranch_execz .LBB59_56
.LBB59_71:                              ;   in Loop: Header=BB59_5 Depth=1
	v_add_co_u32_e32 v4, vcc, v84, v116
	v_addc_co_u32_e32 v5, vcc, v81, v117, vcc
	global_load_dword v41, v[4:5], off
	v_add_co_u32_e32 v4, vcc, v86, v116
	v_addc_co_u32_e32 v5, vcc, v83, v117, vcc
	global_load_dword v25, v[4:5], off
	s_or_b64 exec, exec, s[8:9]
	s_and_saveexec_b64 s[8:9], s[2:3]
	s_cbranch_execz .LBB59_57
.LBB59_72:                              ;   in Loop: Header=BB59_5 Depth=1
	v_add_co_u32_e32 v4, vcc, v80, v116
	v_addc_co_u32_e32 v5, vcc, v77, v117, vcc
	global_load_dword v42, v[4:5], off
	v_add_co_u32_e32 v4, vcc, v82, v116
	v_addc_co_u32_e32 v5, vcc, v79, v117, vcc
	global_load_dword v26, v[4:5], off
	s_or_b64 exec, exec, s[8:9]
	s_and_saveexec_b64 s[8:9], s[2:3]
	s_cbranch_execz .LBB59_58
.LBB59_73:                              ;   in Loop: Header=BB59_5 Depth=1
	v_add_co_u32_e32 v4, vcc, v76, v116
	v_addc_co_u32_e32 v5, vcc, v73, v117, vcc
	global_load_dword v43, v[4:5], off
	v_add_co_u32_e32 v4, vcc, v78, v116
	v_addc_co_u32_e32 v5, vcc, v75, v117, vcc
	global_load_dword v27, v[4:5], off
	s_or_b64 exec, exec, s[8:9]
	s_and_saveexec_b64 s[8:9], s[2:3]
	s_cbranch_execz .LBB59_59
.LBB59_74:                              ;   in Loop: Header=BB59_5 Depth=1
	v_add_co_u32_e32 v4, vcc, v72, v116
	v_addc_co_u32_e32 v5, vcc, v69, v117, vcc
	global_load_dword v44, v[4:5], off
	v_add_co_u32_e32 v4, vcc, v74, v116
	v_addc_co_u32_e32 v5, vcc, v71, v117, vcc
	global_load_dword v28, v[4:5], off
	s_or_b64 exec, exec, s[8:9]
	s_and_saveexec_b64 s[8:9], s[2:3]
	s_cbranch_execz .LBB59_60
.LBB59_75:                              ;   in Loop: Header=BB59_5 Depth=1
	v_add_co_u32_e32 v4, vcc, v68, v116
	v_addc_co_u32_e32 v5, vcc, v65, v117, vcc
	global_load_dword v45, v[4:5], off
	v_add_co_u32_e32 v4, vcc, v70, v116
	v_addc_co_u32_e32 v5, vcc, v67, v117, vcc
	global_load_dword v29, v[4:5], off
	s_or_b64 exec, exec, s[8:9]
	s_and_saveexec_b64 s[8:9], s[2:3]
	s_cbranch_execz .LBB59_61
.LBB59_76:                              ;   in Loop: Header=BB59_5 Depth=1
	v_add_co_u32_e32 v4, vcc, v64, v116
	v_addc_co_u32_e32 v5, vcc, v61, v117, vcc
	global_load_dword v46, v[4:5], off
	v_add_co_u32_e32 v4, vcc, v66, v116
	v_addc_co_u32_e32 v5, vcc, v63, v117, vcc
	global_load_dword v30, v[4:5], off
	s_or_b64 exec, exec, s[8:9]
	s_and_saveexec_b64 s[8:9], s[2:3]
	s_cbranch_execz .LBB59_62
.LBB59_77:                              ;   in Loop: Header=BB59_5 Depth=1
	v_add_co_u32_e32 v4, vcc, v60, v116
	v_addc_co_u32_e32 v5, vcc, v57, v117, vcc
	global_load_dword v47, v[4:5], off
	v_add_co_u32_e32 v4, vcc, v62, v116
	v_addc_co_u32_e32 v5, vcc, v59, v117, vcc
	global_load_dword v31, v[4:5], off
	s_or_b64 exec, exec, s[8:9]
	s_and_saveexec_b64 s[8:9], s[2:3]
	s_cbranch_execz .LBB59_63
.LBB59_78:                              ;   in Loop: Header=BB59_5 Depth=1
	v_add_co_u32_e32 v4, vcc, v56, v116
	v_addc_co_u32_e32 v5, vcc, v53, v117, vcc
	global_load_dword v48, v[4:5], off
	v_add_co_u32_e32 v4, vcc, v58, v116
	v_addc_co_u32_e32 v5, vcc, v55, v117, vcc
	global_load_dword v32, v[4:5], off
	s_or_b64 exec, exec, s[8:9]
	s_and_saveexec_b64 s[8:9], s[2:3]
	s_cbranch_execz .LBB59_3
.LBB59_79:                              ;   in Loop: Header=BB59_5 Depth=1
	v_add_co_u32_e32 v4, vcc, v52, v116
	v_addc_co_u32_e32 v5, vcc, v1, v117, vcc
	global_load_dword v49, v[4:5], off
	v_add_co_u32_e32 v4, vcc, v54, v116
	v_addc_co_u32_e32 v5, vcc, v51, v117, vcc
	global_load_dword v33, v[4:5], off
	s_branch .LBB59_3
.LBB59_80:
                                        ; implicit-def: $vgpr125
	s_branch .LBB59_82
.LBB59_81:
	s_cbranch_execnz .LBB59_130
.LBB59_82:
	v_mov_b32_e32 v125, 0
	s_mov_b32 s8, 0
	s_and_b64 vcc, exec, s[0:1]
	v_mov_b32_e32 v124, v125
	s_cbranch_vccnz .LBB59_130
; %bb.83:
	s_load_dword s0, s[4:5], 0x44
	s_add_u32 s2, s4, 64
	s_addc_u32 s3, s5, 0
	v_bfe_u32 v50, v122, 10, 10
	v_lshlrev_b32_e32 v0, 6, v50
	s_waitcnt lgkmcnt(0)
	s_lshl_b32 s7, s0, 8
	s_add_u32 s24, s34, 0xff
	s_addc_u32 s25, 0, 0
	s_lshl_b64 s[0:1], s[34:35], 2
	v_mov_b32_e32 v1, s1
	v_add_co_u32_e32 v4, vcc, s0, v0
	v_addc_co_u32_e32 v5, vcc, 0, v1, vcc
	v_add_co_u32_e32 v6, vcc, 4, v4
	v_addc_co_u32_e32 v0, vcc, 0, v5, vcc
	v_add_co_u32_e32 v9, vcc, 8, v4
	v_mul_lo_u32 v7, s38, v0
	v_addc_co_u32_e32 v0, vcc, 0, v5, vcc
	v_add_co_u32_e32 v12, vcc, 12, v4
	v_mul_lo_u32 v10, s38, v0
	;; [unrolled: 3-line block ×9, first 2 shown]
	v_addc_co_u32_e32 v0, vcc, 0, v5, vcc
	v_pk_mov_b32 v[2:3], s[40:41], s[40:41] op_sel:[0,1]
	v_mul_lo_u32 v34, s38, v0
	v_pk_mov_b32 v[0:1], s[42:43], s[42:43] op_sel:[0,1]
	v_mad_u64_u32 v[36:37], s[0:1], s38, v6, v[2:3]
	v_mul_lo_u32 v8, s39, v6
	v_mad_u64_u32 v[58:59], s[0:1], s38, v6, v[0:1]
	v_add_co_u32_e32 v6, vcc, 44, v4
	v_add3_u32 v37, v8, v37, v7
	v_add3_u32 v59, v8, v59, v7
	v_addc_co_u32_e32 v7, vcc, 0, v5, vcc
	v_mad_u64_u32 v[38:39], s[0:1], s38, v9, v[2:3]
	v_mul_lo_u32 v11, s39, v9
	v_mad_u64_u32 v[60:61], s[0:1], s38, v9, v[0:1]
	v_add_co_u32_e32 v9, vcc, 48, v4
	v_add3_u32 v39, v11, v39, v10
	v_add3_u32 v61, v11, v61, v10
	v_addc_co_u32_e32 v10, vcc, 0, v5, vcc
	v_mad_u64_u32 v[64:65], s[0:1], s38, v6, v[2:3]
	v_mul_lo_u32 v7, s38, v7
	v_mul_lo_u32 v8, s39, v6
	v_mad_u64_u32 v[82:83], s[0:1], s38, v6, v[0:1]
	v_add_co_u32_e32 v6, vcc, 52, v4
	v_add3_u32 v65, v8, v65, v7
	v_add3_u32 v83, v8, v83, v7
	v_addc_co_u32_e32 v7, vcc, 0, v5, vcc
	v_mad_u64_u32 v[86:87], s[0:1], s38, v6, v[2:3]
	v_mul_lo_u32 v7, s38, v7
	v_mul_lo_u32 v8, s39, v6
	v_mad_u64_u32 v[88:89], s[0:1], s38, v6, v[0:1]
	v_add_co_u32_e32 v6, vcc, 56, v4
	v_add3_u32 v87, v8, v87, v7
	v_add3_u32 v89, v8, v89, v7
	v_addc_co_u32_e32 v7, vcc, 0, v5, vcc
	v_add_co_u32_e32 v4, vcc, 60, v4
	v_addc_co_u32_e32 v5, vcc, 0, v5, vcc
	v_mad_u64_u32 v[40:41], s[0:1], s38, v12, v[2:3]
	v_mad_u64_u32 v[42:43], s[0:1], s38, v15, v[2:3]
	;; [unrolled: 1-line block ×21, first 2 shown]
	v_mul_lo_u32 v2, s38, v5
	v_mad_u64_u32 v[96:97], s[0:1], s38, v4, v[0:1]
	v_mul_lo_u32 v0, s39, v4
	v_add3_u32 v95, v0, v95, v2
	v_add3_u32 v97, v0, v97, v2
	v_lshlrev_b32_e32 v2, 4, v50
	v_mov_b32_e32 v1, s35
	v_mov_b32_e32 v0, v2
	buffer_store_dword v50, off, s[52:55], 0 offset:376 ; 4-byte Folded Spill
	buffer_store_dword v0, off, s[52:55], 0 offset:380 ; 4-byte Folded Spill
	s_nop 0
	buffer_store_dword v1, off, s[52:55], 0 offset:384 ; 4-byte Folded Spill
	v_add_co_u32_e32 v0, vcc, s34, v2
	v_mul_lo_u32 v7, s38, v7
	v_mul_lo_u32 v8, s39, v6
	v_add3_u32 v91, v8, v91, v7
	v_add3_u32 v93, v8, v93, v7
	v_mul_lo_u32 v11, s39, v9
	v_mul_lo_u32 v10, s38, v10
	v_add3_u32 v77, v11, v77, v10
	v_add3_u32 v85, v11, v85, v10
	v_mul_lo_u32 v14, s39, v12
	v_add3_u32 v41, v14, v41, v13
	v_add3_u32 v63, v14, v63, v13
	;; [unrolled: 3-line block ×8, first 2 shown]
	v_mul_lo_u32 v35, s39, v33
	v_mul_lo_u32 v33, s39, v0
	v_add3_u32 v57, v35, v57, v34
	v_add3_u32 v81, v35, v81, v34
	v_mov_b32_e32 v34, s43
	v_addc_co_u32_e32 v1, vcc, 0, v1, vcc
	v_add_co_u32_e32 v2, vcc, 15, v0
	v_addc_co_u32_e32 v3, vcc, 0, v1, vcc
	v_mul_lo_u32 v4, s38, v3
	v_mul_lo_u32 v5, s39, v2
	v_mad_u64_u32 v[2:3], s[0:1], s38, v2, 0
	v_add3_u32 v3, v3, v4, v5
	v_add_co_u32_e32 v4, vcc, 14, v0
	v_addc_co_u32_e32 v5, vcc, 0, v1, vcc
	v_mul_lo_u32 v6, s38, v5
	v_mul_lo_u32 v7, s39, v4
	v_mad_u64_u32 v[4:5], s[0:1], s38, v4, 0
	v_add3_u32 v5, v5, v6, v7
	;; [unrolled: 6-line block ×14, first 2 shown]
	v_pk_mov_b32 v[30:31], s[38:39], s[38:39] op_sel:[0,1]
	v_mul_lo_u32 v32, s38, v1
	v_mad_u64_u32 v[30:31], s[0:1], s38, v0, v[30:31]
	v_mad_u64_u32 v[0:1], s[0:1], s38, v0, 0
	v_add3_u32 v1, v1, v32, v33
	v_add3_u32 v31, v33, v31, v32
	v_lshlrev_b64 v[32:33], 2, v[0:1]
	v_mov_b32_e32 v0, s41
	v_add_co_u32_e32 v100, vcc, s40, v32
	v_addc_co_u32_e32 v1, vcc, v0, v33, vcc
	v_add_co_u32_e32 v102, vcc, s42, v32
	v_addc_co_u32_e32 v99, vcc, v34, v33, vcc
	v_lshlrev_b64 v[2:3], 2, v[2:3]
	v_add_co_u32_e32 v32, vcc, s40, v2
	buffer_store_dword v32, off, s[52:55], 0 ; 4-byte Folded Spill
	s_nop 0
	buffer_store_dword v33, off, s[52:55], 0 offset:4 ; 4-byte Folded Spill
	v_addc_co_u32_e32 v33, vcc, v0, v3, vcc
	v_add_co_u32_e32 v2, vcc, s42, v2
	buffer_store_dword v32, off, s[52:55], 0 offset:8 ; 4-byte Folded Spill
	s_nop 0
	buffer_store_dword v33, off, s[52:55], 0 offset:12 ; 4-byte Folded Spill
	buffer_store_dword v2, off, s[52:55], 0 offset:16 ; 4-byte Folded Spill
	s_nop 0
	buffer_store_dword v3, off, s[52:55], 0 offset:20 ; 4-byte Folded Spill
	s_mul_i32 s0, s39, s7
	s_mul_hi_u32 s1, s38, s7
	s_add_i32 s1, s1, s0
	s_mul_i32 s0, s38, s7
	s_lshl_b64 s[26:27], s[0:1], 2
	v_addc_co_u32_e32 v3, vcc, v34, v3, vcc
	buffer_store_dword v2, off, s[52:55], 0 offset:24 ; 4-byte Folded Spill
	s_nop 0
	buffer_store_dword v3, off, s[52:55], 0 offset:28 ; 4-byte Folded Spill
	v_lshlrev_b64 v[2:3], 2, v[4:5]
	v_add_co_u32_e32 v4, vcc, s40, v2
	buffer_store_dword v4, off, s[52:55], 0 offset:32 ; 4-byte Folded Spill
	s_nop 0
	buffer_store_dword v5, off, s[52:55], 0 offset:36 ; 4-byte Folded Spill
	v_addc_co_u32_e32 v5, vcc, v0, v3, vcc
	v_add_co_u32_e32 v2, vcc, s42, v2
	buffer_store_dword v4, off, s[52:55], 0 offset:40 ; 4-byte Folded Spill
	s_nop 0
	buffer_store_dword v5, off, s[52:55], 0 offset:44 ; 4-byte Folded Spill
	buffer_store_dword v2, off, s[52:55], 0 offset:48 ; 4-byte Folded Spill
	s_nop 0
	buffer_store_dword v3, off, s[52:55], 0 offset:52 ; 4-byte Folded Spill
	v_addc_co_u32_e32 v3, vcc, v34, v3, vcc
	buffer_store_dword v2, off, s[52:55], 0 offset:56 ; 4-byte Folded Spill
	s_nop 0
	buffer_store_dword v3, off, s[52:55], 0 offset:60 ; 4-byte Folded Spill
	v_lshlrev_b64 v[2:3], 2, v[6:7]
	v_add_co_u32_e32 v4, vcc, s40, v2
	buffer_store_dword v4, off, s[52:55], 0 offset:64 ; 4-byte Folded Spill
	s_nop 0
	buffer_store_dword v5, off, s[52:55], 0 offset:68 ; 4-byte Folded Spill
	v_addc_co_u32_e32 v5, vcc, v0, v3, vcc
	v_add_co_u32_e32 v2, vcc, s42, v2
	buffer_store_dword v4, off, s[52:55], 0 offset:72 ; 4-byte Folded Spill
	s_nop 0
	buffer_store_dword v5, off, s[52:55], 0 offset:76 ; 4-byte Folded Spill
	buffer_store_dword v2, off, s[52:55], 0 offset:80 ; 4-byte Folded Spill
	s_nop 0
	buffer_store_dword v3, off, s[52:55], 0 offset:84 ; 4-byte Folded Spill
	;; [unrolled: 17-line block ×9, first 2 shown]
	v_addc_co_u32_e32 v3, vcc, v34, v3, vcc
	buffer_store_dword v2, off, s[52:55], 0 offset:312 ; 4-byte Folded Spill
	s_nop 0
	buffer_store_dword v3, off, s[52:55], 0 offset:316 ; 4-byte Folded Spill
	v_lshlrev_b64 v[2:3], 2, v[22:23]
	v_add_co_u32_e32 v124, vcc, s40, v2
	v_addc_co_u32_e32 v107, vcc, v0, v3, vcc
	v_add_co_u32_e32 v126, vcc, s42, v2
	v_addc_co_u32_e32 v109, vcc, v34, v3, vcc
	v_lshlrev_b64 v[2:3], 2, v[24:25]
	v_add_co_u32_e32 v110, vcc, s40, v2
	v_addc_co_u32_e32 v113, vcc, v0, v3, vcc
	v_add_co_u32_e32 v114, vcc, s42, v2
	v_addc_co_u32_e32 v3, vcc, v34, v3, vcc
	buffer_store_dword v2, off, s[52:55], 0 offset:320 ; 4-byte Folded Spill
	s_nop 0
	buffer_store_dword v3, off, s[52:55], 0 offset:324 ; 4-byte Folded Spill
	v_lshlrev_b64 v[2:3], 2, v[26:27]
	v_add_co_u32_e32 v4, vcc, s40, v2
	buffer_store_dword v4, off, s[52:55], 0 offset:328 ; 4-byte Folded Spill
	s_nop 0
	buffer_store_dword v5, off, s[52:55], 0 offset:332 ; 4-byte Folded Spill
	v_addc_co_u32_e32 v5, vcc, v0, v3, vcc
	v_add_co_u32_e32 v2, vcc, s42, v2
	buffer_store_dword v4, off, s[52:55], 0 offset:336 ; 4-byte Folded Spill
	s_nop 0
	buffer_store_dword v5, off, s[52:55], 0 offset:340 ; 4-byte Folded Spill
	buffer_store_dword v2, off, s[52:55], 0 offset:344 ; 4-byte Folded Spill
	s_nop 0
	buffer_store_dword v3, off, s[52:55], 0 offset:348 ; 4-byte Folded Spill
	v_addc_co_u32_e32 v3, vcc, v34, v3, vcc
	buffer_store_dword v2, off, s[52:55], 0 offset:352 ; 4-byte Folded Spill
	s_nop 0
	buffer_store_dword v3, off, s[52:55], 0 offset:356 ; 4-byte Folded Spill
	v_lshlrev_b64 v[2:3], 2, v[28:29]
	v_add_co_u32_e32 v4, vcc, s40, v2
	v_addc_co_u32_e32 v125, vcc, v0, v3, vcc
	v_add_co_u32_e32 v106, vcc, s42, v2
	v_addc_co_u32_e32 v127, vcc, v34, v3, vcc
	v_lshlrev_b64 v[2:3], 2, v[30:31]
	v_add_co_u32_e32 v108, vcc, s40, v2
	v_addc_co_u32_e32 v111, vcc, v0, v3, vcc
	v_and_b32_e32 v0, 0x3ff, v122
	buffer_store_dword v4, off, s[52:55], 0 offset:360 ; 4-byte Folded Spill
	s_nop 0
	buffer_store_dword v5, off, s[52:55], 0 offset:364 ; 4-byte Folded Spill
	v_add_co_u32_e32 v112, vcc, s42, v2
	buffer_store_dword v0, off, s[52:55], 0 offset:388 ; 4-byte Folded Spill
	v_add_u32_e32 v2, s33, v0
	v_mbcnt_lo_u32_b32 v0, -1, 0
	v_mbcnt_hi_u32_b32 v0, -1, v0
	v_addc_co_u32_e32 v115, vcc, v34, v3, vcc
	v_mov_b32_e32 v3, 0
	v_lshlrev_b32_e32 v0, 2, v0
	v_and_b32_e32 v98, 0x100, v0
	v_mov_b32_e32 v4, v3
	v_mov_b32_e32 v5, v3
	v_lshlrev_b64 v[116:117], 2, v[2:3]
	buffer_store_dword v122, off, s[52:55], 0 offset:392 ; 4-byte Folded Spill
	buffer_store_dword v4, off, s[52:55], 0 offset:368 ; 4-byte Folded Spill
	s_nop 0
	buffer_store_dword v5, off, s[52:55], 0 offset:372 ; 4-byte Folded Spill
	s_branch .LBB59_87
.LBB59_84:                              ;   in Loop: Header=BB59_87 Depth=1
	s_or_b64 exec, exec, s[10:11]
.LBB59_85:                              ;   in Loop: Header=BB59_87 Depth=1
	s_or_b64 exec, exec, s[0:1]
	v_add_co_u32_e32 v4, vcc, v100, v116
	v_addc_co_u32_e32 v5, vcc, v1, v117, vcc
	global_load_dword v19, v[4:5], off
	v_add_co_u32_e32 v4, vcc, v102, v116
	v_addc_co_u32_e32 v5, vcc, v99, v117, vcc
	global_load_dword v14, v[4:5], off
	;; [unrolled: 3-line block ×12, first 2 shown]
	v_add_co_u32_e32 v4, vcc, v46, v116
	s_waitcnt vmcnt(13)
	ds_bpermute_b32 v18, v98, v32
	v_addc_co_u32_e32 v5, vcc, v47, v117, vcc
	v_add_co_u32_e32 v6, vcc, v70, v116
	s_waitcnt vmcnt(12)
	ds_bpermute_b32 v22, v98, v2
	v_addc_co_u32_e32 v7, vcc, v71, v117, vcc
	global_load_dword v5, v[4:5], off
	v_add_co_u32_e64 v34, s[0:1], v92, v116
	global_load_dword v4, v[6:7], off
	v_add_co_u32_e32 v6, vcc, v48, v116
	v_addc_co_u32_e32 v7, vcc, v49, v117, vcc
	v_add_co_u32_e32 v8, vcc, v72, v116
	v_addc_co_u32_e32 v9, vcc, v73, v117, vcc
	global_load_dword v7, v[6:7], off
	v_addc_co_u32_e64 v35, s[0:1], v93, v117, s[0:1]
	global_load_dword v6, v[8:9], off
	v_add_co_u32_e32 v8, vcc, v52, v116
	v_addc_co_u32_e32 v9, vcc, v53, v117, vcc
	s_waitcnt vmcnt(14) lgkmcnt(1)
	v_sub_f32_e32 v14, v14, v18
	v_mul_f32_e32 v14, v19, v14
	s_waitcnt lgkmcnt(0)
	v_mul_f32_e32 v18, v14, v22
	ds_bpermute_b32 v14, v98, v32 offset:4
	ds_bpermute_b32 v22, v98, v2 offset:4
	v_add_co_u32_e32 v10, vcc, v74, v116
	v_addc_co_u32_e32 v11, vcc, v75, v117, vcc
	global_load_dword v9, v[8:9], off
	s_waitcnt vmcnt(13) lgkmcnt(1)
	v_sub_f32_e32 v14, v20, v14
	global_load_dword v8, v[10:11], off
	v_add_co_u32_e32 v10, vcc, v54, v116
	ds_bpermute_b32 v20, v98, v32 offset:8
	v_addc_co_u32_e32 v11, vcc, v55, v117, vcc
	v_mul_f32_e32 v14, v23, v14
	v_add_co_u32_e32 v12, vcc, v78, v116
	s_waitcnt lgkmcnt(1)
	v_mul_f32_e32 v22, v14, v22
	ds_bpermute_b32 v14, v98, v2 offset:8
	v_addc_co_u32_e32 v13, vcc, v79, v117, vcc
	global_load_dword v11, v[10:11], off
	s_waitcnt vmcnt(13) lgkmcnt(1)
	v_sub_f32_e32 v20, v24, v20
	global_load_dword v10, v[12:13], off
	v_add_co_u32_e32 v12, vcc, v56, v116
	v_addc_co_u32_e32 v13, vcc, v57, v117, vcc
	global_load_dword v15, v[12:13], off
	v_add_co_u32_e32 v12, vcc, v80, v116
	v_mul_f32_e32 v20, v25, v20
	v_addc_co_u32_e32 v13, vcc, v81, v117, vcc
	s_waitcnt lgkmcnt(0)
	v_mul_f32_e32 v24, v20, v14
	ds_bpermute_b32 v14, v98, v32 offset:12
	v_add_co_u32_e32 v16, vcc, v64, v116
	v_addc_co_u32_e32 v17, vcc, v65, v117, vcc
	ds_bpermute_b32 v20, v98, v2 offset:12
	global_load_dword v12, v[12:13], off
	s_waitcnt vmcnt(14) lgkmcnt(1)
	v_sub_f32_e32 v14, v26, v14
	global_load_dword v13, v[16:17], off
	v_add_co_u32_e32 v16, vcc, v82, v116
	v_addc_co_u32_e32 v17, vcc, v83, v117, vcc
	global_load_dword v0, v[16:17], off
	v_add_co_u32_e32 v16, vcc, v76, v116
	v_addc_co_u32_e32 v17, vcc, v77, v117, vcc
	v_mul_f32_e32 v14, v21, v14
	v_add_co_u32_e32 v30, vcc, v84, v116
	s_waitcnt lgkmcnt(0)
	v_mul_f32_e32 v20, v14, v20
	ds_bpermute_b32 v14, v98, v32 offset:16
	v_addc_co_u32_e32 v31, vcc, v85, v117, vcc
	global_load_dword v17, v[16:17], off
	ds_bpermute_b32 v26, v98, v2 offset:16
	global_load_dword v16, v[30:31], off
	v_add_co_u32_e32 v30, vcc, v88, v116
	v_addc_co_u32_e32 v31, vcc, v89, v117, vcc
	v_add_co_u32_e32 v118, vcc, v86, v116
	v_addc_co_u32_e32 v119, vcc, v87, v117, vcc
	s_waitcnt vmcnt(16) lgkmcnt(1)
	v_sub_f32_e32 v14, v28, v14
	ds_bpermute_b32 v28, v98, v32 offset:20
	v_add_co_u32_e32 v120, vcc, v96, v116
	v_addc_co_u32_e32 v121, vcc, v97, v117, vcc
	global_load_dword v30, v[30:31], off
	v_mul_f32_e32 v14, v27, v14
	global_load_dword v31, v[118:119], off
	v_add_co_u32_e32 v118, vcc, v90, v116
	v_addc_co_u32_e32 v119, vcc, v91, v117, vcc
	global_load_dword v34, v[34:35], off
	s_waitcnt lgkmcnt(1)
	v_mul_f32_e32 v26, v14, v26
	global_load_dword v35, v[120:121], off
	s_waitcnt vmcnt(18) lgkmcnt(0)
	v_sub_f32_e32 v14, v33, v28
	global_load_dword v33, v[118:119], off
	buffer_load_dword v50, off, s[52:55], 0 offset:368 ; 4-byte Folded Reload
	buffer_load_dword v51, off, s[52:55], 0 offset:372 ; 4-byte Folded Reload
	ds_bpermute_b32 v28, v98, v2 offset:20
	v_mul_f32_e32 v14, v29, v14
	v_add_co_u32_e32 v118, vcc, v94, v116
	v_addc_co_u32_e32 v119, vcc, v95, v117, vcc
	s_waitcnt lgkmcnt(0)
	v_mul_f32_e32 v28, v14, v28
	ds_bpermute_b32 v14, v98, v32 offset:24
	s_waitcnt vmcnt(19) lgkmcnt(0)
	v_sub_f32_e32 v4, v4, v14
	ds_bpermute_b32 v14, v98, v32 offset:28
	v_mul_f32_e32 v4, v5, v4
	s_waitcnt vmcnt(17) lgkmcnt(0)
	v_sub_f32_e32 v6, v6, v14
	ds_bpermute_b32 v14, v98, v2 offset:32
	v_mul_f32_e32 v6, v7, v6
	s_waitcnt vmcnt(0)
	v_pk_add_f32 v[18:19], v[50:51], v[18:19]
	v_pk_add_f32 v[18:19], v[18:19], v[22:23]
	v_pk_add_f32 v[18:19], v[18:19], v[24:25]
	v_pk_add_f32 v[18:19], v[18:19], v[20:21]
	v_pk_add_f32 v[18:19], v[18:19], v[26:27]
	v_pk_add_f32 v[20:21], v[18:19], v[28:29]
	ds_bpermute_b32 v19, v98, v32 offset:32
	ds_bpermute_b32 v18, v98, v2 offset:28
	;; [unrolled: 1-line block ×3, first 2 shown]
	s_waitcnt lgkmcnt(2)
	v_sub_f32_e32 v8, v8, v19
	global_load_dword v19, v[118:119], off
	v_mul_f32_e32 v8, v9, v8
	v_mul_f32_e32 v8, v8, v14
	ds_bpermute_b32 v14, v98, v32 offset:36
	s_waitcnt lgkmcnt(2)
	v_mul_f32_e32 v6, v6, v18
	ds_bpermute_b32 v18, v98, v2 offset:40
	s_waitcnt lgkmcnt(2)
	;; [unrolled: 3-line block ×3, first 2 shown]
	v_sub_f32_e32 v10, v10, v14
	ds_bpermute_b32 v14, v98, v2 offset:36
	v_mul_f32_e32 v10, v11, v10
	v_pk_add_f32 v[4:5], v[20:21], v[4:5]
	s_waitcnt lgkmcnt(1)
	v_sub_f32_e32 v0, v0, v22
	v_mul_f32_e32 v0, v13, v0
	s_waitcnt lgkmcnt(0)
	v_mul_f32_e32 v10, v10, v14
	ds_bpermute_b32 v14, v98, v32 offset:40
	ds_bpermute_b32 v22, v98, v32 offset:52
	v_pk_add_f32 v[4:5], v[4:5], v[6:7]
	ds_bpermute_b32 v6, v98, v2 offset:56
	ds_bpermute_b32 v7, v98, v32 offset:60
	s_waitcnt lgkmcnt(3)
	v_sub_f32_e32 v12, v12, v14
	v_mul_f32_e32 v12, v15, v12
	v_mul_f32_e32 v14, v12, v18
	ds_bpermute_b32 v12, v98, v2 offset:44
	ds_bpermute_b32 v18, v98, v32 offset:48
	v_pk_add_f32 v[4:5], v[4:5], v[8:9]
	v_pk_add_f32 v[4:5], v[4:5], v[10:11]
	;; [unrolled: 1-line block ×3, first 2 shown]
	s_waitcnt lgkmcnt(1)
	v_mul_f32_e32 v12, v0, v12
	ds_bpermute_b32 v0, v98, v2 offset:48
	s_waitcnt lgkmcnt(1)
	v_sub_f32_e32 v16, v16, v18
	ds_bpermute_b32 v18, v98, v2 offset:52
	v_mul_f32_e32 v16, v17, v16
	ds_bpermute_b32 v2, v98, v2 offset:60
	s_waitcnt lgkmcnt(2)
	v_mul_f32_e32 v16, v16, v0
	v_sub_f32_e32 v0, v30, v22
	v_mul_f32_e32 v0, v31, v0
	s_waitcnt lgkmcnt(1)
	v_mul_f32_e32 v30, v0, v18
	ds_bpermute_b32 v0, v98, v32 offset:56
	v_pk_add_f32 v[4:5], v[4:5], v[12:13]
	v_pk_add_f32 v[4:5], v[4:5], v[16:17]
	;; [unrolled: 1-line block ×3, first 2 shown]
	s_waitcnt lgkmcnt(0)
	v_sub_f32_e32 v0, v34, v0
	v_mul_f32_e32 v0, v33, v0
	v_mul_f32_e32 v32, v0, v6
	v_sub_f32_e32 v0, v35, v7
	v_pk_add_f32 v[4:5], v[4:5], v[32:33]
	s_waitcnt vmcnt(0)
	v_mul_f32_e32 v0, v19, v0
	v_mul_f32_e32 v18, v0, v2
.LBB59_86:                              ;   in Loop: Header=BB59_87 Depth=1
	s_waitcnt vmcnt(0)
	v_pk_add_f32 v[4:5], v[4:5], v[18:19]
	buffer_store_dword v4, off, s[52:55], 0 offset:368 ; 4-byte Folded Spill
	s_nop 0
	buffer_store_dword v5, off, s[52:55], 0 offset:372 ; 4-byte Folded Spill
	buffer_load_dword v4, off, s[52:55], 0  ; 4-byte Folded Reload
	s_nop 0
	buffer_load_dword v5, off, s[52:55], 0 offset:4 ; 4-byte Folded Reload
	v_add_co_u32_e32 v36, vcc, s26, v36
	v_mov_b32_e32 v0, s27
	v_addc_co_u32_e32 v37, vcc, v37, v0, vcc
	v_add_co_u32_e32 v38, vcc, s26, v38
	v_addc_co_u32_e32 v39, vcc, v39, v0, vcc
	v_add_co_u32_e32 v40, vcc, s26, v40
	;; [unrolled: 2-line block ×31, first 2 shown]
	v_addc_co_u32_e32 v99, vcc, v99, v0, vcc
	s_waitcnt vmcnt(1)
	v_add_co_u32_e32 v4, vcc, s26, v4
	s_waitcnt vmcnt(0)
	buffer_store_dword v4, off, s[52:55], 0 ; 4-byte Folded Spill
	s_nop 0
	buffer_store_dword v5, off, s[52:55], 0 offset:4 ; 4-byte Folded Spill
	buffer_load_dword v4, off, s[52:55], 0 offset:8 ; 4-byte Folded Reload
	s_nop 0
	buffer_load_dword v5, off, s[52:55], 0 offset:12 ; 4-byte Folded Reload
	s_add_u32 s34, s34, s7
	s_addc_u32 s35, s35, 0
	s_add_u32 s24, s24, s7
	s_addc_u32 s25, s25, 0
	s_waitcnt vmcnt(0)
	v_addc_co_u32_e32 v5, vcc, v5, v0, vcc
	buffer_store_dword v4, off, s[52:55], 0 offset:8 ; 4-byte Folded Spill
	s_nop 0
	buffer_store_dword v5, off, s[52:55], 0 offset:12 ; 4-byte Folded Spill
	buffer_load_dword v4, off, s[52:55], 0 offset:16 ; 4-byte Folded Reload
	s_nop 0
	buffer_load_dword v5, off, s[52:55], 0 offset:20 ; 4-byte Folded Reload
	s_waitcnt vmcnt(1)
	v_add_co_u32_e32 v4, vcc, s26, v4
	s_waitcnt vmcnt(0)
	buffer_store_dword v4, off, s[52:55], 0 offset:16 ; 4-byte Folded Spill
	s_nop 0
	buffer_store_dword v5, off, s[52:55], 0 offset:20 ; 4-byte Folded Spill
	buffer_load_dword v4, off, s[52:55], 0 offset:24 ; 4-byte Folded Reload
	s_nop 0
	buffer_load_dword v5, off, s[52:55], 0 offset:28 ; 4-byte Folded Reload
	s_waitcnt vmcnt(0)
	v_addc_co_u32_e32 v5, vcc, v5, v0, vcc
	buffer_store_dword v4, off, s[52:55], 0 offset:24 ; 4-byte Folded Spill
	s_nop 0
	buffer_store_dword v5, off, s[52:55], 0 offset:28 ; 4-byte Folded Spill
	buffer_load_dword v4, off, s[52:55], 0 offset:32 ; 4-byte Folded Reload
	s_nop 0
	buffer_load_dword v5, off, s[52:55], 0 offset:36 ; 4-byte Folded Reload
	s_waitcnt vmcnt(1)
	v_add_co_u32_e32 v4, vcc, s26, v4
	s_waitcnt vmcnt(0)
	buffer_store_dword v4, off, s[52:55], 0 offset:32 ; 4-byte Folded Spill
	s_nop 0
	buffer_store_dword v5, off, s[52:55], 0 offset:36 ; 4-byte Folded Spill
	buffer_load_dword v4, off, s[52:55], 0 offset:40 ; 4-byte Folded Reload
	s_nop 0
	buffer_load_dword v5, off, s[52:55], 0 offset:44 ; 4-byte Folded Reload
	s_waitcnt vmcnt(0)
	v_addc_co_u32_e32 v5, vcc, v5, v0, vcc
	buffer_store_dword v4, off, s[52:55], 0 offset:40 ; 4-byte Folded Spill
	s_nop 0
	buffer_store_dword v5, off, s[52:55], 0 offset:44 ; 4-byte Folded Spill
	buffer_load_dword v4, off, s[52:55], 0 offset:48 ; 4-byte Folded Reload
	s_nop 0
	buffer_load_dword v5, off, s[52:55], 0 offset:52 ; 4-byte Folded Reload
	s_waitcnt vmcnt(1)
	v_add_co_u32_e32 v4, vcc, s26, v4
	s_waitcnt vmcnt(0)
	buffer_store_dword v4, off, s[52:55], 0 offset:48 ; 4-byte Folded Spill
	s_nop 0
	buffer_store_dword v5, off, s[52:55], 0 offset:52 ; 4-byte Folded Spill
	buffer_load_dword v4, off, s[52:55], 0 offset:56 ; 4-byte Folded Reload
	s_nop 0
	buffer_load_dword v5, off, s[52:55], 0 offset:60 ; 4-byte Folded Reload
	s_waitcnt vmcnt(0)
	v_addc_co_u32_e32 v5, vcc, v5, v0, vcc
	buffer_store_dword v4, off, s[52:55], 0 offset:56 ; 4-byte Folded Spill
	s_nop 0
	buffer_store_dword v5, off, s[52:55], 0 offset:60 ; 4-byte Folded Spill
	buffer_load_dword v4, off, s[52:55], 0 offset:64 ; 4-byte Folded Reload
	s_nop 0
	buffer_load_dword v5, off, s[52:55], 0 offset:68 ; 4-byte Folded Reload
	s_waitcnt vmcnt(1)
	v_add_co_u32_e32 v4, vcc, s26, v4
	s_waitcnt vmcnt(0)
	buffer_store_dword v4, off, s[52:55], 0 offset:64 ; 4-byte Folded Spill
	s_nop 0
	buffer_store_dword v5, off, s[52:55], 0 offset:68 ; 4-byte Folded Spill
	buffer_load_dword v4, off, s[52:55], 0 offset:72 ; 4-byte Folded Reload
	s_nop 0
	buffer_load_dword v5, off, s[52:55], 0 offset:76 ; 4-byte Folded Reload
	s_waitcnt vmcnt(0)
	v_addc_co_u32_e32 v5, vcc, v5, v0, vcc
	buffer_store_dword v4, off, s[52:55], 0 offset:72 ; 4-byte Folded Spill
	s_nop 0
	buffer_store_dword v5, off, s[52:55], 0 offset:76 ; 4-byte Folded Spill
	buffer_load_dword v4, off, s[52:55], 0 offset:80 ; 4-byte Folded Reload
	s_nop 0
	buffer_load_dword v5, off, s[52:55], 0 offset:84 ; 4-byte Folded Reload
	s_waitcnt vmcnt(1)
	v_add_co_u32_e32 v4, vcc, s26, v4
	s_waitcnt vmcnt(0)
	buffer_store_dword v4, off, s[52:55], 0 offset:80 ; 4-byte Folded Spill
	s_nop 0
	buffer_store_dword v5, off, s[52:55], 0 offset:84 ; 4-byte Folded Spill
	buffer_load_dword v4, off, s[52:55], 0 offset:88 ; 4-byte Folded Reload
	s_nop 0
	buffer_load_dword v5, off, s[52:55], 0 offset:92 ; 4-byte Folded Reload
	s_waitcnt vmcnt(0)
	v_addc_co_u32_e32 v5, vcc, v5, v0, vcc
	buffer_store_dword v4, off, s[52:55], 0 offset:88 ; 4-byte Folded Spill
	s_nop 0
	buffer_store_dword v5, off, s[52:55], 0 offset:92 ; 4-byte Folded Spill
	buffer_load_dword v4, off, s[52:55], 0 offset:96 ; 4-byte Folded Reload
	s_nop 0
	buffer_load_dword v5, off, s[52:55], 0 offset:100 ; 4-byte Folded Reload
	s_waitcnt vmcnt(1)
	v_add_co_u32_e32 v4, vcc, s26, v4
	s_waitcnt vmcnt(0)
	buffer_store_dword v4, off, s[52:55], 0 offset:96 ; 4-byte Folded Spill
	s_nop 0
	buffer_store_dword v5, off, s[52:55], 0 offset:100 ; 4-byte Folded Spill
	buffer_load_dword v4, off, s[52:55], 0 offset:104 ; 4-byte Folded Reload
	s_nop 0
	buffer_load_dword v5, off, s[52:55], 0 offset:108 ; 4-byte Folded Reload
	s_waitcnt vmcnt(0)
	v_addc_co_u32_e32 v5, vcc, v5, v0, vcc
	buffer_store_dword v4, off, s[52:55], 0 offset:104 ; 4-byte Folded Spill
	s_nop 0
	buffer_store_dword v5, off, s[52:55], 0 offset:108 ; 4-byte Folded Spill
	buffer_load_dword v4, off, s[52:55], 0 offset:112 ; 4-byte Folded Reload
	s_nop 0
	buffer_load_dword v5, off, s[52:55], 0 offset:116 ; 4-byte Folded Reload
	s_waitcnt vmcnt(1)
	v_add_co_u32_e32 v4, vcc, s26, v4
	s_waitcnt vmcnt(0)
	buffer_store_dword v4, off, s[52:55], 0 offset:112 ; 4-byte Folded Spill
	s_nop 0
	buffer_store_dword v5, off, s[52:55], 0 offset:116 ; 4-byte Folded Spill
	buffer_load_dword v4, off, s[52:55], 0 offset:120 ; 4-byte Folded Reload
	s_nop 0
	buffer_load_dword v5, off, s[52:55], 0 offset:124 ; 4-byte Folded Reload
	s_waitcnt vmcnt(0)
	v_addc_co_u32_e32 v5, vcc, v5, v0, vcc
	buffer_store_dword v4, off, s[52:55], 0 offset:120 ; 4-byte Folded Spill
	s_nop 0
	buffer_store_dword v5, off, s[52:55], 0 offset:124 ; 4-byte Folded Spill
	buffer_load_dword v4, off, s[52:55], 0 offset:128 ; 4-byte Folded Reload
	s_nop 0
	buffer_load_dword v5, off, s[52:55], 0 offset:132 ; 4-byte Folded Reload
	s_waitcnt vmcnt(1)
	v_add_co_u32_e32 v4, vcc, s26, v4
	s_waitcnt vmcnt(0)
	buffer_store_dword v4, off, s[52:55], 0 offset:128 ; 4-byte Folded Spill
	s_nop 0
	buffer_store_dword v5, off, s[52:55], 0 offset:132 ; 4-byte Folded Spill
	buffer_load_dword v4, off, s[52:55], 0 offset:136 ; 4-byte Folded Reload
	s_nop 0
	buffer_load_dword v5, off, s[52:55], 0 offset:140 ; 4-byte Folded Reload
	s_waitcnt vmcnt(0)
	v_addc_co_u32_e32 v5, vcc, v5, v0, vcc
	buffer_store_dword v4, off, s[52:55], 0 offset:136 ; 4-byte Folded Spill
	s_nop 0
	buffer_store_dword v5, off, s[52:55], 0 offset:140 ; 4-byte Folded Spill
	buffer_load_dword v4, off, s[52:55], 0 offset:144 ; 4-byte Folded Reload
	s_nop 0
	buffer_load_dword v5, off, s[52:55], 0 offset:148 ; 4-byte Folded Reload
	s_waitcnt vmcnt(1)
	v_add_co_u32_e32 v4, vcc, s26, v4
	s_waitcnt vmcnt(0)
	buffer_store_dword v4, off, s[52:55], 0 offset:144 ; 4-byte Folded Spill
	s_nop 0
	buffer_store_dword v5, off, s[52:55], 0 offset:148 ; 4-byte Folded Spill
	buffer_load_dword v4, off, s[52:55], 0 offset:152 ; 4-byte Folded Reload
	s_nop 0
	buffer_load_dword v5, off, s[52:55], 0 offset:156 ; 4-byte Folded Reload
	s_waitcnt vmcnt(0)
	v_addc_co_u32_e32 v5, vcc, v5, v0, vcc
	buffer_store_dword v4, off, s[52:55], 0 offset:152 ; 4-byte Folded Spill
	s_nop 0
	buffer_store_dword v5, off, s[52:55], 0 offset:156 ; 4-byte Folded Spill
	buffer_load_dword v4, off, s[52:55], 0 offset:160 ; 4-byte Folded Reload
	s_nop 0
	buffer_load_dword v5, off, s[52:55], 0 offset:164 ; 4-byte Folded Reload
	s_waitcnt vmcnt(1)
	v_add_co_u32_e32 v4, vcc, s26, v4
	s_waitcnt vmcnt(0)
	buffer_store_dword v4, off, s[52:55], 0 offset:160 ; 4-byte Folded Spill
	s_nop 0
	buffer_store_dword v5, off, s[52:55], 0 offset:164 ; 4-byte Folded Spill
	buffer_load_dword v4, off, s[52:55], 0 offset:168 ; 4-byte Folded Reload
	s_nop 0
	buffer_load_dword v5, off, s[52:55], 0 offset:172 ; 4-byte Folded Reload
	s_waitcnt vmcnt(0)
	v_addc_co_u32_e32 v5, vcc, v5, v0, vcc
	buffer_store_dword v4, off, s[52:55], 0 offset:168 ; 4-byte Folded Spill
	s_nop 0
	buffer_store_dword v5, off, s[52:55], 0 offset:172 ; 4-byte Folded Spill
	buffer_load_dword v4, off, s[52:55], 0 offset:176 ; 4-byte Folded Reload
	s_nop 0
	buffer_load_dword v5, off, s[52:55], 0 offset:180 ; 4-byte Folded Reload
	s_waitcnt vmcnt(1)
	v_add_co_u32_e32 v4, vcc, s26, v4
	s_waitcnt vmcnt(0)
	buffer_store_dword v4, off, s[52:55], 0 offset:176 ; 4-byte Folded Spill
	s_nop 0
	buffer_store_dword v5, off, s[52:55], 0 offset:180 ; 4-byte Folded Spill
	buffer_load_dword v4, off, s[52:55], 0 offset:184 ; 4-byte Folded Reload
	s_nop 0
	buffer_load_dword v5, off, s[52:55], 0 offset:188 ; 4-byte Folded Reload
	s_waitcnt vmcnt(0)
	v_addc_co_u32_e32 v5, vcc, v5, v0, vcc
	buffer_store_dword v4, off, s[52:55], 0 offset:184 ; 4-byte Folded Spill
	s_nop 0
	buffer_store_dword v5, off, s[52:55], 0 offset:188 ; 4-byte Folded Spill
	buffer_load_dword v4, off, s[52:55], 0 offset:192 ; 4-byte Folded Reload
	s_nop 0
	buffer_load_dword v5, off, s[52:55], 0 offset:196 ; 4-byte Folded Reload
	s_waitcnt vmcnt(1)
	v_add_co_u32_e32 v4, vcc, s26, v4
	s_waitcnt vmcnt(0)
	buffer_store_dword v4, off, s[52:55], 0 offset:192 ; 4-byte Folded Spill
	s_nop 0
	buffer_store_dword v5, off, s[52:55], 0 offset:196 ; 4-byte Folded Spill
	buffer_load_dword v4, off, s[52:55], 0 offset:200 ; 4-byte Folded Reload
	s_nop 0
	buffer_load_dword v5, off, s[52:55], 0 offset:204 ; 4-byte Folded Reload
	s_waitcnt vmcnt(0)
	v_addc_co_u32_e32 v5, vcc, v5, v0, vcc
	buffer_store_dword v4, off, s[52:55], 0 offset:200 ; 4-byte Folded Spill
	s_nop 0
	buffer_store_dword v5, off, s[52:55], 0 offset:204 ; 4-byte Folded Spill
	buffer_load_dword v4, off, s[52:55], 0 offset:208 ; 4-byte Folded Reload
	s_nop 0
	buffer_load_dword v5, off, s[52:55], 0 offset:212 ; 4-byte Folded Reload
	s_waitcnt vmcnt(1)
	v_add_co_u32_e32 v4, vcc, s26, v4
	s_waitcnt vmcnt(0)
	buffer_store_dword v4, off, s[52:55], 0 offset:208 ; 4-byte Folded Spill
	s_nop 0
	buffer_store_dword v5, off, s[52:55], 0 offset:212 ; 4-byte Folded Spill
	buffer_load_dword v4, off, s[52:55], 0 offset:216 ; 4-byte Folded Reload
	s_nop 0
	buffer_load_dword v5, off, s[52:55], 0 offset:220 ; 4-byte Folded Reload
	s_waitcnt vmcnt(0)
	v_addc_co_u32_e32 v5, vcc, v5, v0, vcc
	buffer_store_dword v4, off, s[52:55], 0 offset:216 ; 4-byte Folded Spill
	s_nop 0
	buffer_store_dword v5, off, s[52:55], 0 offset:220 ; 4-byte Folded Spill
	buffer_load_dword v4, off, s[52:55], 0 offset:224 ; 4-byte Folded Reload
	s_nop 0
	buffer_load_dword v5, off, s[52:55], 0 offset:228 ; 4-byte Folded Reload
	s_waitcnt vmcnt(1)
	v_add_co_u32_e32 v4, vcc, s26, v4
	s_waitcnt vmcnt(0)
	buffer_store_dword v4, off, s[52:55], 0 offset:224 ; 4-byte Folded Spill
	s_nop 0
	buffer_store_dword v5, off, s[52:55], 0 offset:228 ; 4-byte Folded Spill
	buffer_load_dword v4, off, s[52:55], 0 offset:232 ; 4-byte Folded Reload
	s_nop 0
	buffer_load_dword v5, off, s[52:55], 0 offset:236 ; 4-byte Folded Reload
	s_waitcnt vmcnt(0)
	v_addc_co_u32_e32 v5, vcc, v5, v0, vcc
	buffer_store_dword v4, off, s[52:55], 0 offset:232 ; 4-byte Folded Spill
	s_nop 0
	buffer_store_dword v5, off, s[52:55], 0 offset:236 ; 4-byte Folded Spill
	buffer_load_dword v4, off, s[52:55], 0 offset:240 ; 4-byte Folded Reload
	s_nop 0
	buffer_load_dword v5, off, s[52:55], 0 offset:244 ; 4-byte Folded Reload
	s_waitcnt vmcnt(1)
	v_add_co_u32_e32 v4, vcc, s26, v4
	s_waitcnt vmcnt(0)
	buffer_store_dword v4, off, s[52:55], 0 offset:240 ; 4-byte Folded Spill
	s_nop 0
	buffer_store_dword v5, off, s[52:55], 0 offset:244 ; 4-byte Folded Spill
	buffer_load_dword v4, off, s[52:55], 0 offset:248 ; 4-byte Folded Reload
	s_nop 0
	buffer_load_dword v5, off, s[52:55], 0 offset:252 ; 4-byte Folded Reload
	s_waitcnt vmcnt(0)
	v_addc_co_u32_e32 v5, vcc, v5, v0, vcc
	buffer_store_dword v4, off, s[52:55], 0 offset:248 ; 4-byte Folded Spill
	s_nop 0
	buffer_store_dword v5, off, s[52:55], 0 offset:252 ; 4-byte Folded Spill
	buffer_load_dword v4, off, s[52:55], 0 offset:256 ; 4-byte Folded Reload
	s_nop 0
	buffer_load_dword v5, off, s[52:55], 0 offset:260 ; 4-byte Folded Reload
	s_waitcnt vmcnt(1)
	v_add_co_u32_e32 v4, vcc, s26, v4
	s_waitcnt vmcnt(0)
	buffer_store_dword v4, off, s[52:55], 0 offset:256 ; 4-byte Folded Spill
	s_nop 0
	buffer_store_dword v5, off, s[52:55], 0 offset:260 ; 4-byte Folded Spill
	buffer_load_dword v4, off, s[52:55], 0 offset:264 ; 4-byte Folded Reload
	s_nop 0
	buffer_load_dword v5, off, s[52:55], 0 offset:268 ; 4-byte Folded Reload
	s_waitcnt vmcnt(0)
	v_addc_co_u32_e32 v5, vcc, v5, v0, vcc
	buffer_store_dword v4, off, s[52:55], 0 offset:264 ; 4-byte Folded Spill
	s_nop 0
	buffer_store_dword v5, off, s[52:55], 0 offset:268 ; 4-byte Folded Spill
	buffer_load_dword v4, off, s[52:55], 0 offset:272 ; 4-byte Folded Reload
	s_nop 0
	buffer_load_dword v5, off, s[52:55], 0 offset:276 ; 4-byte Folded Reload
	s_waitcnt vmcnt(1)
	v_add_co_u32_e32 v4, vcc, s26, v4
	s_waitcnt vmcnt(0)
	buffer_store_dword v4, off, s[52:55], 0 offset:272 ; 4-byte Folded Spill
	s_nop 0
	buffer_store_dword v5, off, s[52:55], 0 offset:276 ; 4-byte Folded Spill
	buffer_load_dword v4, off, s[52:55], 0 offset:280 ; 4-byte Folded Reload
	s_nop 0
	buffer_load_dword v5, off, s[52:55], 0 offset:284 ; 4-byte Folded Reload
	s_waitcnt vmcnt(0)
	v_addc_co_u32_e32 v5, vcc, v5, v0, vcc
	buffer_store_dword v4, off, s[52:55], 0 offset:280 ; 4-byte Folded Spill
	s_nop 0
	buffer_store_dword v5, off, s[52:55], 0 offset:284 ; 4-byte Folded Spill
	buffer_load_dword v4, off, s[52:55], 0 offset:288 ; 4-byte Folded Reload
	s_nop 0
	buffer_load_dword v5, off, s[52:55], 0 offset:292 ; 4-byte Folded Reload
	s_waitcnt vmcnt(1)
	v_add_co_u32_e32 v4, vcc, s26, v4
	s_waitcnt vmcnt(0)
	buffer_store_dword v4, off, s[52:55], 0 offset:288 ; 4-byte Folded Spill
	s_nop 0
	buffer_store_dword v5, off, s[52:55], 0 offset:292 ; 4-byte Folded Spill
	buffer_load_dword v4, off, s[52:55], 0 offset:296 ; 4-byte Folded Reload
	s_nop 0
	buffer_load_dword v5, off, s[52:55], 0 offset:300 ; 4-byte Folded Reload
	s_waitcnt vmcnt(0)
	v_addc_co_u32_e32 v5, vcc, v5, v0, vcc
	buffer_store_dword v4, off, s[52:55], 0 offset:296 ; 4-byte Folded Spill
	s_nop 0
	buffer_store_dword v5, off, s[52:55], 0 offset:300 ; 4-byte Folded Spill
	buffer_load_dword v4, off, s[52:55], 0 offset:304 ; 4-byte Folded Reload
	s_nop 0
	buffer_load_dword v5, off, s[52:55], 0 offset:308 ; 4-byte Folded Reload
	s_waitcnt vmcnt(1)
	v_add_co_u32_e32 v4, vcc, s26, v4
	s_waitcnt vmcnt(0)
	buffer_store_dword v4, off, s[52:55], 0 offset:304 ; 4-byte Folded Spill
	s_nop 0
	buffer_store_dword v5, off, s[52:55], 0 offset:308 ; 4-byte Folded Spill
	buffer_load_dword v4, off, s[52:55], 0 offset:312 ; 4-byte Folded Reload
	s_nop 0
	buffer_load_dword v5, off, s[52:55], 0 offset:316 ; 4-byte Folded Reload
	s_waitcnt vmcnt(0)
	v_addc_co_u32_e32 v5, vcc, v5, v0, vcc
	buffer_store_dword v4, off, s[52:55], 0 offset:312 ; 4-byte Folded Spill
	s_nop 0
	buffer_store_dword v5, off, s[52:55], 0 offset:316 ; 4-byte Folded Spill
	buffer_load_dword v4, off, s[52:55], 0 offset:320 ; 4-byte Folded Reload
	s_nop 0
	buffer_load_dword v5, off, s[52:55], 0 offset:324 ; 4-byte Folded Reload
	v_add_co_u32_e32 v124, vcc, s26, v124
	v_addc_co_u32_e32 v107, vcc, v107, v0, vcc
	v_add_co_u32_e32 v126, vcc, s26, v126
	v_addc_co_u32_e32 v109, vcc, v109, v0, vcc
	;; [unrolled: 2-line block ×3, first 2 shown]
	v_add_co_u32_e32 v114, vcc, s26, v114
	s_waitcnt vmcnt(0)
	v_addc_co_u32_e32 v5, vcc, v5, v0, vcc
	buffer_store_dword v4, off, s[52:55], 0 offset:320 ; 4-byte Folded Spill
	s_nop 0
	buffer_store_dword v5, off, s[52:55], 0 offset:324 ; 4-byte Folded Spill
	buffer_load_dword v4, off, s[52:55], 0 offset:328 ; 4-byte Folded Reload
	s_nop 0
	buffer_load_dword v5, off, s[52:55], 0 offset:332 ; 4-byte Folded Reload
	s_waitcnt vmcnt(1)
	v_add_co_u32_e32 v4, vcc, s26, v4
	s_waitcnt vmcnt(0)
	buffer_store_dword v4, off, s[52:55], 0 offset:328 ; 4-byte Folded Spill
	s_nop 0
	buffer_store_dword v5, off, s[52:55], 0 offset:332 ; 4-byte Folded Spill
	buffer_load_dword v4, off, s[52:55], 0 offset:336 ; 4-byte Folded Reload
	s_nop 0
	buffer_load_dword v5, off, s[52:55], 0 offset:340 ; 4-byte Folded Reload
	s_waitcnt vmcnt(0)
	v_addc_co_u32_e32 v5, vcc, v5, v0, vcc
	buffer_store_dword v4, off, s[52:55], 0 offset:336 ; 4-byte Folded Spill
	s_nop 0
	buffer_store_dword v5, off, s[52:55], 0 offset:340 ; 4-byte Folded Spill
	buffer_load_dword v4, off, s[52:55], 0 offset:344 ; 4-byte Folded Reload
	s_nop 0
	buffer_load_dword v5, off, s[52:55], 0 offset:348 ; 4-byte Folded Reload
	s_waitcnt vmcnt(1)
	v_add_co_u32_e32 v4, vcc, s26, v4
	s_waitcnt vmcnt(0)
	buffer_store_dword v4, off, s[52:55], 0 offset:344 ; 4-byte Folded Spill
	s_nop 0
	buffer_store_dword v5, off, s[52:55], 0 offset:348 ; 4-byte Folded Spill
	buffer_load_dword v4, off, s[52:55], 0 offset:352 ; 4-byte Folded Reload
	s_nop 0
	buffer_load_dword v5, off, s[52:55], 0 offset:356 ; 4-byte Folded Reload
	s_waitcnt vmcnt(0)
	v_addc_co_u32_e32 v5, vcc, v5, v0, vcc
	buffer_store_dword v4, off, s[52:55], 0 offset:352 ; 4-byte Folded Spill
	s_nop 0
	buffer_store_dword v5, off, s[52:55], 0 offset:356 ; 4-byte Folded Spill
	buffer_load_dword v4, off, s[52:55], 0 offset:360 ; 4-byte Folded Reload
	s_nop 0
	buffer_load_dword v5, off, s[52:55], 0 offset:364 ; 4-byte Folded Reload
	s_waitcnt vmcnt(1)
	v_add_co_u32_e32 v4, vcc, s26, v4
	v_addc_co_u32_e32 v125, vcc, v125, v0, vcc
	v_add_co_u32_e32 v106, vcc, s26, v106
	v_addc_co_u32_e32 v127, vcc, v127, v0, vcc
	;; [unrolled: 2-line block ×3, first 2 shown]
	s_waitcnt vmcnt(0)
	buffer_store_dword v4, off, s[52:55], 0 offset:360 ; 4-byte Folded Spill
	s_nop 0
	buffer_store_dword v5, off, s[52:55], 0 offset:364 ; 4-byte Folded Spill
	v_add_co_u32_e32 v112, vcc, s26, v112
	v_addc_co_u32_e32 v115, vcc, v115, v0, vcc
	v_pk_mov_b32 v[4:5], s[36:37], s[36:37] op_sel:[0,1]
	v_cmp_ge_i64_e32 vcc, s[34:35], v[4:5]
	s_cbranch_vccnz .LBB59_129
.LBB59_87:                              ; =>This Inner Loop Header: Depth=1
	v_pk_mov_b32 v[4:5], s[36:37], s[36:37] op_sel:[0,1]
	v_cmp_ge_i64_e32 vcc, s[24:25], v[4:5]
	buffer_load_dword v4, off, s[52:55], 0 offset:380 ; 4-byte Folded Reload
	buffer_load_dword v5, off, s[52:55], 0 offset:384 ; 4-byte Folded Reload
	v_mov_b32_e32 v2, s25
	s_waitcnt vmcnt(1)
	v_add_co_u32_e64 v0, s[0:1], s24, v4
	v_addc_co_u32_e64 v101, s[0:1], 0, v2, s[0:1]
	s_cbranch_vccz .LBB59_125
; %bb.88:                               ;   in Loop: Header=BB59_87 Depth=1
	s_load_dword s0, s[2:3], 0xc
	buffer_load_dword v2, off, s[52:55], 0 offset:376 ; 4-byte Folded Reload
	buffer_load_dword v4, off, s[52:55], 0 offset:388 ; 4-byte Folded Reload
	v_mov_b32_e32 v119, 0
	v_mov_b32_e32 v103, 0
	s_waitcnt lgkmcnt(0)
	s_and_b32 s0, s0, 0xffff
	s_waitcnt vmcnt(0)
	v_mad_u32_u24 v2, v2, s0, v4
	v_and_b32_e32 v2, 63, v2
	v_cmp_gt_u32_e32 vcc, 16, v2
	s_and_saveexec_b64 s[0:1], vcc
	s_cbranch_execz .LBB59_92
; %bb.89:                               ;   in Loop: Header=BB59_87 Depth=1
	v_add_co_u32_e32 v2, vcc, v0, v2
	v_addc_co_u32_e32 v5, vcc, 0, v101, vcc
	v_add_co_u32_e32 v4, vcc, 0xffffff01, v2
	v_addc_co_u32_e32 v5, vcc, -1, v5, vcc
	v_cmp_gt_i64_e32 vcc, s[36:37], v[4:5]
	v_mov_b32_e32 v103, 0
	v_mov_b32_e32 v119, 0
	s_and_saveexec_b64 s[10:11], vcc
	s_cbranch_execz .LBB59_91
; %bb.90:                               ;   in Loop: Header=BB59_87 Depth=1
	v_lshlrev_b64 v[4:5], 2, v[4:5]
	v_mov_b32_e32 v2, s31
	v_add_co_u32_e32 v6, vcc, s30, v4
	v_addc_co_u32_e32 v7, vcc, v2, v5, vcc
	v_mov_b32_e32 v2, s29
	v_add_co_u32_e32 v4, vcc, s28, v4
	v_addc_co_u32_e32 v5, vcc, v2, v5, vcc
	global_load_dword v103, v[4:5], off
	global_load_dword v119, v[6:7], off
.LBB59_91:                              ;   in Loop: Header=BB59_87 Depth=1
	s_or_b64 exec, exec, s[10:11]
.LBB59_92:                              ;   in Loop: Header=BB59_87 Depth=1
	s_or_b64 exec, exec, s[0:1]
	s_mov_b32 s22, s8
	s_mov_b32 s23, s8
	v_add_co_u32_e32 v4, vcc, 0xffffff01, v0
	s_mov_b32 s9, s8
	s_mov_b32 s10, s8
	;; [unrolled: 1-line block ×13, first 2 shown]
	v_pk_mov_b32 v[34:35], s[22:23], s[22:23] op_sel:[0,1]
	v_addc_co_u32_e32 v5, vcc, -1, v101, vcc
	v_pk_mov_b32 v[20:21], s[8:9], s[8:9] op_sel:[0,1]
	v_cmp_gt_i64_e32 vcc, s[36:37], v[4:5]
	v_pk_mov_b32 v[32:33], s[20:21], s[20:21] op_sel:[0,1]
	v_pk_mov_b32 v[30:31], s[18:19], s[18:19] op_sel:[0,1]
	;; [unrolled: 1-line block ×14, first 2 shown]
	s_and_saveexec_b64 s[0:1], vcc
	s_cbranch_execz .LBB59_94
; %bb.93:                               ;   in Loop: Header=BB59_87 Depth=1
	v_add_co_u32_e32 v4, vcc, v100, v116
	v_addc_co_u32_e32 v5, vcc, v1, v117, vcc
	global_load_dword v2, v[4:5], off
	v_add_co_u32_e32 v4, vcc, v102, v116
	v_addc_co_u32_e32 v5, vcc, v99, v117, vcc
	global_load_dword v20, v[4:5], off
	v_mov_b32_e32 v4, v3
	v_mov_b32_e32 v5, v3
	v_mov_b32_e32 v6, v3
	v_mov_b32_e32 v7, v3
	v_mov_b32_e32 v8, v3
	v_mov_b32_e32 v9, v3
	v_mov_b32_e32 v10, v3
	v_mov_b32_e32 v11, v3
	v_mov_b32_e32 v12, v3
	v_mov_b32_e32 v13, v3
	v_mov_b32_e32 v14, v3
	v_mov_b32_e32 v15, v3
	v_mov_b32_e32 v16, v3
	v_mov_b32_e32 v17, v3
	s_waitcnt vmcnt(1)
	v_pk_mov_b32 v[18:19], v[16:17], v[16:17] op_sel:[0,1]
	v_mov_b32_e32 v21, v3
	v_mov_b32_e32 v22, v3
	;; [unrolled: 1-line block ×15, first 2 shown]
	v_pk_mov_b32 v[16:17], v[14:15], v[14:15] op_sel:[0,1]
	v_pk_mov_b32 v[14:15], v[12:13], v[12:13] op_sel:[0,1]
	;; [unrolled: 1-line block ×7, first 2 shown]
.LBB59_94:                              ;   in Loop: Header=BB59_87 Depth=1
	s_or_b64 exec, exec, s[0:1]
	v_add_co_u32_e32 v120, vcc, 0xffffff02, v0
	v_addc_co_u32_e32 v121, vcc, -1, v101, vcc
	v_cmp_gt_i64_e32 vcc, s[36:37], v[120:121]
	s_and_saveexec_b64 s[0:1], vcc
	s_cbranch_execz .LBB59_96
; %bb.95:                               ;   in Loop: Header=BB59_87 Depth=1
	v_add_co_u32_e32 v120, vcc, v108, v116
	v_addc_co_u32_e32 v121, vcc, v111, v117, vcc
	global_load_dword v5, v[120:121], off
	v_add_co_u32_e32 v120, vcc, v112, v116
	v_addc_co_u32_e32 v121, vcc, v115, v117, vcc
	global_load_dword v21, v[120:121], off
.LBB59_96:                              ;   in Loop: Header=BB59_87 Depth=1
	s_or_b64 exec, exec, s[0:1]
	v_add_co_u32_e32 v120, vcc, 0xffffff03, v0
	v_addc_co_u32_e32 v121, vcc, -1, v101, vcc
	v_cmp_gt_i64_e32 vcc, s[36:37], v[120:121]
	s_and_saveexec_b64 s[0:1], vcc
	s_cbranch_execz .LBB59_98
; %bb.97:                               ;   in Loop: Header=BB59_87 Depth=1
	buffer_load_dword v50, off, s[52:55], 0 offset:360 ; 4-byte Folded Reload
	buffer_load_dword v51, off, s[52:55], 0 offset:364 ; 4-byte Folded Reload
	s_waitcnt vmcnt(1)
	v_add_co_u32_e32 v120, vcc, v50, v116
	v_addc_co_u32_e32 v121, vcc, v125, v117, vcc
	global_load_dword v6, v[120:121], off
	v_add_co_u32_e32 v120, vcc, v106, v116
	v_addc_co_u32_e32 v121, vcc, v127, v117, vcc
	global_load_dword v22, v[120:121], off
.LBB59_98:                              ;   in Loop: Header=BB59_87 Depth=1
	s_or_b64 exec, exec, s[0:1]
	v_add_co_u32_e32 v120, vcc, 0xffffff04, v0
	v_addc_co_u32_e32 v121, vcc, -1, v101, vcc
	v_cmp_gt_i64_e32 vcc, s[36:37], v[120:121]
	s_and_saveexec_b64 s[0:1], vcc
	s_cbranch_execz .LBB59_100
; %bb.99:                               ;   in Loop: Header=BB59_87 Depth=1
	buffer_load_dword v50, off, s[52:55], 0 offset:328 ; 4-byte Folded Reload
	buffer_load_dword v51, off, s[52:55], 0 offset:332 ; 4-byte Folded Reload
	s_waitcnt vmcnt(1)
	v_add_co_u32_e32 v120, vcc, v50, v116
	buffer_load_dword v50, off, s[52:55], 0 offset:336 ; 4-byte Folded Reload
	buffer_load_dword v51, off, s[52:55], 0 offset:340 ; 4-byte Folded Reload
	s_waitcnt vmcnt(0)
	v_addc_co_u32_e32 v121, vcc, v51, v117, vcc
	global_load_dword v7, v[120:121], off
	buffer_load_dword v50, off, s[52:55], 0 offset:344 ; 4-byte Folded Reload
	buffer_load_dword v51, off, s[52:55], 0 offset:348 ; 4-byte Folded Reload
	s_waitcnt vmcnt(1)
	v_add_co_u32_e32 v120, vcc, v50, v116
	buffer_load_dword v50, off, s[52:55], 0 offset:352 ; 4-byte Folded Reload
	buffer_load_dword v51, off, s[52:55], 0 offset:356 ; 4-byte Folded Reload
	s_waitcnt vmcnt(0)
	v_addc_co_u32_e32 v121, vcc, v51, v117, vcc
	global_load_dword v23, v[120:121], off
.LBB59_100:                             ;   in Loop: Header=BB59_87 Depth=1
	s_or_b64 exec, exec, s[0:1]
	v_add_co_u32_e32 v120, vcc, 0xffffff05, v0
	v_addc_co_u32_e32 v121, vcc, -1, v101, vcc
	v_cmp_gt_i64_e32 vcc, s[36:37], v[120:121]
	s_and_saveexec_b64 s[0:1], vcc
	s_cbranch_execz .LBB59_102
; %bb.101:                              ;   in Loop: Header=BB59_87 Depth=1
	v_add_co_u32_e32 v120, vcc, v110, v116
	v_addc_co_u32_e32 v121, vcc, v113, v117, vcc
	global_load_dword v8, v[120:121], off
	buffer_load_dword v50, off, s[52:55], 0 offset:320 ; 4-byte Folded Reload
	buffer_load_dword v51, off, s[52:55], 0 offset:324 ; 4-byte Folded Reload
	v_add_co_u32_e32 v120, vcc, v114, v116
	s_waitcnt vmcnt(0)
	v_addc_co_u32_e32 v121, vcc, v51, v117, vcc
	global_load_dword v24, v[120:121], off
.LBB59_102:                             ;   in Loop: Header=BB59_87 Depth=1
	s_or_b64 exec, exec, s[0:1]
	v_add_co_u32_e32 v120, vcc, 0xffffff06, v0
	v_addc_co_u32_e32 v121, vcc, -1, v101, vcc
	v_cmp_gt_i64_e32 vcc, s[36:37], v[120:121]
	s_and_saveexec_b64 s[0:1], vcc
	s_cbranch_execz .LBB59_104
; %bb.103:                              ;   in Loop: Header=BB59_87 Depth=1
	v_add_co_u32_e32 v120, vcc, v124, v116
	v_addc_co_u32_e32 v121, vcc, v107, v117, vcc
	global_load_dword v9, v[120:121], off
	v_add_co_u32_e32 v120, vcc, v126, v116
	v_addc_co_u32_e32 v121, vcc, v109, v117, vcc
	global_load_dword v25, v[120:121], off
.LBB59_104:                             ;   in Loop: Header=BB59_87 Depth=1
	s_or_b64 exec, exec, s[0:1]
	v_add_co_u32_e32 v120, vcc, 0xffffff07, v0
	v_addc_co_u32_e32 v121, vcc, -1, v101, vcc
	v_cmp_gt_i64_e32 vcc, s[36:37], v[120:121]
	s_and_saveexec_b64 s[0:1], vcc
	s_cbranch_execz .LBB59_106
; %bb.105:                              ;   in Loop: Header=BB59_87 Depth=1
	buffer_load_dword v50, off, s[52:55], 0 offset:288 ; 4-byte Folded Reload
	buffer_load_dword v51, off, s[52:55], 0 offset:292 ; 4-byte Folded Reload
	s_waitcnt vmcnt(1)
	v_add_co_u32_e32 v120, vcc, v50, v116
	buffer_load_dword v50, off, s[52:55], 0 offset:296 ; 4-byte Folded Reload
	buffer_load_dword v51, off, s[52:55], 0 offset:300 ; 4-byte Folded Reload
	s_waitcnt vmcnt(0)
	v_addc_co_u32_e32 v121, vcc, v51, v117, vcc
	global_load_dword v10, v[120:121], off
	buffer_load_dword v50, off, s[52:55], 0 offset:304 ; 4-byte Folded Reload
	buffer_load_dword v51, off, s[52:55], 0 offset:308 ; 4-byte Folded Reload
	s_waitcnt vmcnt(1)
	v_add_co_u32_e32 v120, vcc, v50, v116
	buffer_load_dword v50, off, s[52:55], 0 offset:312 ; 4-byte Folded Reload
	buffer_load_dword v51, off, s[52:55], 0 offset:316 ; 4-byte Folded Reload
	s_waitcnt vmcnt(0)
	v_addc_co_u32_e32 v121, vcc, v51, v117, vcc
	global_load_dword v26, v[120:121], off
.LBB59_106:                             ;   in Loop: Header=BB59_87 Depth=1
	s_or_b64 exec, exec, s[0:1]
	v_add_co_u32_e32 v120, vcc, 0xffffff08, v0
	v_addc_co_u32_e32 v121, vcc, -1, v101, vcc
	v_cmp_gt_i64_e32 vcc, s[36:37], v[120:121]
	s_and_saveexec_b64 s[0:1], vcc
	s_cbranch_execz .LBB59_108
; %bb.107:                              ;   in Loop: Header=BB59_87 Depth=1
	buffer_load_dword v50, off, s[52:55], 0 offset:256 ; 4-byte Folded Reload
	buffer_load_dword v51, off, s[52:55], 0 offset:260 ; 4-byte Folded Reload
	s_waitcnt vmcnt(1)
	v_add_co_u32_e32 v120, vcc, v50, v116
	buffer_load_dword v50, off, s[52:55], 0 offset:264 ; 4-byte Folded Reload
	buffer_load_dword v51, off, s[52:55], 0 offset:268 ; 4-byte Folded Reload
	s_waitcnt vmcnt(0)
	v_addc_co_u32_e32 v121, vcc, v51, v117, vcc
	global_load_dword v11, v[120:121], off
	buffer_load_dword v50, off, s[52:55], 0 offset:272 ; 4-byte Folded Reload
	buffer_load_dword v51, off, s[52:55], 0 offset:276 ; 4-byte Folded Reload
	s_waitcnt vmcnt(1)
	v_add_co_u32_e32 v120, vcc, v50, v116
	buffer_load_dword v50, off, s[52:55], 0 offset:280 ; 4-byte Folded Reload
	buffer_load_dword v51, off, s[52:55], 0 offset:284 ; 4-byte Folded Reload
	s_waitcnt vmcnt(0)
	v_addc_co_u32_e32 v121, vcc, v51, v117, vcc
	global_load_dword v27, v[120:121], off
.LBB59_108:                             ;   in Loop: Header=BB59_87 Depth=1
	;; [unrolled: 26-line block ×9, first 2 shown]
	s_or_b64 exec, exec, s[0:1]
	v_add_co_u32_e32 v120, vcc, 0xffffff10, v0
	v_addc_co_u32_e32 v121, vcc, -1, v101, vcc
	v_cmp_gt_i64_e32 vcc, s[36:37], v[120:121]
	s_and_saveexec_b64 s[0:1], vcc
	s_cbranch_execz .LBB59_124
; %bb.123:                              ;   in Loop: Header=BB59_87 Depth=1
	buffer_load_dword v50, off, s[52:55], 0 ; 4-byte Folded Reload
	buffer_load_dword v51, off, s[52:55], 0 offset:4 ; 4-byte Folded Reload
	s_waitcnt vmcnt(1)
	v_add_co_u32_e32 v120, vcc, v50, v116
	buffer_load_dword v50, off, s[52:55], 0 offset:8 ; 4-byte Folded Reload
	buffer_load_dword v51, off, s[52:55], 0 offset:12 ; 4-byte Folded Reload
	s_waitcnt vmcnt(0)
	v_addc_co_u32_e32 v121, vcc, v51, v117, vcc
	global_load_dword v19, v[120:121], off
	buffer_load_dword v50, off, s[52:55], 0 offset:16 ; 4-byte Folded Reload
	buffer_load_dword v51, off, s[52:55], 0 offset:20 ; 4-byte Folded Reload
	s_waitcnt vmcnt(1)
	v_add_co_u32_e32 v120, vcc, v50, v116
	buffer_load_dword v50, off, s[52:55], 0 offset:24 ; 4-byte Folded Reload
	buffer_load_dword v51, off, s[52:55], 0 offset:28 ; 4-byte Folded Reload
	s_waitcnt vmcnt(0)
	v_addc_co_u32_e32 v121, vcc, v51, v117, vcc
	global_load_dword v35, v[120:121], off
.LBB59_124:                             ;   in Loop: Header=BB59_87 Depth=1
	s_or_b64 exec, exec, s[0:1]
	buffer_load_dword v104, off, s[52:55], 0 offset:368 ; 4-byte Folded Reload
	buffer_load_dword v105, off, s[52:55], 0 offset:372 ; 4-byte Folded Reload
	s_waitcnt vmcnt(3)
	ds_bpermute_b32 v50, v98, v103
	s_waitcnt vmcnt(2)
	ds_bpermute_b32 v2, v98, v119
	v_mov_b32_e32 v123, v7
	v_mov_b32_e32 v121, v5
	;; [unrolled: 1-line block ×3, first 2 shown]
	s_waitcnt lgkmcnt(1)
	v_sub_f32_e32 v20, v20, v50
	ds_bpermute_b32 v50, v98, v103 offset:4
	v_mul_f32_e32 v20, v4, v20
	s_waitcnt lgkmcnt(1)
	v_mul_f32_e32 v20, v20, v2
	ds_bpermute_b32 v2, v98, v119 offset:4
	s_waitcnt lgkmcnt(1)
	v_sub_f32_e32 v21, v21, v50
	v_mul_f32_e32 v21, v5, v21
	s_waitcnt lgkmcnt(0)
	v_mul_f32_e32 v120, v21, v2
	ds_bpermute_b32 v21, v98, v103 offset:8
	ds_bpermute_b32 v2, v98, v119 offset:8
	s_waitcnt lgkmcnt(1)
	v_sub_f32_e32 v21, v22, v21
	v_mul_f32_e32 v21, v6, v21
	s_waitcnt lgkmcnt(0)
	v_mul_f32_e32 v22, v21, v2
	ds_bpermute_b32 v21, v98, v103 offset:12
	;; [unrolled: 7-line block ×3, first 2 shown]
	ds_bpermute_b32 v2, v98, v119 offset:16
	v_mov_b32_e32 v23, v6
	ds_bpermute_b32 v6, v98, v103 offset:24
	ds_bpermute_b32 v7, v98, v103 offset:28
	s_waitcnt lgkmcnt(3)
	v_sub_f32_e32 v21, v24, v21
	v_mul_f32_e32 v21, v8, v21
	s_waitcnt lgkmcnt(2)
	v_mul_f32_e32 v24, v21, v2
	ds_bpermute_b32 v21, v98, v103 offset:20
	ds_bpermute_b32 v2, v98, v119 offset:20
	s_waitcnt lgkmcnt(3)
	v_sub_f32_e32 v6, v26, v6
	v_mul_f32_e32 v6, v10, v6
	s_waitcnt lgkmcnt(2)
	v_sub_f32_e32 v7, v27, v7
	s_waitcnt lgkmcnt(1)
	v_sub_f32_e32 v21, v25, v21
	v_mul_f32_e32 v21, v9, v21
	s_waitcnt lgkmcnt(0)
	v_mul_f32_e32 v50, v21, v2
	ds_bpermute_b32 v2, v98, v119 offset:24
	v_mul_f32_e32 v7, v11, v7
	v_mov_b32_e32 v25, v8
	v_mov_b32_e32 v21, v4
	;; [unrolled: 1-line block ×3, first 2 shown]
	s_waitcnt lgkmcnt(0)
	v_mul_f32_e32 v6, v6, v2
	ds_bpermute_b32 v2, v98, v119 offset:28
	v_mov_b32_e32 v27, v15
	s_waitcnt lgkmcnt(0)
	v_mul_f32_e32 v8, v7, v2
	ds_bpermute_b32 v7, v98, v103 offset:32
	ds_bpermute_b32 v2, v98, v119 offset:32
	s_waitcnt lgkmcnt(1)
	v_sub_f32_e32 v7, v28, v7
	v_mul_f32_e32 v7, v12, v7
	s_waitcnt vmcnt(0)
	v_pk_add_f32 v[20:21], v[104:105], v[20:21]
	v_pk_add_f32 v[4:5], v[120:121], v[20:21]
	s_waitcnt lgkmcnt(0)
	v_mul_f32_e32 v20, v7, v2
	ds_bpermute_b32 v7, v98, v103 offset:36
	ds_bpermute_b32 v2, v98, v119 offset:36
	v_pk_add_f32 v[4:5], v[22:23], v[4:5]
	v_pk_add_f32 v[4:5], v[122:123], v[4:5]
	v_pk_add_f32 v[4:5], v[24:25], v[4:5]
	s_waitcnt lgkmcnt(1)
	v_sub_f32_e32 v7, v29, v7
	v_mul_f32_e32 v7, v13, v7
	s_waitcnt lgkmcnt(0)
	v_mul_f32_e32 v22, v7, v2
	ds_bpermute_b32 v7, v98, v103 offset:40
	ds_bpermute_b32 v2, v98, v119 offset:40
	v_pk_add_f32 v[4:5], v[50:51], v[4:5]
	v_mov_b32_e32 v21, v12
	v_mov_b32_e32 v23, v13
	s_waitcnt lgkmcnt(1)
	v_sub_f32_e32 v7, v30, v7
	v_mul_f32_e32 v7, v14, v7
	s_waitcnt lgkmcnt(0)
	v_mul_f32_e32 v24, v7, v2
	ds_bpermute_b32 v7, v98, v103 offset:44
	ds_bpermute_b32 v2, v98, v119 offset:44
	v_mov_b32_e32 v25, v14
	v_mov_b32_e32 v29, v16
	s_waitcnt lgkmcnt(1)
	v_sub_f32_e32 v7, v31, v7
	v_mul_f32_e32 v7, v15, v7
	s_waitcnt lgkmcnt(0)
	v_mul_f32_e32 v26, v7, v2
	ds_bpermute_b32 v7, v98, v103 offset:48
	ds_bpermute_b32 v2, v98, v119 offset:48
	v_mov_b32_e32 v31, v17
	s_waitcnt lgkmcnt(1)
	v_sub_f32_e32 v7, v32, v7
	v_mul_f32_e32 v7, v16, v7
	s_waitcnt lgkmcnt(0)
	v_mul_f32_e32 v28, v7, v2
	ds_bpermute_b32 v7, v98, v103 offset:52
	ds_bpermute_b32 v2, v98, v119 offset:52
	s_waitcnt lgkmcnt(1)
	v_sub_f32_e32 v7, v33, v7
	v_mul_f32_e32 v7, v17, v7
	s_waitcnt lgkmcnt(0)
	v_mul_f32_e32 v30, v7, v2
	v_mov_b32_e32 v7, v10
	v_pk_add_f32 v[4:5], v[6:7], v[4:5]
	ds_bpermute_b32 v6, v98, v103 offset:56
	v_pk_add_f32 v[4:5], v[8:9], v[4:5]
	v_pk_add_f32 v[4:5], v[20:21], v[4:5]
	ds_bpermute_b32 v2, v98, v119 offset:56
	v_pk_add_f32 v[4:5], v[22:23], v[4:5]
	v_pk_add_f32 v[4:5], v[24:25], v[4:5]
	v_pk_add_f32 v[4:5], v[26:27], v[4:5]
	s_waitcnt lgkmcnt(1)
	v_sub_f32_e32 v6, v34, v6
	v_pk_add_f32 v[4:5], v[28:29], v[4:5]
	v_mul_f32_e32 v6, v18, v6
	v_pk_add_f32 v[4:5], v[30:31], v[4:5]
	s_waitcnt lgkmcnt(0)
	v_mul_f32_e32 v6, v6, v2
	v_mov_b32_e32 v7, v18
	v_pk_add_f32 v[4:5], v[6:7], v[4:5]
	ds_bpermute_b32 v6, v98, v103 offset:60
	ds_bpermute_b32 v2, v98, v119 offset:60
	s_waitcnt lgkmcnt(1)
	v_sub_f32_e32 v6, v35, v6
	v_mul_f32_e32 v6, v19, v6
	s_waitcnt lgkmcnt(0)
	v_mul_f32_e32 v18, v6, v2
	s_branch .LBB59_86
.LBB59_125:                             ;   in Loop: Header=BB59_87 Depth=1
                                        ; implicit-def: $vgpr4_vgpr5
                                        ; implicit-def: $vgpr18_vgpr19
	s_cbranch_execz .LBB59_86
; %bb.126:                              ;   in Loop: Header=BB59_87 Depth=1
	s_load_dword s0, s[2:3], 0x0
	v_mov_b32_e32 v2, 0
	v_mov_b32_e32 v32, 0
	s_waitcnt lgkmcnt(0)
	s_cmp_lt_u32 s6, s0
	s_cselect_b32 s0, 12, 18
	s_add_u32 s0, s2, s0
	s_addc_u32 s1, s3, 0
	global_load_ushort v4, v3, s[0:1]
	buffer_load_dword v5, off, s[52:55], 0 offset:376 ; 4-byte Folded Reload
	buffer_load_dword v6, off, s[52:55], 0 offset:388 ; 4-byte Folded Reload
	s_waitcnt vmcnt(0)
	v_mad_u32_u24 v4, v5, v4, v6
	v_and_b32_e32 v4, 63, v4
	v_cmp_gt_u32_e32 vcc, 16, v4
	s_and_saveexec_b64 s[0:1], vcc
	s_cbranch_execz .LBB59_85
; %bb.127:                              ;   in Loop: Header=BB59_87 Depth=1
	v_add_co_u32_e32 v0, vcc, v0, v4
	v_addc_co_u32_e32 v2, vcc, 0, v101, vcc
	v_add_co_u32_e32 v4, vcc, 0xffffff01, v0
	v_addc_co_u32_e32 v5, vcc, -1, v2, vcc
	v_cmp_gt_i64_e32 vcc, s[36:37], v[4:5]
	v_mov_b32_e32 v32, 0
	v_mov_b32_e32 v2, 0
	s_and_saveexec_b64 s[10:11], vcc
	s_cbranch_execz .LBB59_84
; %bb.128:                              ;   in Loop: Header=BB59_87 Depth=1
	v_lshlrev_b64 v[4:5], 2, v[4:5]
	v_mov_b32_e32 v0, s31
	v_add_co_u32_e32 v6, vcc, s30, v4
	v_addc_co_u32_e32 v7, vcc, v0, v5, vcc
	v_mov_b32_e32 v0, s29
	v_add_co_u32_e32 v4, vcc, s28, v4
	v_addc_co_u32_e32 v5, vcc, v0, v5, vcc
	global_load_dword v32, v[4:5], off
	global_load_dword v2, v[6:7], off
	s_branch .LBB59_84
.LBB59_129:
	buffer_load_dword v122, off, s[52:55], 0 offset:392 ; 4-byte Folded Reload
	buffer_load_dword v124, off, s[52:55], 0 offset:368 ; 4-byte Folded Reload
	;; [unrolled: 1-line block ×3, first 2 shown]
.LBB59_130:
	s_waitcnt vmcnt(2)
	v_bfe_u32 v6, v122, 10, 10
	v_and_b32_e32 v0, 0x3ff, v122
	s_movk_i32 s0, 0x41
	v_mad_u32_u24 v1, v6, s0, v0
	v_lshl_add_u32 v1, v1, 2, 0
	v_lshrrev_b32_e32 v7, 6, v0
	s_waitcnt vmcnt(1)
	ds_write_b32 v1, v124
	s_waitcnt vmcnt(0)
	ds_write_b32 v1, v125 offset:4160
	v_add_u32_e32 v1, v7, v6
	s_mov_b32 s7, 0
	v_cmp_gt_u32_e32 vcc, 64, v1
	s_waitcnt lgkmcnt(0)
	s_barrier
	s_and_saveexec_b64 s[0:1], vcc
	s_cbranch_execz .LBB59_140
; %bb.131:
	v_and_b32_e32 v1, 63, v0
	v_cmp_gt_u32_e64 s[0:1], 16, v1
	v_mul_u32_u24_e32 v12, 0x41, v1
	v_mbcnt_lo_u32_b32 v1, -1, 0
	v_mbcnt_hi_u32_b32 v1, -1, v1
	v_and_b32_e32 v2, 64, v1
	v_add_u32_e32 v2, 64, v2
	v_cmp_eq_u32_e64 s[2:3], 0, v0
	v_xor_b32_e32 v0, 8, v1
	v_cmp_lt_i32_e32 vcc, v0, v2
	v_cndmask_b32_e32 v0, v1, v0, vcc
	v_lshlrev_b32_e32 v8, 2, v0
	v_xor_b32_e32 v0, 4, v1
	v_cmp_lt_i32_e32 vcc, v0, v2
	v_cndmask_b32_e32 v0, v1, v0, vcc
	v_lshlrev_b32_e32 v9, 2, v0
	;; [unrolled: 4-line block ×3, first 2 shown]
	v_xor_b32_e32 v0, 1, v1
	s_load_dwordx4 s[8:11], s[4:5], 0x30
	v_cmp_lt_i32_e32 vcc, v0, v2
	v_cndmask_b32_e32 v0, v1, v0, vcc
	s_lshl_b64 s[12:13], s[6:7], 6
	v_lshlrev_b32_e32 v11, 2, v0
	v_add_co_u32_e32 v0, vcc, v7, v6
	v_addc_co_u32_e64 v1, s[6:7], 0, 0, vcc
	v_mov_b32_e32 v3, s13
	v_add_co_u32_e32 v2, vcc, s12, v0
	v_addc_co_u32_e32 v3, vcc, v1, v3, vcc
	s_waitcnt lgkmcnt(0)
	s_cmp_lg_u64 s[8:9], 0
	v_lshlrev_b64 v[4:5], 2, v[2:3]
	s_cselect_b64 s[4:5], -1, 0
	s_cmp_lg_u64 s[10:11], 0
	v_mov_b32_e32 v3, s11
	v_add_co_u32_e32 v2, vcc, s10, v4
	v_add3_u32 v6, v12, v6, v7
	v_addc_co_u32_e32 v3, vcc, v3, v5, vcc
	v_lshl_add_u32 v12, v6, 2, 0
	v_cndmask_b32_e64 v6, 0, 1, s[4:5]
	s_cselect_b64 s[6:7], -1, 0
	v_mov_b32_e32 v13, s9
	v_add_co_u32_e32 v4, vcc, s8, v4
	v_cmp_ne_u32_e64 s[4:5], 1, v6
	v_cndmask_b32_e64 v6, 0, 1, s[6:7]
	s_mov_b64 s[14:15], 0
	v_addc_co_u32_e32 v5, vcc, v13, v5, vcc
	v_mov_b32_e32 v13, s13
	v_cmp_ne_u32_e64 s[6:7], 1, v6
                                        ; implicit-def: $vgpr6
	s_branch .LBB59_133
.LBB59_132:                             ;   in Loop: Header=BB59_133 Depth=1
	s_or_b64 exec, exec, s[8:9]
	v_add_co_u32_e32 v0, vcc, 16, v0
	v_addc_co_u32_e32 v1, vcc, 0, v1, vcc
	v_add_co_u32_e32 v2, vcc, 64, v2
	v_addc_co_u32_e32 v3, vcc, 0, v3, vcc
	v_add_co_u32_e32 v4, vcc, 64, v4
	v_add_u32_e32 v14, -16, v0
	v_addc_co_u32_e32 v5, vcc, 0, v5, vcc
	v_cmp_lt_u32_e32 vcc, 47, v14
	s_or_b64 s[14:15], vcc, s[14:15]
	v_add_u32_e32 v12, 64, v12
	s_andn2_b64 exec, exec, s[14:15]
	s_cbranch_execz .LBB59_140
.LBB59_133:                             ; =>This Inner Loop Header: Depth=1
	s_and_saveexec_b64 s[8:9], s[0:1]
	s_cbranch_execz .LBB59_135
; %bb.134:                              ;   in Loop: Header=BB59_133 Depth=1
	ds_read_b32 v7, v12
	ds_read_b32 v6, v12 offset:4160
.LBB59_135:                             ;   in Loop: Header=BB59_133 Depth=1
	s_or_b64 exec, exec, s[8:9]
	s_waitcnt lgkmcnt(1)
	ds_bpermute_b32 v15, v8, v7
	s_waitcnt lgkmcnt(1)
	ds_bpermute_b32 v14, v8, v6
	v_add_co_u32_e32 v16, vcc, s12, v0
	v_addc_co_u32_e32 v17, vcc, v13, v1, vcc
	s_waitcnt lgkmcnt(0)
	v_pk_add_f32 v[6:7], v[6:7], v[14:15]
	ds_bpermute_b32 v15, v9, v7
	ds_bpermute_b32 v14, v9, v6
	v_cmp_gt_i64_e32 vcc, s[38:39], v[16:17]
	s_and_b64 s[10:11], s[2:3], vcc
	s_waitcnt lgkmcnt(0)
	v_pk_add_f32 v[6:7], v[6:7], v[14:15]
	ds_bpermute_b32 v15, v10, v7
	ds_bpermute_b32 v14, v10, v6
	s_waitcnt lgkmcnt(0)
	v_pk_add_f32 v[6:7], v[6:7], v[14:15]
	ds_bpermute_b32 v15, v11, v7
	ds_bpermute_b32 v14, v11, v6
	s_waitcnt lgkmcnt(0)
	v_pk_add_f32 v[6:7], v[6:7], v[14:15]
	s_and_saveexec_b64 s[8:9], s[10:11]
	s_cbranch_execz .LBB59_132
; %bb.136:                              ;   in Loop: Header=BB59_133 Depth=1
	s_and_b64 vcc, exec, s[4:5]
	s_cbranch_vccnz .LBB59_138
; %bb.137:                              ;   in Loop: Header=BB59_133 Depth=1
	global_store_dword v[4:5], v7, off
.LBB59_138:                             ;   in Loop: Header=BB59_133 Depth=1
	s_and_b64 vcc, exec, s[6:7]
	s_cbranch_vccnz .LBB59_132
; %bb.139:                              ;   in Loop: Header=BB59_133 Depth=1
	global_store_dword v[2:3], v6, off
	s_branch .LBB59_132
.LBB59_140:
	s_endpgm
	.section	.rodata,"a",@progbits
	.p2align	6, 0x0
	.amdhsa_kernel _ZN2at6native12_GLOBAL__N_135GammaBetaBackwardCUDAKernelTemplateIffLj64ELj16ELj256ELb0ELb0ELb0EEEvllPKT_S5_PKT0_S8_PS3_S9_
		.amdhsa_group_segment_fixed_size 0
		.amdhsa_private_segment_fixed_size 400
		.amdhsa_kernarg_size 320
		.amdhsa_user_sgpr_count 6
		.amdhsa_user_sgpr_private_segment_buffer 1
		.amdhsa_user_sgpr_dispatch_ptr 0
		.amdhsa_user_sgpr_queue_ptr 0
		.amdhsa_user_sgpr_kernarg_segment_ptr 1
		.amdhsa_user_sgpr_dispatch_id 0
		.amdhsa_user_sgpr_flat_scratch_init 0
		.amdhsa_user_sgpr_kernarg_preload_length 0
		.amdhsa_user_sgpr_kernarg_preload_offset 0
		.amdhsa_user_sgpr_private_segment_size 0
		.amdhsa_uses_dynamic_stack 0
		.amdhsa_system_sgpr_private_segment_wavefront_offset 1
		.amdhsa_system_sgpr_workgroup_id_x 1
		.amdhsa_system_sgpr_workgroup_id_y 1
		.amdhsa_system_sgpr_workgroup_id_z 0
		.amdhsa_system_sgpr_workgroup_info 0
		.amdhsa_system_vgpr_workitem_id 1
		.amdhsa_next_free_vgpr 128
		.amdhsa_next_free_sgpr 56
		.amdhsa_accum_offset 128
		.amdhsa_reserve_vcc 1
		.amdhsa_reserve_flat_scratch 0
		.amdhsa_float_round_mode_32 0
		.amdhsa_float_round_mode_16_64 0
		.amdhsa_float_denorm_mode_32 3
		.amdhsa_float_denorm_mode_16_64 3
		.amdhsa_dx10_clamp 1
		.amdhsa_ieee_mode 1
		.amdhsa_fp16_overflow 0
		.amdhsa_tg_split 0
		.amdhsa_exception_fp_ieee_invalid_op 0
		.amdhsa_exception_fp_denorm_src 0
		.amdhsa_exception_fp_ieee_div_zero 0
		.amdhsa_exception_fp_ieee_overflow 0
		.amdhsa_exception_fp_ieee_underflow 0
		.amdhsa_exception_fp_ieee_inexact 0
		.amdhsa_exception_int_div_zero 0
	.end_amdhsa_kernel
	.section	.text._ZN2at6native12_GLOBAL__N_135GammaBetaBackwardCUDAKernelTemplateIffLj64ELj16ELj256ELb0ELb0ELb0EEEvllPKT_S5_PKT0_S8_PS3_S9_,"axG",@progbits,_ZN2at6native12_GLOBAL__N_135GammaBetaBackwardCUDAKernelTemplateIffLj64ELj16ELj256ELb0ELb0ELb0EEEvllPKT_S5_PKT0_S8_PS3_S9_,comdat
.Lfunc_end59:
	.size	_ZN2at6native12_GLOBAL__N_135GammaBetaBackwardCUDAKernelTemplateIffLj64ELj16ELj256ELb0ELb0ELb0EEEvllPKT_S5_PKT0_S8_PS3_S9_, .Lfunc_end59-_ZN2at6native12_GLOBAL__N_135GammaBetaBackwardCUDAKernelTemplateIffLj64ELj16ELj256ELb0ELb0ELb0EEEvllPKT_S5_PKT0_S8_PS3_S9_
                                        ; -- End function
	.section	.AMDGPU.csdata,"",@progbits
; Kernel info:
; codeLenInByte = 17416
; NumSgprs: 60
; NumVgprs: 128
; NumAgprs: 0
; TotalNumVgprs: 128
; ScratchSize: 400
; MemoryBound: 0
; FloatMode: 240
; IeeeMode: 1
; LDSByteSize: 0 bytes/workgroup (compile time only)
; SGPRBlocks: 7
; VGPRBlocks: 15
; NumSGPRsForWavesPerEU: 60
; NumVGPRsForWavesPerEU: 128
; AccumOffset: 128
; Occupancy: 4
; WaveLimiterHint : 0
; COMPUTE_PGM_RSRC2:SCRATCH_EN: 1
; COMPUTE_PGM_RSRC2:USER_SGPR: 6
; COMPUTE_PGM_RSRC2:TRAP_HANDLER: 0
; COMPUTE_PGM_RSRC2:TGID_X_EN: 1
; COMPUTE_PGM_RSRC2:TGID_Y_EN: 1
; COMPUTE_PGM_RSRC2:TGID_Z_EN: 0
; COMPUTE_PGM_RSRC2:TIDIG_COMP_CNT: 1
; COMPUTE_PGM_RSRC3_GFX90A:ACCUM_OFFSET: 31
; COMPUTE_PGM_RSRC3_GFX90A:TG_SPLIT: 0
	.section	.text._ZN2at6native12_GLOBAL__N_135GammaBetaBackwardCUDAKernelTemplateIffLj32ELj1ELj32ELb1ELb1ELb0EEEvllPKT_S5_PKT0_S8_PS3_S9_,"axG",@progbits,_ZN2at6native12_GLOBAL__N_135GammaBetaBackwardCUDAKernelTemplateIffLj32ELj1ELj32ELb1ELb1ELb0EEEvllPKT_S5_PKT0_S8_PS3_S9_,comdat
	.globl	_ZN2at6native12_GLOBAL__N_135GammaBetaBackwardCUDAKernelTemplateIffLj32ELj1ELj32ELb1ELb1ELb0EEEvllPKT_S5_PKT0_S8_PS3_S9_ ; -- Begin function _ZN2at6native12_GLOBAL__N_135GammaBetaBackwardCUDAKernelTemplateIffLj32ELj1ELj32ELb1ELb1ELb0EEEvllPKT_S5_PKT0_S8_PS3_S9_
	.p2align	8
	.type	_ZN2at6native12_GLOBAL__N_135GammaBetaBackwardCUDAKernelTemplateIffLj32ELj1ELj32ELb1ELb1ELb0EEEvllPKT_S5_PKT0_S8_PS3_S9_,@function
_ZN2at6native12_GLOBAL__N_135GammaBetaBackwardCUDAKernelTemplateIffLj32ELj1ELj32ELb1ELb1ELb0EEEvllPKT_S5_PKT0_S8_PS3_S9_: ; @_ZN2at6native12_GLOBAL__N_135GammaBetaBackwardCUDAKernelTemplateIffLj32ELj1ELj32ELb1ELb1ELb0EEEvllPKT_S5_PKT0_S8_PS3_S9_
; %bb.0:
	s_load_dwordx4 s[16:19], s[4:5], 0x0
	s_lshl_b32 s24, s7, 5
	s_mov_b32 s25, 0
	s_mov_b32 s2, s7
	v_bfe_u32 v14, v0, 10, 10
	s_waitcnt lgkmcnt(0)
	v_pk_mov_b32 v[2:3], s[16:17], s[16:17] op_sel:[0,1]
	v_cmp_lt_i64_e32 vcc, s[24:25], v[2:3]
	s_cbranch_vccnz .LBB60_2
; %bb.1:
	s_add_u32 s26, s4, 64
	s_addc_u32 s27, s5, 0
	s_mov_b64 s[0:1], 0
	v_bfe_u32 v2, v0, 10, 10
	s_branch .LBB60_3
.LBB60_2:
	s_mov_b64 s[0:1], -1
                                        ; implicit-def: $sgpr26_sgpr27
                                        ; implicit-def: $vgpr2
.LBB60_3:
	s_load_dwordx4 s[20:23], s[4:5], 0x30
	v_and_b32_e32 v15, 0x3ff, v0
	s_andn2_b64 vcc, exec, s[0:1]
	v_mov_b32_e32 v7, s25
	v_mov_b32_e32 v6, s25
	s_cbranch_vccnz .LBB60_11
; %bb.4:
	s_load_dword s0, s[4:5], 0x4c
	s_load_dword s3, s[4:5], 0x44
	s_load_dwordx8 s[8:15], s[4:5], 0x10
	v_mbcnt_lo_u32_b32 v2, -1, 0
	s_add_u32 s26, s4, 64
	v_mbcnt_hi_u32_b32 v2, -1, v2
	s_addc_u32 s27, s5, 0
	s_waitcnt lgkmcnt(0)
	s_and_b32 s0, s0, 0xffff
	v_lshlrev_b32_e32 v1, 5, v14
	v_lshlrev_b32_e32 v2, 2, v2
	v_mad_u32_u24 v0, v14, s0, v15
	v_and_b32_e32 v16, 0x100, v2
	v_mov_b32_e32 v2, s25
	v_add_co_u32_e32 v4, vcc, s24, v1
	v_and_b32_e32 v0, 63, v0
	v_addc_co_u32_e32 v5, vcc, 0, v2, vcc
	v_cmp_gt_u32_e64 s[0:1], 32, v0
	v_add_co_u32_e32 v0, vcc, v4, v0
	v_addc_co_u32_e32 v1, vcc, 0, v5, vcc
	v_mul_lo_u32 v8, s19, v4
	v_mul_lo_u32 v9, s18, v5
	v_mad_u64_u32 v[4:5], s[30:31], s18, v4, 0
	v_mov_b32_e32 v7, 0
	v_lshl_add_u32 v6, s6, 5, v15
	s_lshl_b32 s4, s3, 5
	v_add3_u32 v5, v5, v9, v8
	v_lshlrev_b64 v[4:5], 2, v[4:5]
	v_lshlrev_b64 v[8:9], 2, v[6:7]
	s_mul_i32 s3, s19, s4
	s_mul_hi_u32 s7, s18, s4
	s_mov_b32 s5, 0
	v_add_co_u32_e32 v4, vcc, v4, v8
	s_add_i32 s31, s7, s3
	s_mul_i32 s30, s18, s4
	v_or_b32_e32 v17, 4, v16
	v_or_b32_e32 v18, 8, v16
	v_or_b32_e32 v19, 12, v16
	v_or_b32_e32 v20, 16, v16
	v_or_b32_e32 v21, 20, v16
	v_or_b32_e32 v22, 24, v16
	v_or_b32_e32 v23, 28, v16
	v_or_b32_e32 v24, 32, v16
	v_or_b32_e32 v25, 36, v16
	v_or_b32_e32 v26, 40, v16
	v_or_b32_e32 v27, 44, v16
	v_or_b32_e32 v28, 48, v16
	v_or_b32_e32 v29, 52, v16
	v_or_b32_e32 v30, 56, v16
	v_or_b32_e32 v31, 60, v16
	v_or_b32_e32 v32, 64, v16
	v_or_b32_e32 v33, 0x44, v16
	v_or_b32_e32 v34, 0x48, v16
	v_or_b32_e32 v35, 0x4c, v16
	v_or_b32_e32 v36, 0x50, v16
	v_or_b32_e32 v37, 0x54, v16
	v_or_b32_e32 v38, 0x58, v16
	v_or_b32_e32 v39, 0x5c, v16
	v_or_b32_e32 v40, 0x60, v16
	v_or_b32_e32 v41, 0x64, v16
	v_or_b32_e32 v42, 0x68, v16
	v_or_b32_e32 v43, 0x6c, v16
	v_or_b32_e32 v44, 0x70, v16
	v_or_b32_e32 v45, 0x74, v16
	v_or_b32_e32 v46, 0x78, v16
	v_or_b32_e32 v47, 0x7c, v16
	v_lshlrev_b64 v[2:3], 2, v[0:1]
	s_lshl_b64 s[28:29], s[4:5], 2
	v_addc_co_u32_e32 v5, vcc, v5, v9, vcc
	s_lshl_b64 s[30:31], s[30:31], 2
	s_lshl_b64 s[34:35], s[18:19], 2
	v_mov_b32_e32 v6, v7
	s_branch .LBB60_7
.LBB60_5:                               ;   in Loop: Header=BB60_7 Depth=1
	s_or_b64 exec, exec, s[38:39]
.LBB60_6:                               ;   in Loop: Header=BB60_7 Depth=1
	s_or_b64 exec, exec, s[36:37]
	v_mov_b32_e32 v9, s11
	v_add_co_u32_e32 v10, vcc, s10, v4
	v_addc_co_u32_e32 v11, vcc, v9, v5, vcc
	v_mov_b32_e32 v8, s9
	v_add_co_u32_e32 v12, vcc, s8, v4
	v_addc_co_u32_e32 v13, vcc, v8, v5, vcc
	global_load_dword v51, v[10:11], off
	v_mov_b32_e32 v50, s35
	v_add_co_u32_e32 v10, vcc, s34, v10
	v_addc_co_u32_e32 v11, vcc, v11, v50, vcc
	global_load_dword v9, v[12:13], off
	v_add_co_u32_e32 v12, vcc, s34, v12
	v_addc_co_u32_e32 v13, vcc, v13, v50, vcc
	global_load_dword v8, v[10:11], off
	global_load_dword v53, v[12:13], off
	v_add_co_u32_e32 v10, vcc, s34, v10
	v_addc_co_u32_e32 v11, vcc, v11, v50, vcc
	v_add_co_u32_e32 v12, vcc, s34, v12
	global_load_dword v52, v[10:11], off
	v_addc_co_u32_e32 v13, vcc, v13, v50, vcc
	global_load_dword v55, v[12:13], off
	v_add_co_u32_e32 v10, vcc, s34, v10
	v_addc_co_u32_e32 v11, vcc, v11, v50, vcc
	v_add_co_u32_e32 v12, vcc, s34, v12
	v_addc_co_u32_e32 v13, vcc, v13, v50, vcc
	global_load_dword v56, v[10:11], off
	global_load_dword v57, v[12:13], off
	v_add_co_u32_e32 v10, vcc, s34, v10
	v_addc_co_u32_e32 v11, vcc, v11, v50, vcc
	v_add_co_u32_e32 v12, vcc, s34, v12
	v_addc_co_u32_e32 v13, vcc, v13, v50, vcc
	;; [unrolled: 2-line block ×3, first 2 shown]
	global_load_dword v70, v[10:11], off
	global_load_dword v71, v[58:59], off
	v_add_co_u32_e32 v10, vcc, s34, v12
	v_addc_co_u32_e32 v11, vcc, v13, v50, vcc
	global_load_dword v13, v[12:13], off
	s_waitcnt vmcnt(12)
	ds_bpermute_b32 v54, v16, v49
	ds_bpermute_b32 v63, v17, v49
	s_waitcnt vmcnt(11)
	ds_bpermute_b32 v62, v16, v48
	ds_bpermute_b32 v65, v18, v49
	v_add_co_u32_e32 v60, vcc, s34, v58
	ds_bpermute_b32 v64, v17, v48
	v_addc_co_u32_e32 v61, vcc, v59, v50, vcc
	v_add_co_u32_e32 v58, vcc, s34, v10
	v_addc_co_u32_e32 v59, vcc, v11, v50, vcc
	global_load_dword v11, v[10:11], off
	ds_bpermute_b32 v66, v18, v48
	ds_bpermute_b32 v68, v19, v49
	;; [unrolled: 1-line block ×3, first 2 shown]
	s_add_u32 s24, s24, s4
	s_addc_u32 s25, s25, 0
	s_waitcnt vmcnt(11) lgkmcnt(7)
	v_sub_f32_e32 v12, v51, v54
	s_waitcnt vmcnt(10)
	v_mul_f32_e32 v12, v9, v12
	s_waitcnt vmcnt(9) lgkmcnt(6)
	v_sub_f32_e32 v51, v8, v63
	s_waitcnt lgkmcnt(5)
	v_mul_f32_e32 v8, v12, v62
	s_waitcnt vmcnt(8)
	v_mul_f32_e32 v12, v53, v51
	v_add_co_u32_e32 v62, vcc, s34, v60
	v_addc_co_u32_e32 v63, vcc, v61, v50, vcc
	v_pk_add_f32 v[6:7], v[6:7], v[8:9]
	s_waitcnt vmcnt(7) lgkmcnt(4)
	v_sub_f32_e32 v51, v52, v65
	s_waitcnt lgkmcnt(3)
	v_mul_f32_e32 v52, v12, v64
	v_pk_add_f32 v[6:7], v[6:7], v[52:53]
	s_waitcnt vmcnt(6)
	v_mul_f32_e32 v12, v55, v51
	global_load_dword v51, v[60:61], off
	v_add_co_u32_e32 v60, vcc, s34, v58
	v_addc_co_u32_e32 v61, vcc, v59, v50, vcc
	global_load_dword v59, v[58:59], off
	s_waitcnt lgkmcnt(2)
	v_mul_f32_e32 v54, v12, v66
	v_add_co_u32_e32 v64, vcc, s34, v62
	global_load_dword v66, v[62:63], off
	global_load_dword v67, v[60:61], off
	v_addc_co_u32_e32 v65, vcc, v63, v50, vcc
	v_add_co_u32_e32 v60, vcc, s34, v60
	v_addc_co_u32_e32 v61, vcc, v61, v50, vcc
	global_load_dword v62, v[64:65], off
	global_load_dword v63, v[60:61], off
	v_add_co_u32_e32 v64, vcc, s34, v64
	v_addc_co_u32_e32 v65, vcc, v65, v50, vcc
	s_waitcnt vmcnt(11) lgkmcnt(1)
	v_sub_f32_e32 v10, v56, v68
	global_load_dword v68, v[64:65], off
	v_add_co_u32_e32 v60, vcc, s34, v60
	s_waitcnt vmcnt(11)
	v_mul_f32_e32 v10, v57, v10
	v_addc_co_u32_e32 v61, vcc, v61, v50, vcc
	s_waitcnt lgkmcnt(0)
	v_mul_f32_e32 v56, v10, v69
	global_load_dword v69, v[60:61], off
	ds_bpermute_b32 v10, v20, v49
	ds_bpermute_b32 v12, v20, v48
	;; [unrolled: 1-line block ×3, first 2 shown]
	v_add_co_u32_e32 v64, vcc, s34, v64
	s_waitcnt vmcnt(11) lgkmcnt(2)
	v_sub_f32_e32 v10, v70, v10
	s_waitcnt vmcnt(9)
	v_mul_f32_e32 v10, v13, v10
	s_waitcnt lgkmcnt(1)
	v_mul_f32_e32 v12, v10, v12
	ds_bpermute_b32 v10, v21, v49
	ds_bpermute_b32 v70, v22, v49
	v_addc_co_u32_e32 v65, vcc, v65, v50, vcc
	v_add_co_u32_e32 v60, vcc, s34, v60
	s_waitcnt lgkmcnt(1)
	v_sub_f32_e32 v10, v71, v10
	s_waitcnt vmcnt(8)
	v_mul_f32_e32 v10, v11, v10
	v_mul_f32_e32 v10, v10, v58
	ds_bpermute_b32 v58, v22, v48
	ds_bpermute_b32 v71, v24, v49
	v_addc_co_u32_e32 v61, vcc, v61, v50, vcc
	v_pk_add_f32 v[6:7], v[6:7], v[54:55]
	v_add_co_u32_e32 v8, vcc, s34, v64
	v_pk_add_f32 v[6:7], v[6:7], v[56:57]
	v_addc_co_u32_e32 v9, vcc, v65, v50, vcc
	v_pk_add_f32 v[6:7], v[6:7], v[12:13]
	v_add_co_u32_e32 v12, vcc, s34, v8
	v_addc_co_u32_e32 v13, vcc, v9, v50, vcc
	v_pk_add_f32 v[10:11], v[6:7], v[10:11]
	v_add_co_u32_e32 v6, vcc, s34, v60
	v_addc_co_u32_e32 v7, vcc, v61, v50, vcc
	s_waitcnt vmcnt(7) lgkmcnt(2)
	v_sub_f32_e32 v51, v51, v70
	ds_bpermute_b32 v70, v23, v49
	s_waitcnt vmcnt(6)
	v_mul_f32_e32 v51, v59, v51
	s_waitcnt lgkmcnt(2)
	v_mul_f32_e32 v58, v51, v58
	ds_bpermute_b32 v51, v23, v48
	s_waitcnt vmcnt(5) lgkmcnt(1)
	v_sub_f32_e32 v66, v66, v70
	ds_bpermute_b32 v70, v24, v48
	s_waitcnt vmcnt(4)
	v_mul_f32_e32 v66, v67, v66
	v_pk_add_f32 v[10:11], v[10:11], v[58:59]
	s_waitcnt lgkmcnt(1)
	v_mul_f32_e32 v66, v66, v51
	ds_bpermute_b32 v58, v31, v48
	v_pk_add_f32 v[10:11], v[10:11], v[66:67]
	s_waitcnt vmcnt(3)
	v_sub_f32_e32 v51, v62, v71
	s_waitcnt vmcnt(2)
	v_mul_f32_e32 v51, v63, v51
	s_waitcnt lgkmcnt(1)
	v_mul_f32_e32 v62, v51, v70
	ds_bpermute_b32 v51, v25, v49
	v_pk_add_f32 v[10:11], v[10:11], v[62:63]
	s_waitcnt vmcnt(1) lgkmcnt(0)
	v_sub_f32_e32 v51, v68, v51
	ds_bpermute_b32 v68, v25, v48
	s_waitcnt vmcnt(0)
	v_mul_f32_e32 v51, v69, v51
	s_waitcnt lgkmcnt(0)
	v_mul_f32_e32 v68, v51, v68
	global_load_dword v51, v[64:65], off
	global_load_dword v70, v[8:9], off
	;; [unrolled: 1-line block ×3, first 2 shown]
	v_add_co_u32_e32 v8, vcc, s34, v6
	v_addc_co_u32_e32 v9, vcc, v7, v50, vcc
	global_load_dword v7, v[6:7], off
	v_add_co_u32_e32 v54, vcc, s34, v12
	v_addc_co_u32_e32 v55, vcc, v13, v50, vcc
	global_load_dword v60, v[12:13], off
	;; [unrolled: 3-line block ×4, first 2 shown]
	global_load_dword v61, v[12:13], off
	v_add_co_u32_e32 v12, vcc, s34, v12
	v_addc_co_u32_e32 v13, vcc, v13, v50, vcc
	v_add_co_u32_e32 v54, vcc, s34, v56
	v_addc_co_u32_e32 v55, vcc, v57, v50, vcc
	global_load_dword v73, v[56:57], off
	v_add_co_u32_e32 v56, vcc, s34, v12
	v_addc_co_u32_e32 v57, vcc, v13, v50, vcc
	global_load_dword v13, v[12:13], off
	;; [unrolled: 3-line block ×3, first 2 shown]
	global_load_dword v71, v[56:57], off
	global_load_dword v75, v[64:65], off
	ds_bpermute_b32 v6, v26, v49
	ds_bpermute_b32 v8, v26, v48
	;; [unrolled: 1-line block ×3, first 2 shown]
	v_add_co_u32_e32 v54, vcc, s34, v56
	ds_bpermute_b32 v56, v29, v48
	v_addc_co_u32_e32 v55, vcc, v57, v50, vcc
	global_load_dword v57, v[54:55], off
	v_pk_add_f32 v[10:11], v[10:11], v[68:69]
	s_waitcnt vmcnt(13) lgkmcnt(3)
	v_sub_f32_e32 v6, v51, v6
	ds_bpermute_b32 v51, v27, v48
	s_waitcnt vmcnt(11)
	v_mul_f32_e32 v6, v53, v6
	s_waitcnt lgkmcnt(3)
	v_mul_f32_e32 v52, v6, v8
	s_waitcnt lgkmcnt(2)
	v_sub_f32_e32 v6, v70, v12
	ds_bpermute_b32 v8, v28, v49
	s_waitcnt vmcnt(10)
	v_mul_f32_e32 v6, v7, v6
	s_waitcnt lgkmcnt(1)
	v_mul_f32_e32 v6, v6, v51
	ds_bpermute_b32 v12, v28, v48
	ds_bpermute_b32 v51, v29, v49
	v_pk_add_f32 v[10:11], v[10:11], v[52:53]
	s_waitcnt vmcnt(9) lgkmcnt(2)
	v_sub_f32_e32 v8, v60, v8
	v_pk_add_f32 v[6:7], v[10:11], v[6:7]
	ds_bpermute_b32 v52, v37, v49
	s_waitcnt vmcnt(8)
	v_mul_f32_e32 v8, v9, v8
	s_waitcnt lgkmcnt(2)
	v_mul_f32_e32 v8, v8, v12
	v_pk_add_f32 v[6:7], v[6:7], v[8:9]
	s_waitcnt vmcnt(7) lgkmcnt(1)
	v_sub_f32_e32 v12, v72, v51
	ds_bpermute_b32 v51, v30, v49
	s_waitcnt vmcnt(6)
	v_mul_f32_e32 v12, v61, v12
	v_mul_f32_e32 v60, v12, v56
	ds_bpermute_b32 v12, v30, v48
	ds_bpermute_b32 v56, v31, v49
	;; [unrolled: 1-line block ×3, first 2 shown]
	v_pk_add_f32 v[6:7], v[6:7], v[60:61]
	s_waitcnt vmcnt(5) lgkmcnt(3)
	v_sub_f32_e32 v51, v73, v51
	ds_bpermute_b32 v73, v35, v49
	s_waitcnt vmcnt(4)
	v_mul_f32_e32 v51, v13, v51
	s_waitcnt lgkmcnt(3)
	v_mul_f32_e32 v12, v51, v12
	v_pk_add_f32 v[6:7], v[6:7], v[12:13]
	s_waitcnt vmcnt(3) lgkmcnt(2)
	v_sub_f32_e32 v51, v74, v56
	s_waitcnt vmcnt(2)
	v_mul_f32_e32 v51, v71, v51
	v_mul_f32_e32 v70, v51, v58
	v_add_co_u32_e32 v58, vcc, s34, v64
	v_addc_co_u32_e32 v59, vcc, v65, v50, vcc
	global_load_dword v62, v[58:59], off
	v_add_co_u32_e32 v54, vcc, s34, v54
	v_addc_co_u32_e32 v55, vcc, v55, v50, vcc
	global_load_dword v63, v[54:55], off
	v_add_co_u32_e32 v58, vcc, s34, v58
	v_addc_co_u32_e32 v59, vcc, v59, v50, vcc
	v_add_co_u32_e32 v54, vcc, s34, v54
	v_addc_co_u32_e32 v55, vcc, v55, v50, vcc
	global_load_dword v64, v[58:59], off
	global_load_dword v65, v[54:55], off
	v_add_co_u32_e32 v58, vcc, s34, v58
	v_addc_co_u32_e32 v59, vcc, v59, v50, vcc
	v_add_co_u32_e32 v54, vcc, s34, v54
	v_addc_co_u32_e32 v55, vcc, v55, v50, vcc
	global_load_dword v66, v[58:59], off
	global_load_dword v67, v[54:55], off
	v_add_co_u32_e32 v58, vcc, s34, v58
	v_addc_co_u32_e32 v59, vcc, v59, v50, vcc
	global_load_dword v68, v[58:59], off
	v_add_co_u32_e32 v54, vcc, s34, v54
	v_addc_co_u32_e32 v55, vcc, v55, v50, vcc
	global_load_dword v69, v[54:55], off
	ds_bpermute_b32 v51, v32, v49
	ds_bpermute_b32 v56, v32, v48
	v_add_co_u32_e32 v58, vcc, s34, v58
	v_addc_co_u32_e32 v59, vcc, v59, v50, vcc
	s_waitcnt vmcnt(9) lgkmcnt(1)
	v_sub_f32_e32 v51, v75, v51
	s_waitcnt vmcnt(8)
	v_mul_f32_e32 v51, v57, v51
	s_waitcnt lgkmcnt(0)
	v_mul_f32_e32 v56, v51, v56
	ds_bpermute_b32 v51, v33, v49
	v_add_co_u32_e32 v54, vcc, s34, v54
	v_addc_co_u32_e32 v55, vcc, v55, v50, vcc
	v_pk_add_f32 v[6:7], v[6:7], v[70:71]
	v_pk_add_f32 v[6:7], v[6:7], v[56:57]
	ds_bpermute_b32 v56, v38, v48
	s_waitcnt vmcnt(7) lgkmcnt(1)
	v_sub_f32_e32 v51, v62, v51
	ds_bpermute_b32 v62, v33, v48
	s_waitcnt vmcnt(6)
	v_mul_f32_e32 v51, v63, v51
	s_waitcnt lgkmcnt(0)
	v_mul_f32_e32 v62, v51, v62
	ds_bpermute_b32 v51, v34, v49
	v_pk_add_f32 v[6:7], v[6:7], v[62:63]
	s_waitcnt vmcnt(5) lgkmcnt(0)
	v_sub_f32_e32 v51, v64, v51
	s_waitcnt vmcnt(4)
	v_mul_f32_e32 v51, v65, v51
	v_mul_f32_e32 v64, v51, v72
	ds_bpermute_b32 v51, v35, v48
	v_pk_add_f32 v[6:7], v[6:7], v[64:65]
	s_waitcnt vmcnt(3)
	v_sub_f32_e32 v66, v66, v73
	s_waitcnt vmcnt(2)
	v_mul_f32_e32 v66, v67, v66
	s_waitcnt lgkmcnt(0)
	v_mul_f32_e32 v66, v66, v51
	ds_bpermute_b32 v51, v36, v49
	v_pk_add_f32 v[6:7], v[6:7], v[66:67]
	s_waitcnt vmcnt(1) lgkmcnt(0)
	v_sub_f32_e32 v51, v68, v51
	ds_bpermute_b32 v68, v36, v48
	s_waitcnt vmcnt(0)
	v_mul_f32_e32 v51, v69, v51
	s_waitcnt lgkmcnt(0)
	v_mul_f32_e32 v68, v51, v68
	global_load_dword v51, v[58:59], off
	global_load_dword v53, v[54:55], off
	v_add_co_u32_e32 v58, vcc, s34, v58
	v_addc_co_u32_e32 v59, vcc, v59, v50, vcc
	v_add_co_u32_e32 v54, vcc, s34, v54
	global_load_dword v72, v[58:59], off
	v_addc_co_u32_e32 v55, vcc, v55, v50, vcc
	global_load_dword v73, v[54:55], off
	v_add_co_u32_e32 v8, vcc, s34, v58
	v_addc_co_u32_e32 v9, vcc, v59, v50, vcc
	v_add_co_u32_e32 v10, vcc, s34, v54
	ds_bpermute_b32 v54, v37, v48
	v_addc_co_u32_e32 v11, vcc, v55, v50, vcc
	v_add_co_u32_e32 v12, vcc, s34, v8
	v_addc_co_u32_e32 v13, vcc, v9, v50, vcc
	global_load_dword v70, v[8:9], off
	v_add_co_u32_e32 v8, vcc, s34, v10
	v_addc_co_u32_e32 v9, vcc, v11, v50, vcc
	v_pk_add_f32 v[6:7], v[6:7], v[68:69]
	global_load_dword v68, v[12:13], off
	s_waitcnt vmcnt(5)
	v_sub_f32_e32 v51, v51, v52
	s_waitcnt vmcnt(4)
	v_mul_f32_e32 v51, v53, v51
	s_waitcnt lgkmcnt(0)
	v_mul_f32_e32 v52, v51, v54
	ds_bpermute_b32 v51, v38, v49
	v_add_co_u32_e32 v54, vcc, s34, v12
	v_addc_co_u32_e32 v55, vcc, v13, v50, vcc
	s_waitcnt vmcnt(3) lgkmcnt(0)
	v_sub_f32_e32 v12, v72, v51
	global_load_dword v74, v[54:55], off
	v_pk_add_f32 v[6:7], v[6:7], v[52:53]
	s_waitcnt vmcnt(3)
	v_mul_f32_e32 v12, v73, v12
	v_mul_f32_e32 v72, v12, v56
	v_add_co_u32_e32 v12, vcc, s34, v8
	v_addc_co_u32_e32 v13, vcc, v9, v50, vcc
	v_add_co_u32_e32 v56, vcc, s34, v54
	v_addc_co_u32_e32 v57, vcc, v55, v50, vcc
	v_add_co_u32_e32 v54, vcc, s34, v12
	v_addc_co_u32_e32 v55, vcc, v13, v50, vcc
	v_add_co_u32_e32 v58, vcc, s34, v56
	v_addc_co_u32_e32 v59, vcc, v57, v50, vcc
	global_load_dword v76, v[56:57], off
	v_add_co_u32_e32 v56, vcc, s34, v54
	v_addc_co_u32_e32 v57, vcc, v55, v50, vcc
	v_add_co_u32_e32 v60, vcc, s34, v58
	v_addc_co_u32_e32 v61, vcc, v59, v50, vcc
	global_load_dword v78, v[58:59], off
	v_add_co_u32_e32 v58, vcc, s34, v56
	v_addc_co_u32_e32 v59, vcc, v57, v50, vcc
	v_add_co_u32_e32 v62, vcc, s34, v60
	v_addc_co_u32_e32 v63, vcc, v61, v50, vcc
	;; [unrolled: 5-line block ×4, first 2 shown]
	global_load_dword v81, v[64:65], off
	v_add_co_u32_e32 v64, vcc, s34, v62
	v_addc_co_u32_e32 v65, vcc, v63, v50, vcc
	global_load_dword v51, v[10:11], off
	global_load_dword v69, v[8:9], off
	;; [unrolled: 1-line block ×4, first 2 shown]
                                        ; kill: killed $vgpr12 killed $vgpr13
                                        ; kill: killed $vgpr8 killed $vgpr9
                                        ; kill: killed $vgpr10 killed $vgpr11
                                        ; kill: killed $vgpr54 killed $vgpr55
	s_nop 0
	global_load_dword v9, v[56:57], off
	global_load_dword v11, v[58:59], off
	;; [unrolled: 1-line block ×6, first 2 shown]
	ds_bpermute_b32 v8, v39, v49
	ds_bpermute_b32 v10, v39, v48
	;; [unrolled: 1-line block ×4, first 2 shown]
	v_pk_add_f32 v[6:7], v[6:7], v[72:73]
	s_waitcnt vmcnt(17) lgkmcnt(3)
	v_sub_f32_e32 v8, v70, v8
	ds_bpermute_b32 v56, v46, v49
	ds_bpermute_b32 v57, v46, v48
	v_add_co_u32_e32 v2, vcc, s28, v2
	s_waitcnt vmcnt(15) lgkmcnt(3)
	v_sub_f32_e32 v12, v74, v12
	s_waitcnt vmcnt(9)
	v_mul_f32_e32 v8, v51, v8
	v_mul_f32_e32 v50, v8, v10
	ds_bpermute_b32 v8, v40, v49
	ds_bpermute_b32 v10, v40, v48
	s_waitcnt vmcnt(7)
	v_mul_f32_e32 v12, v71, v12
	v_pk_add_f32 v[6:7], v[6:7], v[50:51]
	s_waitcnt lgkmcnt(1)
	v_sub_f32_e32 v8, v68, v8
	v_mul_f32_e32 v8, v69, v8
	s_waitcnt lgkmcnt(0)
	v_mul_f32_e32 v68, v8, v10
	ds_bpermute_b32 v8, v41, v48
	ds_bpermute_b32 v10, v42, v49
	v_pk_add_f32 v[6:7], v[6:7], v[68:69]
	s_waitcnt lgkmcnt(1)
	v_mul_f32_e32 v70, v12, v8
	s_waitcnt lgkmcnt(0)
	v_sub_f32_e32 v8, v76, v10
	ds_bpermute_b32 v10, v43, v49
	s_waitcnt vmcnt(6)
	v_mul_f32_e32 v8, v75, v8
	v_mul_f32_e32 v74, v8, v54
	ds_bpermute_b32 v8, v43, v48
	ds_bpermute_b32 v12, v44, v49
	s_waitcnt lgkmcnt(2)
	v_sub_f32_e32 v10, v78, v10
	s_waitcnt vmcnt(5)
	v_mul_f32_e32 v10, v9, v10
	v_pk_add_f32 v[6:7], v[6:7], v[70:71]
	s_waitcnt lgkmcnt(1)
	v_mul_f32_e32 v8, v10, v8
	v_pk_add_f32 v[6:7], v[6:7], v[74:75]
	ds_bpermute_b32 v54, v44, v48
	v_pk_add_f32 v[6:7], v[6:7], v[8:9]
	ds_bpermute_b32 v8, v47, v49
	ds_bpermute_b32 v9, v47, v48
	s_waitcnt lgkmcnt(3)
	v_sub_f32_e32 v10, v79, v12
	ds_bpermute_b32 v12, v45, v49
	s_waitcnt vmcnt(4)
	v_mul_f32_e32 v10, v11, v10
	s_waitcnt lgkmcnt(3)
	v_mul_f32_e32 v10, v10, v54
	ds_bpermute_b32 v54, v45, v48
	s_waitcnt vmcnt(1) lgkmcnt(3)
	v_sub_f32_e32 v8, v82, v8
	s_waitcnt vmcnt(0)
	v_mul_f32_e32 v8, v77, v8
	s_waitcnt lgkmcnt(2)
	v_mul_f32_e32 v76, v8, v9
	v_mov_b32_e32 v8, s29
	s_waitcnt lgkmcnt(1)
	v_sub_f32_e32 v12, v80, v12
	v_addc_co_u32_e32 v3, vcc, v3, v8, vcc
	v_mul_f32_e32 v12, v13, v12
	v_mov_b32_e32 v8, s5
	v_add_co_u32_e32 v0, vcc, s4, v0
	s_waitcnt lgkmcnt(0)
	v_mul_f32_e32 v12, v12, v54
	v_sub_f32_e32 v54, v81, v56
	v_addc_co_u32_e32 v1, vcc, v1, v8, vcc
	v_mul_f32_e32 v54, v55, v54
	v_pk_add_f32 v[6:7], v[6:7], v[10:11]
	v_mov_b32_e32 v8, s31
	v_add_co_u32_e32 v4, vcc, s30, v4
	v_mul_f32_e32 v54, v54, v57
	v_pk_add_f32 v[6:7], v[6:7], v[12:13]
	v_addc_co_u32_e32 v5, vcc, v5, v8, vcc
	v_pk_mov_b32 v[8:9], s[16:17], s[16:17] op_sel:[0,1]
	v_pk_add_f32 v[6:7], v[6:7], v[54:55]
	v_cmp_lt_i64_e32 vcc, s[24:25], v[8:9]
	v_pk_add_f32 v[6:7], v[6:7], v[76:77]
	s_cbranch_vccz .LBB60_10
.LBB60_7:                               ; =>This Inner Loop Header: Depth=1
	v_mov_b32_e32 v48, 0
	v_mov_b32_e32 v49, 0
	s_and_saveexec_b64 s[36:37], s[0:1]
	s_cbranch_execz .LBB60_6
; %bb.8:                                ;   in Loop: Header=BB60_7 Depth=1
	v_cmp_gt_i64_e32 vcc, s[16:17], v[0:1]
	v_mov_b32_e32 v49, 0
	v_mov_b32_e32 v48, 0
	s_and_saveexec_b64 s[38:39], vcc
	s_cbranch_execz .LBB60_5
; %bb.9:                                ;   in Loop: Header=BB60_7 Depth=1
	v_mov_b32_e32 v9, s15
	v_add_co_u32_e32 v8, vcc, s14, v2
	v_addc_co_u32_e32 v9, vcc, v9, v3, vcc
	v_mov_b32_e32 v11, s13
	v_add_co_u32_e32 v10, vcc, s12, v2
	v_addc_co_u32_e32 v11, vcc, v11, v3, vcc
	global_load_dword v49, v[10:11], off
	global_load_dword v48, v[8:9], off
	s_branch .LBB60_5
.LBB60_10:
	v_mov_b32_e32 v2, v14
.LBB60_11:
	s_mov_b32 s7, 0
	s_lshl_b64 s[0:1], s[6:7], 5
	v_mov_b32_e32 v1, s1
	s_load_dword s1, s[26:27], 0xc
	v_mov_b32_e32 v3, 0
	v_add_co_u32_e32 v0, vcc, s0, v15
	v_mov_b32_e32 v4, s2
	s_waitcnt lgkmcnt(0)
	s_lshr_b32 s0, s1, 16
	v_addc_co_u32_e32 v1, vcc, 0, v1, vcc
	v_mad_u64_u32 v[2:3], s[0:1], s0, v4, v[2:3]
	s_cmp_eq_u64 s[20:21], 0
	v_mul_lo_u32 v3, v3, s18
	v_mul_lo_u32 v4, v2, s19
	v_lshlrev_b64 v[0:1], 2, v[0:1]
	s_cbranch_scc1 .LBB60_13
; %bb.12:
	v_mad_u64_u32 v[8:9], s[0:1], v2, s18, 0
	v_add3_u32 v9, v9, v4, v3
	v_lshlrev_b64 v[8:9], 2, v[8:9]
	v_mov_b32_e32 v5, s21
	v_add_co_u32_e32 v8, vcc, s20, v8
	v_addc_co_u32_e32 v5, vcc, v5, v9, vcc
	v_add_co_u32_e32 v8, vcc, v8, v0
	v_addc_co_u32_e32 v9, vcc, v5, v1, vcc
	global_store_dword v[8:9], v6, off
.LBB60_13:
	s_cmp_eq_u64 s[22:23], 0
	s_cbranch_scc1 .LBB60_15
; %bb.14:
	v_mad_u64_u32 v[8:9], s[0:1], v2, s18, 0
	v_add3_u32 v9, v9, v4, v3
	v_lshlrev_b64 v[2:3], 2, v[8:9]
	v_mov_b32_e32 v4, s23
	v_add_co_u32_e32 v2, vcc, s22, v2
	v_addc_co_u32_e32 v3, vcc, v4, v3, vcc
	v_add_co_u32_e32 v0, vcc, v2, v0
	v_addc_co_u32_e32 v1, vcc, v3, v1, vcc
	global_store_dword v[0:1], v7, off
.LBB60_15:
	s_endpgm
	.section	.rodata,"a",@progbits
	.p2align	6, 0x0
	.amdhsa_kernel _ZN2at6native12_GLOBAL__N_135GammaBetaBackwardCUDAKernelTemplateIffLj32ELj1ELj32ELb1ELb1ELb0EEEvllPKT_S5_PKT0_S8_PS3_S9_
		.amdhsa_group_segment_fixed_size 0
		.amdhsa_private_segment_fixed_size 0
		.amdhsa_kernarg_size 320
		.amdhsa_user_sgpr_count 6
		.amdhsa_user_sgpr_private_segment_buffer 1
		.amdhsa_user_sgpr_dispatch_ptr 0
		.amdhsa_user_sgpr_queue_ptr 0
		.amdhsa_user_sgpr_kernarg_segment_ptr 1
		.amdhsa_user_sgpr_dispatch_id 0
		.amdhsa_user_sgpr_flat_scratch_init 0
		.amdhsa_user_sgpr_kernarg_preload_length 0
		.amdhsa_user_sgpr_kernarg_preload_offset 0
		.amdhsa_user_sgpr_private_segment_size 0
		.amdhsa_uses_dynamic_stack 0
		.amdhsa_system_sgpr_private_segment_wavefront_offset 0
		.amdhsa_system_sgpr_workgroup_id_x 1
		.amdhsa_system_sgpr_workgroup_id_y 1
		.amdhsa_system_sgpr_workgroup_id_z 0
		.amdhsa_system_sgpr_workgroup_info 0
		.amdhsa_system_vgpr_workitem_id 1
		.amdhsa_next_free_vgpr 83
		.amdhsa_next_free_sgpr 40
		.amdhsa_accum_offset 84
		.amdhsa_reserve_vcc 1
		.amdhsa_reserve_flat_scratch 0
		.amdhsa_float_round_mode_32 0
		.amdhsa_float_round_mode_16_64 0
		.amdhsa_float_denorm_mode_32 3
		.amdhsa_float_denorm_mode_16_64 3
		.amdhsa_dx10_clamp 1
		.amdhsa_ieee_mode 1
		.amdhsa_fp16_overflow 0
		.amdhsa_tg_split 0
		.amdhsa_exception_fp_ieee_invalid_op 0
		.amdhsa_exception_fp_denorm_src 0
		.amdhsa_exception_fp_ieee_div_zero 0
		.amdhsa_exception_fp_ieee_overflow 0
		.amdhsa_exception_fp_ieee_underflow 0
		.amdhsa_exception_fp_ieee_inexact 0
		.amdhsa_exception_int_div_zero 0
	.end_amdhsa_kernel
	.section	.text._ZN2at6native12_GLOBAL__N_135GammaBetaBackwardCUDAKernelTemplateIffLj32ELj1ELj32ELb1ELb1ELb0EEEvllPKT_S5_PKT0_S8_PS3_S9_,"axG",@progbits,_ZN2at6native12_GLOBAL__N_135GammaBetaBackwardCUDAKernelTemplateIffLj32ELj1ELj32ELb1ELb1ELb0EEEvllPKT_S5_PKT0_S8_PS3_S9_,comdat
.Lfunc_end60:
	.size	_ZN2at6native12_GLOBAL__N_135GammaBetaBackwardCUDAKernelTemplateIffLj32ELj1ELj32ELb1ELb1ELb0EEEvllPKT_S5_PKT0_S8_PS3_S9_, .Lfunc_end60-_ZN2at6native12_GLOBAL__N_135GammaBetaBackwardCUDAKernelTemplateIffLj32ELj1ELj32ELb1ELb1ELb0EEEvllPKT_S5_PKT0_S8_PS3_S9_
                                        ; -- End function
	.section	.AMDGPU.csdata,"",@progbits
; Kernel info:
; codeLenInByte = 3416
; NumSgprs: 44
; NumVgprs: 83
; NumAgprs: 0
; TotalNumVgprs: 83
; ScratchSize: 0
; MemoryBound: 0
; FloatMode: 240
; IeeeMode: 1
; LDSByteSize: 0 bytes/workgroup (compile time only)
; SGPRBlocks: 5
; VGPRBlocks: 10
; NumSGPRsForWavesPerEU: 44
; NumVGPRsForWavesPerEU: 83
; AccumOffset: 84
; Occupancy: 5
; WaveLimiterHint : 0
; COMPUTE_PGM_RSRC2:SCRATCH_EN: 0
; COMPUTE_PGM_RSRC2:USER_SGPR: 6
; COMPUTE_PGM_RSRC2:TRAP_HANDLER: 0
; COMPUTE_PGM_RSRC2:TGID_X_EN: 1
; COMPUTE_PGM_RSRC2:TGID_Y_EN: 1
; COMPUTE_PGM_RSRC2:TGID_Z_EN: 0
; COMPUTE_PGM_RSRC2:TIDIG_COMP_CNT: 1
; COMPUTE_PGM_RSRC3_GFX90A:ACCUM_OFFSET: 20
; COMPUTE_PGM_RSRC3_GFX90A:TG_SPLIT: 0
	.section	.text._ZN2at6native12_GLOBAL__N_135GammaBetaBackwardCUDAKernelTemplateIffLj32ELj1ELj32ELb1ELb0ELb0EEEvllPKT_S5_PKT0_S8_PS3_S9_,"axG",@progbits,_ZN2at6native12_GLOBAL__N_135GammaBetaBackwardCUDAKernelTemplateIffLj32ELj1ELj32ELb1ELb0ELb0EEEvllPKT_S5_PKT0_S8_PS3_S9_,comdat
	.globl	_ZN2at6native12_GLOBAL__N_135GammaBetaBackwardCUDAKernelTemplateIffLj32ELj1ELj32ELb1ELb0ELb0EEEvllPKT_S5_PKT0_S8_PS3_S9_ ; -- Begin function _ZN2at6native12_GLOBAL__N_135GammaBetaBackwardCUDAKernelTemplateIffLj32ELj1ELj32ELb1ELb0ELb0EEEvllPKT_S5_PKT0_S8_PS3_S9_
	.p2align	8
	.type	_ZN2at6native12_GLOBAL__N_135GammaBetaBackwardCUDAKernelTemplateIffLj32ELj1ELj32ELb1ELb0ELb0EEEvllPKT_S5_PKT0_S8_PS3_S9_,@function
_ZN2at6native12_GLOBAL__N_135GammaBetaBackwardCUDAKernelTemplateIffLj32ELj1ELj32ELb1ELb0ELb0EEEvllPKT_S5_PKT0_S8_PS3_S9_: ; @_ZN2at6native12_GLOBAL__N_135GammaBetaBackwardCUDAKernelTemplateIffLj32ELj1ELj32ELb1ELb0ELb0EEEvllPKT_S5_PKT0_S8_PS3_S9_
; %bb.0:
	s_load_dwordx8 s[12:19], s[4:5], 0x0
	s_load_dwordx4 s[20:23], s[4:5], 0x20
	s_lshl_b32 s9, s6, 5
	v_mov_b32_e32 v255, v0
	s_or_b32 s24, s9, 31
	s_mov_b32 s25, 0
	s_waitcnt lgkmcnt(0)
	v_pk_mov_b32 v[0:1], s[14:15], s[14:15] op_sel:[0,1]
	v_cmp_ge_i64_e32 vcc, s[24:25], v[0:1]
	s_lshl_b32 s24, s7, 5
	v_pk_mov_b32 v[0:1], s[12:13], s[12:13] op_sel:[0,1]
	v_cmp_lt_i64_e64 s[0:1], s[24:25], v[0:1]
	v_cndmask_b32_e64 v0, 0, 1, s[0:1]
	s_mov_b32 s8, s7
	v_cmp_ne_u32_e64 s[0:1], 1, v0
	s_cbranch_vccz .LBB61_144
; %bb.1:
	v_mov_b32_e32 v3, 0
	s_and_b64 vcc, exec, s[0:1]
	v_mov_b32_e32 v2, v3
	s_cbranch_vccnz .LBB61_145
; %bb.2:
	v_bfe_u32 v0, v255, 10, 10
	v_lshlrev_b32_e32 v4, 5, v0
	v_mov_b32_e32 v1, s25
	v_add_co_u32_e32 v2, vcc, s24, v4
	v_addc_co_u32_e32 v123, vcc, 0, v1, vcc
	v_add_co_u32_e32 v1, vcc, 31, v2
	v_addc_co_u32_e32 v3, vcc, 0, v123, vcc
	v_mul_lo_u32 v5, s15, v1
	v_mul_lo_u32 v3, s14, v3
	v_mad_u64_u32 v[6:7], s[2:3], s14, v1, 0
	v_add3_u32 v7, v7, v3, v5
	v_lshlrev_b64 v[8:9], 2, v[6:7]
	v_mov_b32_e32 v3, s17
	v_add_co_u32_e32 v6, vcc, s16, v8
	v_addc_co_u32_e32 v1, vcc, v3, v9, vcc
	v_mov_b32_e32 v129, s19
	v_add_co_u32_e32 v8, vcc, s18, v8
	v_addc_co_u32_e32 v5, vcc, v129, v9, vcc
	v_add_co_u32_e32 v7, vcc, 30, v2
	v_addc_co_u32_e32 v9, vcc, 0, v123, vcc
	v_mul_lo_u32 v12, s15, v7
	v_mul_lo_u32 v9, s14, v9
	v_mad_u64_u32 v[10:11], s[2:3], s14, v7, 0
	v_add3_u32 v11, v11, v9, v12
	v_lshlrev_b64 v[12:13], 2, v[10:11]
	v_add_co_u32_e32 v10, vcc, s16, v12
	v_addc_co_u32_e32 v7, vcc, v3, v13, vcc
	v_add_co_u32_e32 v12, vcc, s18, v12
	v_addc_co_u32_e32 v9, vcc, v129, v13, vcc
	v_add_co_u32_e32 v11, vcc, 29, v2
	v_addc_co_u32_e32 v13, vcc, 0, v123, vcc
	v_mul_lo_u32 v16, s15, v11
	v_mul_lo_u32 v13, s14, v13
	v_mad_u64_u32 v[14:15], s[2:3], s14, v11, 0
	v_add3_u32 v15, v15, v13, v16
	v_lshlrev_b64 v[16:17], 2, v[14:15]
	v_add_co_u32_e32 v14, vcc, s16, v16
	v_addc_co_u32_e32 v11, vcc, v3, v17, vcc
	;; [unrolled: 11-line block ×29, first 2 shown]
	v_add_co_u32_e32 v124, vcc, s18, v124
	v_pk_mov_b32 v[126:127], s[14:15], s[14:15] op_sel:[0,1]
	v_addc_co_u32_e32 v121, vcc, v129, v125, vcc
	v_mad_u64_u32 v[126:127], s[2:3], s14, v2, v[126:127]
	v_mul_lo_u32 v123, s14, v123
	v_mul_lo_u32 v125, s15, v2
	v_add3_u32 v127, v125, v127, v123
	v_lshlrev_b64 v[130:131], 2, v[126:127]
	v_mad_u64_u32 v[132:133], s[2:3], s14, v2, 0
	v_add_co_u32_e32 v126, vcc, s16, v130
	v_add3_u32 v133, v133, v123, v125
	v_addc_co_u32_e32 v123, vcc, v3, v131, vcc
	s_load_dword s7, s[4:5], 0x44
	v_add_co_u32_e32 v128, vcc, s18, v130
	v_addc_co_u32_e32 v125, vcc, v129, v131, vcc
	v_lshlrev_b64 v[132:133], 2, v[132:133]
	v_add_co_u32_e32 v130, vcc, s16, v132
	v_addc_co_u32_e32 v127, vcc, v3, v133, vcc
	s_add_u32 s26, s4, 64
	v_add_co_u32_e32 v132, vcc, s18, v132
	s_addc_u32 s27, s5, 0
	s_waitcnt lgkmcnt(0)
	s_lshl_b32 s7, s7, 5
	v_mbcnt_lo_u32_b32 v2, -1, 0
	v_addc_co_u32_e32 v129, vcc, v129, v133, vcc
	v_and_b32_e32 v133, 0x3ff, v255
	s_mul_i32 s10, s15, s7
	s_mul_hi_u32 s11, s14, s7
	v_mbcnt_hi_u32_b32 v2, -1, v2
	v_add_u32_e32 v134, s9, v133
	v_mov_b32_e32 v135, 0
	s_add_i32 s11, s11, s10
	s_mul_i32 s10, s14, s7
	v_lshlrev_b32_e32 v2, 2, v2
	v_cmp_gt_i64_e64 s[2:3], s[14:15], v[134:135]
	s_mov_b32 s33, s25
	s_mov_b64 s[28:29], 31
	s_lshl_b64 s[30:31], s[10:11], 2
	v_and_b32_e32 v204, 0x100, v2
	v_mov_b32_e32 v2, 0
	v_mov_b32_e32 v3, v135
	s_mov_b64 s[34:35], s[24:25]
	v_mov_b32_e32 v131, v135
	v_lshlrev_b64 v[136:137], 2, v[134:135]
	s_branch .LBB61_5
.LBB61_3:                               ;   in Loop: Header=BB61_5 Depth=1
	s_or_b64 exec, exec, s[10:11]
	s_waitcnt vmcnt(1)
	ds_bpermute_b32 v140, v204, v166
	s_waitcnt vmcnt(0)
	ds_bpermute_b32 v158, v204, v134
	ds_bpermute_b32 v207, v204, v166 offset:4
	ds_bpermute_b32 v168, v204, v134 offset:4
	;; [unrolled: 1-line block ×3, first 2 shown]
	s_waitcnt lgkmcnt(4)
	v_sub_f32_e32 v138, v138, v140
	v_mul_f32_e32 v138, v141, v138
	s_waitcnt lgkmcnt(3)
	v_mul_f32_e32 v140, v138, v158
	ds_bpermute_b32 v158, v204, v134 offset:8
	s_waitcnt lgkmcnt(3)
	v_sub_f32_e32 v138, v142, v207
	v_mul_f32_e32 v138, v143, v138
	s_waitcnt lgkmcnt(2)
	v_mul_f32_e32 v142, v138, v168
	s_waitcnt lgkmcnt(1)
	v_sub_f32_e32 v138, v144, v208
	ds_bpermute_b32 v144, v204, v166 offset:12
	v_mul_f32_e32 v138, v139, v138
	s_waitcnt lgkmcnt(1)
	v_mul_f32_e32 v138, v138, v158
	ds_bpermute_b32 v158, v204, v134 offset:12
	ds_bpermute_b32 v168, v204, v166 offset:16
	s_waitcnt lgkmcnt(2)
	v_sub_f32_e32 v144, v146, v144
	v_mul_f32_e32 v144, v147, v144
	ds_bpermute_b32 v207, v204, v134 offset:16
	s_waitcnt lgkmcnt(2)
	v_mul_f32_e32 v146, v144, v158
	s_waitcnt lgkmcnt(1)
	v_sub_f32_e32 v144, v148, v168
	ds_bpermute_b32 v148, v204, v166 offset:20
	ds_bpermute_b32 v158, v204, v134 offset:20
	;; [unrolled: 1-line block ×3, first 2 shown]
	v_pk_add_f32 v[2:3], v[2:3], v[140:141]
	v_mul_f32_e32 v144, v145, v144
	s_waitcnt lgkmcnt(2)
	v_sub_f32_e32 v148, v150, v148
	v_mul_f32_e32 v148, v151, v148
	s_waitcnt lgkmcnt(1)
	v_mul_f32_e32 v150, v148, v158
	s_waitcnt lgkmcnt(0)
	v_sub_f32_e32 v148, v152, v168
	ds_bpermute_b32 v152, v204, v166 offset:28
	ds_bpermute_b32 v158, v204, v134 offset:28
	;; [unrolled: 1-line block ×3, first 2 shown]
	v_pk_add_f32 v[2:3], v[2:3], v[142:143]
	v_mul_f32_e32 v144, v144, v207
	s_waitcnt lgkmcnt(2)
	v_sub_f32_e32 v152, v154, v152
	ds_bpermute_b32 v154, v204, v134 offset:32
	v_mul_f32_e32 v152, v159, v152
	ds_bpermute_b32 v207, v204, v134 offset:24
	s_waitcnt lgkmcnt(3)
	v_mul_f32_e32 v158, v152, v158
	s_waitcnt lgkmcnt(2)
	v_sub_f32_e32 v152, v156, v168
	ds_bpermute_b32 v156, v204, v166 offset:36
	v_pk_add_f32 v[2:3], v[2:3], v[138:139]
	ds_bpermute_b32 v138, v204, v166 offset:44
	v_mul_f32_e32 v152, v153, v152
	s_waitcnt lgkmcnt(3)
	v_mul_f32_e32 v152, v152, v154
	ds_bpermute_b32 v154, v204, v134 offset:36
	ds_bpermute_b32 v139, v204, v134 offset:44
	v_mul_f32_e32 v148, v149, v148
	s_waitcnt lgkmcnt(4)
	v_mul_f32_e32 v148, v148, v207
	ds_bpermute_b32 v207, v204, v166 offset:40
	s_waitcnt lgkmcnt(4)
	v_sub_f32_e32 v156, v160, v156
	s_waitcnt lgkmcnt(3)
	v_sub_f32_e32 v138, v164, v138
	ds_bpermute_b32 v140, v204, v166 offset:48
	v_mul_f32_e32 v156, v169, v156
	v_mul_f32_e32 v138, v157, v138
	ds_bpermute_b32 v160, v204, v134 offset:40
	s_waitcnt lgkmcnt(4)
	v_mul_f32_e32 v168, v156, v154
	s_waitcnt lgkmcnt(3)
	v_mul_f32_e32 v156, v138, v139
	ds_bpermute_b32 v138, v204, v134 offset:48
	ds_bpermute_b32 v139, v204, v166 offset:52
	;; [unrolled: 1-line block ×3, first 2 shown]
	s_waitcnt lgkmcnt(5)
	v_sub_f32_e32 v154, v162, v207
	s_waitcnt lgkmcnt(4)
	v_sub_f32_e32 v140, v170, v140
	v_mul_f32_e32 v154, v163, v154
	v_mul_f32_e32 v140, v155, v140
	s_waitcnt lgkmcnt(3)
	v_mul_f32_e32 v162, v154, v160
	s_waitcnt lgkmcnt(2)
	;; [unrolled: 2-line block ×3, first 2 shown]
	v_sub_f32_e32 v138, v172, v139
	ds_bpermute_b32 v139, v204, v166 offset:56
	v_mul_f32_e32 v138, v165, v138
	s_waitcnt lgkmcnt(1)
	v_mul_f32_e32 v164, v138, v141
	ds_bpermute_b32 v138, v204, v134 offset:56
	ds_bpermute_b32 v140, v204, v166 offset:60
	ds_bpermute_b32 v141, v204, v134 offset:60
	s_waitcnt lgkmcnt(3)
	v_sub_f32_e32 v139, v174, v139
	v_mul_f32_e32 v139, v161, v139
	s_waitcnt lgkmcnt(2)
	v_mul_f32_e32 v160, v139, v138
	s_waitcnt lgkmcnt(1)
	v_sub_f32_e32 v138, v176, v140
	ds_bpermute_b32 v139, v204, v166 offset:64
	v_mul_f32_e32 v138, v173, v138
	s_waitcnt lgkmcnt(1)
	v_mul_f32_e32 v172, v138, v141
	ds_bpermute_b32 v138, v204, v134 offset:64
	ds_bpermute_b32 v140, v204, v166 offset:68
	ds_bpermute_b32 v141, v204, v134 offset:68
	s_waitcnt lgkmcnt(3)
	v_sub_f32_e32 v139, v178, v139
	v_mul_f32_e32 v139, v171, v139
	s_waitcnt lgkmcnt(2)
	v_mul_f32_e32 v170, v139, v138
	s_waitcnt lgkmcnt(1)
	;; [unrolled: 14-line block ×4, first 2 shown]
	v_sub_f32_e32 v138, v192, v140
	v_mul_f32_e32 v138, v189, v138
	s_waitcnt lgkmcnt(0)
	v_mul_f32_e32 v188, v138, v141
	ds_bpermute_b32 v138, v204, v166 offset:88
	ds_bpermute_b32 v139, v204, v134 offset:88
	;; [unrolled: 1-line block ×4, first 2 shown]
	v_pk_add_f32 v[2:3], v[2:3], v[146:147]
	s_waitcnt lgkmcnt(3)
	v_sub_f32_e32 v138, v186, v138
	v_mul_f32_e32 v138, v179, v138
	s_waitcnt lgkmcnt(2)
	v_mul_f32_e32 v178, v138, v139
	s_waitcnt lgkmcnt(1)
	v_sub_f32_e32 v138, v190, v140
	ds_bpermute_b32 v139, v204, v166 offset:96
	v_mul_f32_e32 v138, v187, v138
	s_waitcnt lgkmcnt(1)
	v_mul_f32_e32 v186, v138, v141
	ds_bpermute_b32 v138, v204, v134 offset:96
	ds_bpermute_b32 v140, v204, v166 offset:100
	;; [unrolled: 1-line block ×3, first 2 shown]
	v_pk_add_f32 v[2:3], v[2:3], v[144:145]
	s_waitcnt lgkmcnt(3)
	v_sub_f32_e32 v139, v194, v139
	v_pk_add_f32 v[2:3], v[2:3], v[150:151]
	v_mul_f32_e32 v139, v185, v139
	v_pk_add_f32 v[2:3], v[2:3], v[148:149]
	s_waitcnt lgkmcnt(2)
	v_mul_f32_e32 v184, v139, v138
	s_waitcnt lgkmcnt(1)
	v_sub_f32_e32 v138, v196, v140
	ds_bpermute_b32 v139, v204, v166 offset:104
	v_pk_add_f32 v[2:3], v[2:3], v[158:159]
	v_mul_f32_e32 v138, v193, v138
	v_pk_add_f32 v[2:3], v[2:3], v[152:153]
	s_waitcnt lgkmcnt(1)
	v_mul_f32_e32 v192, v138, v141
	ds_bpermute_b32 v138, v204, v134 offset:104
	ds_bpermute_b32 v140, v204, v166 offset:108
	v_pk_add_f32 v[2:3], v[2:3], v[168:169]
	v_pk_add_f32 v[2:3], v[2:3], v[162:163]
	ds_bpermute_b32 v141, v204, v134 offset:108
	v_pk_add_f32 v[2:3], v[2:3], v[156:157]
	s_waitcnt lgkmcnt(3)
	v_sub_f32_e32 v139, v198, v139
	v_pk_add_f32 v[2:3], v[2:3], v[154:155]
	v_mul_f32_e32 v139, v191, v139
	v_pk_add_f32 v[2:3], v[2:3], v[164:165]
	s_waitcnt lgkmcnt(2)
	v_mul_f32_e32 v190, v139, v138
	s_waitcnt lgkmcnt(1)
	v_sub_f32_e32 v138, v200, v140
	ds_bpermute_b32 v139, v204, v166 offset:112
	v_pk_add_f32 v[2:3], v[2:3], v[160:161]
	v_mul_f32_e32 v138, v197, v138
	v_pk_add_f32 v[2:3], v[2:3], v[172:173]
	s_waitcnt lgkmcnt(1)
	v_mul_f32_e32 v196, v138, v141
	ds_bpermute_b32 v138, v204, v134 offset:112
	ds_bpermute_b32 v140, v204, v166 offset:116
	v_pk_add_f32 v[2:3], v[2:3], v[170:171]
	v_pk_add_f32 v[2:3], v[2:3], v[176:177]
	ds_bpermute_b32 v141, v204, v134 offset:116
	v_pk_add_f32 v[2:3], v[2:3], v[174:175]
	s_waitcnt lgkmcnt(3)
	v_sub_f32_e32 v139, v202, v139
	v_pk_add_f32 v[2:3], v[2:3], v[182:183]
	v_mul_f32_e32 v139, v195, v139
	v_pk_add_f32 v[2:3], v[2:3], v[180:181]
	s_waitcnt lgkmcnt(2)
	v_mul_f32_e32 v194, v139, v138
	s_waitcnt lgkmcnt(1)
	v_sub_f32_e32 v138, v206, v140
	v_pk_add_f32 v[2:3], v[2:3], v[188:189]
	v_mul_f32_e32 v138, v201, v138
	s_waitcnt lgkmcnt(0)
	v_mul_f32_e32 v200, v138, v141
	v_pk_add_f32 v[2:3], v[2:3], v[178:179]
	ds_bpermute_b32 v138, v204, v166 offset:120
	v_pk_add_f32 v[2:3], v[2:3], v[186:187]
	v_pk_add_f32 v[2:3], v[2:3], v[184:185]
	ds_bpermute_b32 v139, v204, v134 offset:120
	v_pk_add_f32 v[2:3], v[2:3], v[192:193]
	v_pk_add_f32 v[2:3], v[2:3], v[190:191]
	;; [unrolled: 1-line block ×3, first 2 shown]
	s_waitcnt lgkmcnt(1)
	v_sub_f32_e32 v138, v203, v138
	v_pk_add_f32 v[2:3], v[2:3], v[194:195]
	v_mul_f32_e32 v138, v199, v138
	v_pk_add_f32 v[2:3], v[2:3], v[200:201]
	s_waitcnt lgkmcnt(0)
	v_mul_f32_e32 v198, v138, v139
	ds_bpermute_b32 v134, v204, v134 offset:124
	ds_bpermute_b32 v142, v204, v166 offset:124
	v_pk_add_f32 v[140:141], v[2:3], v[198:199]
.LBB61_4:                               ;   in Loop: Header=BB61_5 Depth=1
	s_waitcnt lgkmcnt(0)
	v_sub_f32_e32 v2, v205, v142
	v_mul_f32_e32 v2, v167, v2
	v_mul_f32_e32 v166, v2, v134
	v_mov_b32_e32 v134, s33
	v_add_co_u32_e64 v4, s[10:11], s7, v4
	v_addc_co_u32_e64 v131, s[10:11], v131, v134, s[10:11]
	v_mov_b32_e32 v134, s31
	v_add_co_u32_e64 v6, s[10:11], s30, v6
	v_addc_co_u32_e64 v1, s[10:11], v1, v134, s[10:11]
	v_add_co_u32_e64 v8, s[10:11], s30, v8
	v_addc_co_u32_e64 v5, s[10:11], v5, v134, s[10:11]
	;; [unrolled: 2-line block ×62, first 2 shown]
	s_add_u32 s34, s34, s7
	v_add_co_u32_e64 v130, s[10:11], s30, v130
	s_addc_u32 s35, s35, 0
	v_pk_mov_b32 v[138:139], s[12:13], s[12:13] op_sel:[0,1]
	v_addc_co_u32_e64 v127, s[10:11], v127, v134, s[10:11]
	v_cmp_lt_i64_e32 vcc, s[34:35], v[138:139]
	v_add_co_u32_e64 v132, s[10:11], s30, v132
	s_add_u32 s28, s28, s7
	v_pk_add_f32 v[2:3], v[140:141], v[166:167]
	v_addc_co_u32_e64 v129, s[10:11], v129, v134, s[10:11]
	s_addc_u32 s29, s29, 0
	s_cbranch_vccz .LBB61_145
.LBB61_5:                               ; =>This Inner Loop Header: Depth=1
	s_add_u32 s10, s24, s28
	s_addc_u32 s11, 0, s29
	v_pk_mov_b32 v[138:139], s[12:13], s[12:13] op_sel:[0,1]
	v_cmp_ge_i64_e32 vcc, s[10:11], v[138:139]
	v_mov_b32_e32 v134, s25
	v_add_co_u32_e64 v138, s[10:11], s24, v4
	v_addc_co_u32_e64 v139, s[10:11], v134, v131, s[10:11]
	s_cbranch_vccz .LBB61_75
; %bb.6:                                ;   in Loop: Header=BB61_5 Depth=1
	s_load_dword s10, s[26:27], 0xc
	v_mov_b32_e32 v141, 0
	v_mov_b32_e32 v134, 0
	v_mov_b32_e32 v166, 0
	s_waitcnt lgkmcnt(0)
	s_and_b32 s10, s10, 0xffff
	v_mad_u32_u24 v140, v0, s10, v133
	v_and_b32_e32 v140, 63, v140
	v_cmp_gt_u32_e32 vcc, 32, v140
	s_and_saveexec_b64 s[10:11], vcc
	s_cbranch_execz .LBB61_10
; %bb.7:                                ;   in Loop: Header=BB61_5 Depth=1
	v_add_co_u32_e32 v142, vcc, v138, v140
	v_addc_co_u32_e32 v143, vcc, 0, v139, vcc
	v_cmp_gt_i64_e32 vcc, s[12:13], v[142:143]
	v_mov_b32_e32 v166, 0
	v_mov_b32_e32 v134, 0
	s_and_saveexec_b64 s[36:37], vcc
	s_cbranch_execz .LBB61_9
; %bb.8:                                ;   in Loop: Header=BB61_5 Depth=1
	v_lshlrev_b64 v[142:143], 2, v[142:143]
	v_mov_b32_e32 v134, s23
	v_add_co_u32_e32 v144, vcc, s22, v142
	v_addc_co_u32_e32 v145, vcc, v134, v143, vcc
	v_mov_b32_e32 v134, s21
	v_add_co_u32_e32 v142, vcc, s20, v142
	v_addc_co_u32_e32 v143, vcc, v134, v143, vcc
	global_load_dword v166, v[142:143], off
	global_load_dword v134, v[144:145], off
.LBB61_9:                               ;   in Loop: Header=BB61_5 Depth=1
	s_or_b64 exec, exec, s[36:37]
.LBB61_10:                              ;   in Loop: Header=BB61_5 Depth=1
	s_or_b64 exec, exec, s[10:11]
	v_cmp_gt_i64_e32 vcc, s[12:13], v[138:139]
	s_and_b64 s[36:37], s[2:3], vcc
	v_mov_b32_e32 v140, 0
	s_and_saveexec_b64 s[10:11], s[36:37]
	s_cbranch_execz .LBB61_12
; %bb.11:                               ;   in Loop: Header=BB61_5 Depth=1
	v_add_co_u32_e32 v140, vcc, v130, v136
	v_addc_co_u32_e32 v141, vcc, v127, v137, vcc
	v_add_co_u32_e32 v142, vcc, v132, v136
	v_addc_co_u32_e32 v143, vcc, v129, v137, vcc
	global_load_dword v141, v[140:141], off
	s_nop 0
	global_load_dword v140, v[142:143], off
.LBB61_12:                              ;   in Loop: Header=BB61_5 Depth=1
	s_or_b64 exec, exec, s[10:11]
	v_add_co_u32_e32 v142, vcc, 1, v138
	v_addc_co_u32_e32 v143, vcc, 0, v139, vcc
	v_cmp_gt_i64_e32 vcc, s[12:13], v[142:143]
	s_and_b64 s[36:37], s[2:3], vcc
	v_mov_b32_e32 v143, 0
	v_mov_b32_e32 v145, 0
	v_mov_b32_e32 v142, 0
	s_and_saveexec_b64 s[10:11], s[36:37]
	s_cbranch_execz .LBB61_14
; %bb.13:                               ;   in Loop: Header=BB61_5 Depth=1
	v_add_co_u32_e32 v144, vcc, v126, v136
	v_addc_co_u32_e32 v145, vcc, v123, v137, vcc
	v_add_co_u32_e32 v146, vcc, v128, v136
	v_addc_co_u32_e32 v147, vcc, v125, v137, vcc
	global_load_dword v145, v[144:145], off
	s_nop 0
	global_load_dword v142, v[146:147], off
.LBB61_14:                              ;   in Loop: Header=BB61_5 Depth=1
	s_or_b64 exec, exec, s[10:11]
	v_add_co_u32_e32 v146, vcc, 2, v138
	v_addc_co_u32_e32 v147, vcc, 0, v139, vcc
	v_cmp_gt_i64_e32 vcc, s[12:13], v[146:147]
	s_and_b64 s[36:37], s[2:3], vcc
	v_mov_b32_e32 v146, 0
	s_and_saveexec_b64 s[10:11], s[36:37]
	s_cbranch_execz .LBB61_16
; %bb.15:                               ;   in Loop: Header=BB61_5 Depth=1
	v_add_co_u32_e32 v146, vcc, v122, v136
	v_addc_co_u32_e32 v147, vcc, v119, v137, vcc
	global_load_dword v143, v[146:147], off
	v_add_co_u32_e32 v146, vcc, v124, v136
	v_addc_co_u32_e32 v147, vcc, v121, v137, vcc
	global_load_dword v146, v[146:147], off
.LBB61_16:                              ;   in Loop: Header=BB61_5 Depth=1
	s_or_b64 exec, exec, s[10:11]
	v_add_co_u32_e32 v148, vcc, 3, v138
	v_addc_co_u32_e32 v149, vcc, 0, v139, vcc
	v_cmp_gt_i64_e32 vcc, s[12:13], v[148:149]
	s_and_b64 s[36:37], s[2:3], vcc
	v_mov_b32_e32 v147, 0
	v_mov_b32_e32 v149, 0
	v_mov_b32_e32 v148, 0
	s_and_saveexec_b64 s[10:11], s[36:37]
	s_cbranch_execz .LBB61_18
; %bb.17:                               ;   in Loop: Header=BB61_5 Depth=1
	v_add_co_u32_e32 v148, vcc, v118, v136
	v_addc_co_u32_e32 v149, vcc, v115, v137, vcc
	v_add_co_u32_e32 v150, vcc, v120, v136
	v_addc_co_u32_e32 v151, vcc, v117, v137, vcc
	global_load_dword v149, v[148:149], off
	s_nop 0
	global_load_dword v148, v[150:151], off
.LBB61_18:                              ;   in Loop: Header=BB61_5 Depth=1
	s_or_b64 exec, exec, s[10:11]
	v_add_co_u32_e32 v150, vcc, 4, v138
	v_addc_co_u32_e32 v151, vcc, 0, v139, vcc
	v_cmp_gt_i64_e32 vcc, s[12:13], v[150:151]
	s_and_b64 s[36:37], s[2:3], vcc
	v_mov_b32_e32 v150, 0
	s_and_saveexec_b64 s[10:11], s[36:37]
	s_cbranch_execz .LBB61_20
; %bb.19:                               ;   in Loop: Header=BB61_5 Depth=1
	v_add_co_u32_e32 v150, vcc, v114, v136
	v_addc_co_u32_e32 v151, vcc, v111, v137, vcc
	global_load_dword v147, v[150:151], off
	v_add_co_u32_e32 v150, vcc, v116, v136
	v_addc_co_u32_e32 v151, vcc, v113, v137, vcc
	global_load_dword v150, v[150:151], off
.LBB61_20:                              ;   in Loop: Header=BB61_5 Depth=1
	;; [unrolled: 35-line block ×4, first 2 shown]
	s_or_b64 exec, exec, s[10:11]
	v_add_co_u32_e32 v160, vcc, 9, v138
	v_addc_co_u32_e32 v161, vcc, 0, v139, vcc
	v_cmp_gt_i64_e32 vcc, s[12:13], v[160:161]
	s_and_b64 s[36:37], s[2:3], vcc
	v_mov_b32_e32 v163, 0
	v_mov_b32_e32 v165, 0
	;; [unrolled: 1-line block ×3, first 2 shown]
	s_and_saveexec_b64 s[10:11], s[36:37]
	s_cbranch_execz .LBB61_30
; %bb.29:                               ;   in Loop: Header=BB61_5 Depth=1
	v_add_co_u32_e32 v160, vcc, v94, v136
	v_addc_co_u32_e32 v161, vcc, v91, v137, vcc
	global_load_dword v165, v[160:161], off
	v_add_co_u32_e32 v160, vcc, v96, v136
	v_addc_co_u32_e32 v161, vcc, v93, v137, vcc
	global_load_dword v160, v[160:161], off
.LBB61_30:                              ;   in Loop: Header=BB61_5 Depth=1
	s_or_b64 exec, exec, s[10:11]
	v_add_co_u32_e32 v168, vcc, 10, v138
	v_addc_co_u32_e32 v169, vcc, 0, v139, vcc
	v_cmp_gt_i64_e32 vcc, s[12:13], v[168:169]
	s_and_b64 s[36:37], s[2:3], vcc
	v_mov_b32_e32 v162, 0
	s_and_saveexec_b64 s[10:11], s[36:37]
	s_cbranch_execz .LBB61_32
; %bb.31:                               ;   in Loop: Header=BB61_5 Depth=1
	v_add_co_u32_e32 v162, vcc, v90, v136
	v_addc_co_u32_e32 v163, vcc, v87, v137, vcc
	v_add_co_u32_e32 v168, vcc, v92, v136
	v_addc_co_u32_e32 v169, vcc, v89, v137, vcc
	global_load_dword v163, v[162:163], off
	s_nop 0
	global_load_dword v162, v[168:169], off
.LBB61_32:                              ;   in Loop: Header=BB61_5 Depth=1
	s_or_b64 exec, exec, s[10:11]
	v_add_co_u32_e32 v168, vcc, 11, v138
	v_addc_co_u32_e32 v169, vcc, 0, v139, vcc
	v_cmp_gt_i64_e32 vcc, s[12:13], v[168:169]
	s_and_b64 s[36:37], s[2:3], vcc
	v_mov_b32_e32 v159, 0
	v_mov_b32_e32 v161, 0
	v_mov_b32_e32 v168, 0
	s_and_saveexec_b64 s[10:11], s[36:37]
	s_cbranch_execz .LBB61_34
; %bb.33:                               ;   in Loop: Header=BB61_5 Depth=1
	v_add_co_u32_e32 v168, vcc, v86, v136
	v_addc_co_u32_e32 v169, vcc, v83, v137, vcc
	global_load_dword v161, v[168:169], off
	v_add_co_u32_e32 v168, vcc, v88, v136
	v_addc_co_u32_e32 v169, vcc, v85, v137, vcc
	global_load_dword v168, v[168:169], off
.LBB61_34:                              ;   in Loop: Header=BB61_5 Depth=1
	s_or_b64 exec, exec, s[10:11]
	v_add_co_u32_e32 v170, vcc, 12, v138
	v_addc_co_u32_e32 v171, vcc, 0, v139, vcc
	v_cmp_gt_i64_e32 vcc, s[12:13], v[170:171]
	s_and_b64 s[36:37], s[2:3], vcc
	v_mov_b32_e32 v170, 0
	s_and_saveexec_b64 s[10:11], s[36:37]
	s_cbranch_execz .LBB61_36
; %bb.35:                               ;   in Loop: Header=BB61_5 Depth=1
	v_add_co_u32_e32 v170, vcc, v82, v136
	v_addc_co_u32_e32 v171, vcc, v79, v137, vcc
	global_load_dword v159, v[170:171], off
	v_add_co_u32_e32 v170, vcc, v84, v136
	v_addc_co_u32_e32 v171, vcc, v81, v137, vcc
	global_load_dword v170, v[170:171], off
.LBB61_36:                              ;   in Loop: Header=BB61_5 Depth=1
	s_or_b64 exec, exec, s[10:11]
	v_add_co_u32_e32 v172, vcc, 13, v138
	v_addc_co_u32_e32 v173, vcc, 0, v139, vcc
	v_cmp_gt_i64_e32 vcc, s[12:13], v[172:173]
	s_and_b64 s[36:37], s[2:3], vcc
	v_mov_b32_e32 v169, 0
	v_mov_b32_e32 v171, 0
	v_mov_b32_e32 v172, 0
	s_and_saveexec_b64 s[10:11], s[36:37]
	s_cbranch_execz .LBB61_38
; %bb.37:                               ;   in Loop: Header=BB61_5 Depth=1
	v_add_co_u32_e32 v172, vcc, v78, v136
	v_addc_co_u32_e32 v173, vcc, v75, v137, vcc
	global_load_dword v171, v[172:173], off
	v_add_co_u32_e32 v172, vcc, v80, v136
	v_addc_co_u32_e32 v173, vcc, v77, v137, vcc
	global_load_dword v172, v[172:173], off
.LBB61_38:                              ;   in Loop: Header=BB61_5 Depth=1
	s_or_b64 exec, exec, s[10:11]
	v_add_co_u32_e32 v174, vcc, 14, v138
	v_addc_co_u32_e32 v175, vcc, 0, v139, vcc
	v_cmp_gt_i64_e32 vcc, s[12:13], v[174:175]
	s_and_b64 s[36:37], s[2:3], vcc
	v_mov_b32_e32 v174, 0
	s_and_saveexec_b64 s[10:11], s[36:37]
	s_cbranch_execz .LBB61_40
; %bb.39:                               ;   in Loop: Header=BB61_5 Depth=1
	v_add_co_u32_e32 v174, vcc, v74, v136
	v_addc_co_u32_e32 v175, vcc, v71, v137, vcc
	global_load_dword v169, v[174:175], off
	v_add_co_u32_e32 v174, vcc, v76, v136
	v_addc_co_u32_e32 v175, vcc, v73, v137, vcc
	global_load_dword v174, v[174:175], off
.LBB61_40:                              ;   in Loop: Header=BB61_5 Depth=1
	;; [unrolled: 34-line block ×4, first 2 shown]
	s_or_b64 exec, exec, s[10:11]
	v_add_co_u32_e32 v184, vcc, 19, v138
	v_addc_co_u32_e32 v185, vcc, 0, v139, vcc
	v_cmp_gt_i64_e32 vcc, s[12:13], v[184:185]
	s_and_b64 s[36:37], s[2:3], vcc
	v_mov_b32_e32 v183, 0
	v_mov_b32_e32 v185, 0
	;; [unrolled: 1-line block ×3, first 2 shown]
	s_and_saveexec_b64 s[10:11], s[36:37]
	s_cbranch_execz .LBB61_50
; %bb.49:                               ;   in Loop: Header=BB61_5 Depth=1
	v_add_co_u32_e32 v184, vcc, v54, v136
	v_addc_co_u32_e32 v185, vcc, v51, v137, vcc
	v_add_co_u32_e32 v186, vcc, v56, v136
	v_addc_co_u32_e32 v187, vcc, v53, v137, vcc
	global_load_dword v185, v[184:185], off
	s_nop 0
	global_load_dword v184, v[186:187], off
.LBB61_50:                              ;   in Loop: Header=BB61_5 Depth=1
	s_or_b64 exec, exec, s[10:11]
	v_add_co_u32_e32 v186, vcc, 20, v138
	v_addc_co_u32_e32 v187, vcc, 0, v139, vcc
	v_cmp_gt_i64_e32 vcc, s[12:13], v[186:187]
	s_and_b64 s[36:37], s[2:3], vcc
	v_mov_b32_e32 v186, 0
	s_and_saveexec_b64 s[10:11], s[36:37]
	s_cbranch_execz .LBB61_52
; %bb.51:                               ;   in Loop: Header=BB61_5 Depth=1
	v_add_co_u32_e32 v186, vcc, v50, v136
	v_addc_co_u32_e32 v187, vcc, v47, v137, vcc
	global_load_dword v183, v[186:187], off
	v_add_co_u32_e32 v186, vcc, v52, v136
	v_addc_co_u32_e32 v187, vcc, v49, v137, vcc
	global_load_dword v186, v[186:187], off
.LBB61_52:                              ;   in Loop: Header=BB61_5 Depth=1
	s_or_b64 exec, exec, s[10:11]
	v_add_co_u32_e32 v188, vcc, 21, v138
	v_addc_co_u32_e32 v189, vcc, 0, v139, vcc
	v_cmp_gt_i64_e32 vcc, s[12:13], v[188:189]
	s_and_b64 s[36:37], s[2:3], vcc
	v_mov_b32_e32 v181, 0
	v_mov_b32_e32 v191, 0
	v_mov_b32_e32 v190, 0
	s_and_saveexec_b64 s[10:11], s[36:37]
	s_cbranch_execz .LBB61_54
; %bb.53:                               ;   in Loop: Header=BB61_5 Depth=1
	v_add_co_u32_e32 v188, vcc, v46, v136
	v_addc_co_u32_e32 v189, vcc, v43, v137, vcc
	global_load_dword v191, v[188:189], off
	v_add_co_u32_e32 v188, vcc, v48, v136
	v_addc_co_u32_e32 v189, vcc, v45, v137, vcc
	global_load_dword v190, v[188:189], off
.LBB61_54:                              ;   in Loop: Header=BB61_5 Depth=1
	s_or_b64 exec, exec, s[10:11]
	v_add_co_u32_e32 v188, vcc, 22, v138
	v_addc_co_u32_e32 v189, vcc, 0, v139, vcc
	v_cmp_gt_i64_e32 vcc, s[12:13], v[188:189]
	s_and_b64 s[36:37], s[2:3], vcc
	v_mov_b32_e32 v188, 0
	s_and_saveexec_b64 s[10:11], s[36:37]
	s_cbranch_execz .LBB61_56
; %bb.55:                               ;   in Loop: Header=BB61_5 Depth=1
	v_add_co_u32_e32 v188, vcc, v42, v136
	v_addc_co_u32_e32 v189, vcc, v39, v137, vcc
	global_load_dword v181, v[188:189], off
	v_add_co_u32_e32 v188, vcc, v44, v136
	v_addc_co_u32_e32 v189, vcc, v41, v137, vcc
	global_load_dword v188, v[188:189], off
.LBB61_56:                              ;   in Loop: Header=BB61_5 Depth=1
	s_or_b64 exec, exec, s[10:11]
	v_add_co_u32_e32 v192, vcc, 23, v138
	v_addc_co_u32_e32 v193, vcc, 0, v139, vcc
	v_cmp_gt_i64_e32 vcc, s[12:13], v[192:193]
	s_and_b64 s[36:37], s[2:3], vcc
	v_mov_b32_e32 v187, 0
	v_mov_b32_e32 v189, 0
	v_mov_b32_e32 v192, 0
	s_and_saveexec_b64 s[10:11], s[36:37]
	s_cbranch_execz .LBB61_58
; %bb.57:                               ;   in Loop: Header=BB61_5 Depth=1
	v_add_co_u32_e32 v192, vcc, v38, v136
	v_addc_co_u32_e32 v193, vcc, v35, v137, vcc
	global_load_dword v189, v[192:193], off
	v_add_co_u32_e32 v192, vcc, v40, v136
	v_addc_co_u32_e32 v193, vcc, v37, v137, vcc
	global_load_dword v192, v[192:193], off
.LBB61_58:                              ;   in Loop: Header=BB61_5 Depth=1
	;; [unrolled: 34-line block ×5, first 2 shown]
	s_or_b64 exec, exec, s[10:11]
	v_add_co_u32_e32 v208, vcc, 30, v138
	v_addc_co_u32_e32 v209, vcc, 0, v139, vcc
	v_cmp_gt_i64_e32 vcc, s[12:13], v[208:209]
	s_and_b64 s[36:37], s[2:3], vcc
	v_mov_b32_e32 v206, 0
	s_and_saveexec_b64 s[10:11], s[36:37]
	s_cbranch_execz .LBB61_72
; %bb.71:                               ;   in Loop: Header=BB61_5 Depth=1
	v_add_co_u32_e32 v208, vcc, v10, v136
	v_addc_co_u32_e32 v209, vcc, v7, v137, vcc
	global_load_dword v201, v[208:209], off
	v_add_co_u32_e32 v208, vcc, v12, v136
	v_addc_co_u32_e32 v209, vcc, v9, v137, vcc
	global_load_dword v206, v[208:209], off
.LBB61_72:                              ;   in Loop: Header=BB61_5 Depth=1
	s_or_b64 exec, exec, s[10:11]
	v_add_co_u32_e32 v208, vcc, 31, v138
	v_addc_co_u32_e32 v209, vcc, 0, v139, vcc
	v_cmp_gt_i64_e32 vcc, s[12:13], v[208:209]
	s_and_b64 s[36:37], s[2:3], vcc
	v_mov_b32_e32 v167, 0
	v_mov_b32_e32 v205, 0
	s_and_saveexec_b64 s[10:11], s[36:37]
	s_cbranch_execz .LBB61_74
; %bb.73:                               ;   in Loop: Header=BB61_5 Depth=1
	v_add_co_u32_e32 v208, vcc, v6, v136
	v_addc_co_u32_e32 v209, vcc, v1, v137, vcc
	global_load_dword v167, v[208:209], off
	v_add_co_u32_e32 v208, vcc, v8, v136
	v_addc_co_u32_e32 v209, vcc, v5, v137, vcc
	global_load_dword v205, v[208:209], off
.LBB61_74:                              ;   in Loop: Header=BB61_5 Depth=1
	s_or_b64 exec, exec, s[10:11]
	s_waitcnt vmcnt(1)
	ds_bpermute_b32 v144, v204, v166
	s_waitcnt vmcnt(0)
	ds_bpermute_b32 v164, v204, v134
	ds_bpermute_b32 v209, v204, v166 offset:4
	ds_bpermute_b32 v208, v204, v134 offset:4
	;; [unrolled: 1-line block ×3, first 2 shown]
	s_waitcnt lgkmcnt(4)
	v_sub_f32_e32 v140, v140, v144
	v_mul_f32_e32 v140, v141, v140
	s_waitcnt lgkmcnt(3)
	v_mul_f32_e32 v140, v140, v164
	ds_bpermute_b32 v164, v204, v134 offset:8
	s_waitcnt lgkmcnt(3)
	v_sub_f32_e32 v142, v142, v209
	v_mul_f32_e32 v142, v145, v142
	s_waitcnt lgkmcnt(2)
	v_mul_f32_e32 v144, v142, v208
	s_waitcnt lgkmcnt(1)
	v_sub_f32_e32 v142, v146, v210
	ds_bpermute_b32 v146, v204, v166 offset:12
	v_mul_f32_e32 v142, v143, v142
	s_waitcnt lgkmcnt(1)
	v_mul_f32_e32 v142, v142, v164
	ds_bpermute_b32 v164, v204, v134 offset:12
	ds_bpermute_b32 v208, v204, v166 offset:16
	s_waitcnt lgkmcnt(2)
	v_sub_f32_e32 v146, v148, v146
	v_mul_f32_e32 v146, v149, v146
	v_pk_add_f32 v[140:141], v[2:3], v[140:141]
	s_waitcnt lgkmcnt(1)
	v_mul_f32_e32 v148, v146, v164
	s_waitcnt lgkmcnt(0)
	v_sub_f32_e32 v146, v150, v208
	ds_bpermute_b32 v150, v204, v166 offset:20
	ds_bpermute_b32 v164, v204, v134 offset:20
	;; [unrolled: 1-line block ×3, first 2 shown]
	v_pk_add_f32 v[140:141], v[140:141], v[144:145]
	v_pk_add_f32 v[140:141], v[140:141], v[142:143]
	s_waitcnt lgkmcnt(2)
	v_sub_f32_e32 v150, v152, v150
	v_mul_f32_e32 v150, v153, v150
	s_waitcnt lgkmcnt(1)
	v_mul_f32_e32 v152, v150, v164
	s_waitcnt lgkmcnt(0)
	v_sub_f32_e32 v150, v154, v208
	ds_bpermute_b32 v154, v204, v166 offset:28
	ds_bpermute_b32 v164, v204, v134 offset:28
	;; [unrolled: 1-line block ×5, first 2 shown]
	s_waitcnt lgkmcnt(4)
	v_sub_f32_e32 v154, v156, v154
	v_mul_f32_e32 v154, v157, v154
	s_waitcnt lgkmcnt(3)
	v_mul_f32_e32 v156, v154, v164
	s_waitcnt lgkmcnt(2)
	v_sub_f32_e32 v154, v158, v208
	ds_bpermute_b32 v158, v204, v166 offset:36
	ds_bpermute_b32 v164, v204, v134 offset:36
	;; [unrolled: 1-line block ×3, first 2 shown]
	s_waitcnt lgkmcnt(4)
	v_sub_f32_e32 v142, v168, v142
	ds_bpermute_b32 v144, v204, v166 offset:48
	s_waitcnt lgkmcnt(3)
	v_sub_f32_e32 v158, v160, v158
	ds_bpermute_b32 v160, v204, v134 offset:40
	v_mul_f32_e32 v158, v165, v158
	s_waitcnt lgkmcnt(3)
	v_mul_f32_e32 v164, v158, v164
	s_waitcnt lgkmcnt(2)
	v_sub_f32_e32 v158, v162, v208
	v_mul_f32_e32 v158, v163, v158
	v_mul_f32_e32 v142, v161, v142
	s_waitcnt lgkmcnt(0)
	v_mul_f32_e32 v162, v158, v160
	v_mul_f32_e32 v160, v142, v143
	ds_bpermute_b32 v142, v204, v134 offset:48
	ds_bpermute_b32 v143, v204, v166 offset:52
	;; [unrolled: 1-line block ×3, first 2 shown]
	v_sub_f32_e32 v144, v170, v144
	v_mul_f32_e32 v144, v159, v144
	s_waitcnt lgkmcnt(2)
	v_mul_f32_e32 v158, v144, v142
	s_waitcnt lgkmcnt(1)
	v_sub_f32_e32 v142, v172, v143
	ds_bpermute_b32 v143, v204, v166 offset:56
	v_mul_f32_e32 v142, v171, v142
	s_waitcnt lgkmcnt(1)
	v_mul_f32_e32 v170, v142, v145
	ds_bpermute_b32 v142, v204, v134 offset:56
	ds_bpermute_b32 v144, v204, v166 offset:60
	ds_bpermute_b32 v145, v204, v134 offset:60
	s_waitcnt lgkmcnt(3)
	v_sub_f32_e32 v143, v174, v143
	v_mul_f32_e32 v143, v169, v143
	s_waitcnt lgkmcnt(2)
	v_mul_f32_e32 v168, v143, v142
	s_waitcnt lgkmcnt(1)
	v_sub_f32_e32 v142, v176, v144
	ds_bpermute_b32 v143, v204, v166 offset:64
	v_mul_f32_e32 v142, v175, v142
	s_waitcnt lgkmcnt(1)
	v_mul_f32_e32 v174, v142, v145
	ds_bpermute_b32 v142, v204, v134 offset:64
	ds_bpermute_b32 v144, v204, v166 offset:68
	ds_bpermute_b32 v145, v204, v134 offset:68
	s_waitcnt lgkmcnt(3)
	;; [unrolled: 14-line block ×4, first 2 shown]
	v_sub_f32_e32 v143, v186, v143
	v_mul_f32_e32 v143, v183, v143
	s_waitcnt lgkmcnt(2)
	v_mul_f32_e32 v182, v143, v142
	s_waitcnt lgkmcnt(1)
	v_sub_f32_e32 v142, v190, v144
	v_mul_f32_e32 v142, v191, v142
	s_waitcnt lgkmcnt(0)
	v_mul_f32_e32 v190, v142, v145
	ds_bpermute_b32 v142, v204, v166 offset:88
	ds_bpermute_b32 v209, v204, v134 offset:16
	ds_bpermute_b32 v143, v204, v134 offset:88
	ds_bpermute_b32 v144, v204, v166 offset:92
	ds_bpermute_b32 v145, v204, v134 offset:92
	v_mul_f32_e32 v146, v147, v146
	s_waitcnt lgkmcnt(4)
	v_sub_f32_e32 v142, v188, v142
	s_waitcnt lgkmcnt(3)
	v_mul_f32_e32 v146, v146, v209
	ds_bpermute_b32 v209, v204, v134 offset:24
	v_mul_f32_e32 v142, v181, v142
	s_waitcnt lgkmcnt(3)
	v_mul_f32_e32 v180, v142, v143
	s_waitcnt lgkmcnt(2)
	v_sub_f32_e32 v142, v192, v144
	ds_bpermute_b32 v143, v204, v166 offset:96
	v_mul_f32_e32 v142, v189, v142
	s_waitcnt lgkmcnt(2)
	v_mul_f32_e32 v188, v142, v145
	ds_bpermute_b32 v142, v204, v134 offset:96
	ds_bpermute_b32 v144, v204, v166 offset:100
	v_mul_f32_e32 v150, v151, v150
	s_waitcnt lgkmcnt(3)
	v_mul_f32_e32 v150, v150, v209
	ds_bpermute_b32 v209, v204, v134 offset:32
	ds_bpermute_b32 v145, v204, v134 offset:100
	v_pk_add_f32 v[140:141], v[140:141], v[148:149]
	s_waitcnt lgkmcnt(4)
	v_sub_f32_e32 v143, v194, v143
	v_pk_add_f32 v[140:141], v[140:141], v[146:147]
	v_mul_f32_e32 v143, v187, v143
	v_pk_add_f32 v[140:141], v[140:141], v[152:153]
	s_waitcnt lgkmcnt(3)
	v_mul_f32_e32 v186, v143, v142
	s_waitcnt lgkmcnt(2)
	v_sub_f32_e32 v142, v196, v144
	ds_bpermute_b32 v143, v204, v166 offset:104
	v_mul_f32_e32 v154, v155, v154
	v_pk_add_f32 v[140:141], v[140:141], v[150:151]
	v_mul_f32_e32 v142, v195, v142
	s_waitcnt lgkmcnt(2)
	v_mul_f32_e32 v154, v154, v209
	v_pk_add_f32 v[140:141], v[140:141], v[156:157]
	s_waitcnt lgkmcnt(1)
	v_mul_f32_e32 v194, v142, v145
	ds_bpermute_b32 v142, v204, v134 offset:104
	ds_bpermute_b32 v144, v204, v166 offset:108
	v_pk_add_f32 v[140:141], v[140:141], v[154:155]
	v_pk_add_f32 v[140:141], v[140:141], v[164:165]
	ds_bpermute_b32 v145, v204, v134 offset:108
	v_pk_add_f32 v[140:141], v[140:141], v[162:163]
	s_waitcnt lgkmcnt(3)
	v_sub_f32_e32 v143, v198, v143
	v_pk_add_f32 v[140:141], v[140:141], v[160:161]
	v_mul_f32_e32 v143, v193, v143
	v_pk_add_f32 v[140:141], v[140:141], v[158:159]
	s_waitcnt lgkmcnt(2)
	v_mul_f32_e32 v192, v143, v142
	s_waitcnt lgkmcnt(1)
	v_sub_f32_e32 v142, v200, v144
	ds_bpermute_b32 v143, v204, v166 offset:112
	v_pk_add_f32 v[140:141], v[140:141], v[170:171]
	v_mul_f32_e32 v142, v199, v142
	v_pk_add_f32 v[140:141], v[140:141], v[168:169]
	s_waitcnt lgkmcnt(1)
	v_mul_f32_e32 v198, v142, v145
	ds_bpermute_b32 v142, v204, v134 offset:112
	ds_bpermute_b32 v144, v204, v166 offset:116
	v_pk_add_f32 v[140:141], v[140:141], v[174:175]
	v_pk_add_f32 v[140:141], v[140:141], v[172:173]
	ds_bpermute_b32 v145, v204, v134 offset:116
	v_pk_add_f32 v[140:141], v[140:141], v[178:179]
	s_waitcnt lgkmcnt(3)
	v_sub_f32_e32 v143, v202, v143
	v_pk_add_f32 v[140:141], v[140:141], v[176:177]
	v_mul_f32_e32 v143, v197, v143
	v_pk_add_f32 v[140:141], v[140:141], v[184:185]
	s_waitcnt lgkmcnt(2)
	v_mul_f32_e32 v196, v143, v142
	s_waitcnt lgkmcnt(1)
	v_sub_f32_e32 v142, v207, v144
	v_pk_add_f32 v[140:141], v[140:141], v[182:183]
	v_mul_f32_e32 v142, v203, v142
	v_pk_add_f32 v[140:141], v[140:141], v[190:191]
	s_waitcnt lgkmcnt(0)
	v_mul_f32_e32 v202, v142, v145
	ds_bpermute_b32 v142, v204, v166 offset:120
	v_pk_add_f32 v[140:141], v[140:141], v[180:181]
	v_pk_add_f32 v[140:141], v[140:141], v[188:189]
	;; [unrolled: 1-line block ×3, first 2 shown]
	ds_bpermute_b32 v143, v204, v134 offset:120
	v_pk_add_f32 v[140:141], v[140:141], v[194:195]
	v_pk_add_f32 v[140:141], v[140:141], v[192:193]
	s_waitcnt lgkmcnt(1)
	v_sub_f32_e32 v144, v206, v142
	ds_bpermute_b32 v134, v204, v134 offset:124
	ds_bpermute_b32 v142, v204, v166 offset:124
	v_pk_add_f32 v[140:141], v[140:141], v[198:199]
	v_pk_add_f32 v[140:141], v[140:141], v[196:197]
	v_mul_f32_e32 v144, v201, v144
	v_pk_add_f32 v[140:141], v[140:141], v[202:203]
	s_waitcnt lgkmcnt(2)
	v_mul_f32_e32 v200, v144, v143
	v_pk_add_f32 v[140:141], v[140:141], v[200:201]
	s_branch .LBB61_4
.LBB61_75:                              ;   in Loop: Header=BB61_5 Depth=1
                                        ; implicit-def: $vgpr140_vgpr141
                                        ; implicit-def: $vgpr134
                                        ; implicit-def: $vgpr167
                                        ; implicit-def: $vgpr205
                                        ; implicit-def: $vgpr142
	s_cbranch_execz .LBB61_4
; %bb.76:                               ;   in Loop: Header=BB61_5 Depth=1
	s_load_dword s10, s[26:27], 0x0
	v_mov_b32_e32 v141, 0
	s_waitcnt lgkmcnt(0)
	v_mov_b32_e32 v134, 0
	v_mov_b32_e32 v166, 0
	s_cmp_lt_u32 s6, s10
	s_cselect_b32 s10, 12, 18
	s_add_u32 s10, s26, s10
	s_addc_u32 s11, s27, 0
	global_load_ushort v140, v135, s[10:11]
	s_waitcnt vmcnt(0)
	v_mad_u32_u24 v140, v0, v140, v133
	v_and_b32_e32 v140, 63, v140
	v_cmp_gt_u32_e32 vcc, 32, v140
	s_and_saveexec_b64 s[10:11], vcc
	s_cbranch_execz .LBB61_80
; %bb.77:                               ;   in Loop: Header=BB61_5 Depth=1
	v_add_co_u32_e32 v138, vcc, v138, v140
	v_addc_co_u32_e32 v139, vcc, 0, v139, vcc
	v_cmp_gt_i64_e32 vcc, s[12:13], v[138:139]
	v_mov_b32_e32 v166, 0
	v_mov_b32_e32 v134, 0
	s_and_saveexec_b64 s[36:37], vcc
	s_cbranch_execz .LBB61_79
; %bb.78:                               ;   in Loop: Header=BB61_5 Depth=1
	v_lshlrev_b64 v[138:139], 2, v[138:139]
	v_mov_b32_e32 v134, s23
	v_add_co_u32_e32 v142, vcc, s22, v138
	v_addc_co_u32_e32 v143, vcc, v134, v139, vcc
	v_mov_b32_e32 v134, s21
	v_add_co_u32_e32 v138, vcc, s20, v138
	v_addc_co_u32_e32 v139, vcc, v134, v139, vcc
	global_load_dword v166, v[138:139], off
	global_load_dword v134, v[142:143], off
.LBB61_79:                              ;   in Loop: Header=BB61_5 Depth=1
	s_or_b64 exec, exec, s[36:37]
.LBB61_80:                              ;   in Loop: Header=BB61_5 Depth=1
	s_or_b64 exec, exec, s[10:11]
	v_mov_b32_e32 v138, 0
	s_and_saveexec_b64 s[10:11], s[2:3]
	s_cbranch_execz .LBB61_82
; %bb.81:                               ;   in Loop: Header=BB61_5 Depth=1
	v_add_co_u32_e32 v138, vcc, v130, v136
	v_addc_co_u32_e32 v139, vcc, v127, v137, vcc
	global_load_dword v141, v[138:139], off
	v_add_co_u32_e32 v138, vcc, v132, v136
	v_addc_co_u32_e32 v139, vcc, v129, v137, vcc
	global_load_dword v138, v[138:139], off
.LBB61_82:                              ;   in Loop: Header=BB61_5 Depth=1
	s_or_b64 exec, exec, s[10:11]
	v_mov_b32_e32 v139, 0
	v_mov_b32_e32 v143, 0
	v_mov_b32_e32 v142, 0
	s_and_saveexec_b64 s[10:11], s[2:3]
	s_cbranch_execz .LBB61_84
; %bb.83:                               ;   in Loop: Header=BB61_5 Depth=1
	v_add_co_u32_e32 v142, vcc, v126, v136
	v_addc_co_u32_e32 v143, vcc, v123, v137, vcc
	v_add_co_u32_e32 v144, vcc, v128, v136
	v_addc_co_u32_e32 v145, vcc, v125, v137, vcc
	global_load_dword v143, v[142:143], off
	s_nop 0
	global_load_dword v142, v[144:145], off
.LBB61_84:                              ;   in Loop: Header=BB61_5 Depth=1
	s_or_b64 exec, exec, s[10:11]
	v_mov_b32_e32 v144, 0
	s_and_saveexec_b64 s[10:11], s[2:3]
	s_cbranch_execz .LBB61_86
; %bb.85:                               ;   in Loop: Header=BB61_5 Depth=1
	v_add_co_u32_e32 v144, vcc, v122, v136
	v_addc_co_u32_e32 v145, vcc, v119, v137, vcc
	global_load_dword v139, v[144:145], off
	v_add_co_u32_e32 v144, vcc, v124, v136
	v_addc_co_u32_e32 v145, vcc, v121, v137, vcc
	global_load_dword v144, v[144:145], off
.LBB61_86:                              ;   in Loop: Header=BB61_5 Depth=1
	s_or_b64 exec, exec, s[10:11]
	v_mov_b32_e32 v145, 0
	v_mov_b32_e32 v147, 0
	v_mov_b32_e32 v146, 0
	s_and_saveexec_b64 s[10:11], s[2:3]
	s_cbranch_execz .LBB61_88
; %bb.87:                               ;   in Loop: Header=BB61_5 Depth=1
	v_add_co_u32_e32 v146, vcc, v118, v136
	v_addc_co_u32_e32 v147, vcc, v115, v137, vcc
	v_add_co_u32_e32 v148, vcc, v120, v136
	v_addc_co_u32_e32 v149, vcc, v117, v137, vcc
	global_load_dword v147, v[146:147], off
	s_nop 0
	global_load_dword v146, v[148:149], off
.LBB61_88:                              ;   in Loop: Header=BB61_5 Depth=1
	;; [unrolled: 27-line block ×3, first 2 shown]
	s_or_b64 exec, exec, s[10:11]
	v_mov_b32_e32 v152, 0
	s_and_saveexec_b64 s[10:11], s[2:3]
	s_cbranch_execz .LBB61_94
; %bb.93:                               ;   in Loop: Header=BB61_5 Depth=1
	v_add_co_u32_e32 v152, vcc, v106, v136
	v_addc_co_u32_e32 v153, vcc, v103, v137, vcc
	global_load_dword v149, v[152:153], off
	v_add_co_u32_e32 v152, vcc, v108, v136
	v_addc_co_u32_e32 v153, vcc, v105, v137, vcc
	global_load_dword v152, v[152:153], off
.LBB61_94:                              ;   in Loop: Header=BB61_5 Depth=1
	s_or_b64 exec, exec, s[10:11]
	v_mov_b32_e32 v153, 0
	v_mov_b32_e32 v159, 0
	;; [unrolled: 1-line block ×3, first 2 shown]
	s_and_saveexec_b64 s[10:11], s[2:3]
	s_cbranch_execz .LBB61_96
; %bb.95:                               ;   in Loop: Header=BB61_5 Depth=1
	v_add_co_u32_e32 v154, vcc, v102, v136
	v_addc_co_u32_e32 v155, vcc, v99, v137, vcc
	global_load_dword v159, v[154:155], off
	v_add_co_u32_e32 v154, vcc, v104, v136
	v_addc_co_u32_e32 v155, vcc, v101, v137, vcc
	global_load_dword v154, v[154:155], off
.LBB61_96:                              ;   in Loop: Header=BB61_5 Depth=1
	s_or_b64 exec, exec, s[10:11]
	v_mov_b32_e32 v156, 0
	s_and_saveexec_b64 s[10:11], s[2:3]
	s_cbranch_execz .LBB61_98
; %bb.97:                               ;   in Loop: Header=BB61_5 Depth=1
	v_add_co_u32_e32 v156, vcc, v98, v136
	v_addc_co_u32_e32 v157, vcc, v95, v137, vcc
	global_load_dword v153, v[156:157], off
	v_add_co_u32_e32 v156, vcc, v100, v136
	v_addc_co_u32_e32 v157, vcc, v97, v137, vcc
	global_load_dword v156, v[156:157], off
.LBB61_98:                              ;   in Loop: Header=BB61_5 Depth=1
	s_or_b64 exec, exec, s[10:11]
	v_mov_b32_e32 v163, 0
	v_mov_b32_e32 v169, 0
	;; [unrolled: 1-line block ×3, first 2 shown]
	s_and_saveexec_b64 s[10:11], s[2:3]
	s_cbranch_execz .LBB61_100
; %bb.99:                               ;   in Loop: Header=BB61_5 Depth=1
	v_add_co_u32_e32 v160, vcc, v94, v136
	v_addc_co_u32_e32 v161, vcc, v91, v137, vcc
	global_load_dword v169, v[160:161], off
	v_add_co_u32_e32 v160, vcc, v96, v136
	v_addc_co_u32_e32 v161, vcc, v93, v137, vcc
	global_load_dword v160, v[160:161], off
.LBB61_100:                             ;   in Loop: Header=BB61_5 Depth=1
	s_or_b64 exec, exec, s[10:11]
	v_mov_b32_e32 v162, 0
	s_and_saveexec_b64 s[10:11], s[2:3]
	s_cbranch_execz .LBB61_102
; %bb.101:                              ;   in Loop: Header=BB61_5 Depth=1
	v_add_co_u32_e32 v162, vcc, v90, v136
	v_addc_co_u32_e32 v163, vcc, v87, v137, vcc
	v_add_co_u32_e32 v164, vcc, v92, v136
	v_addc_co_u32_e32 v165, vcc, v89, v137, vcc
	global_load_dword v163, v[162:163], off
	s_nop 0
	global_load_dword v162, v[164:165], off
.LBB61_102:                             ;   in Loop: Header=BB61_5 Depth=1
	s_or_b64 exec, exec, s[10:11]
	v_mov_b32_e32 v155, 0
	v_mov_b32_e32 v157, 0
	v_mov_b32_e32 v164, 0
	s_and_saveexec_b64 s[10:11], s[2:3]
	s_cbranch_execz .LBB61_104
; %bb.103:                              ;   in Loop: Header=BB61_5 Depth=1
	v_add_co_u32_e32 v164, vcc, v86, v136
	v_addc_co_u32_e32 v165, vcc, v83, v137, vcc
	global_load_dword v157, v[164:165], off
	v_add_co_u32_e32 v164, vcc, v88, v136
	v_addc_co_u32_e32 v165, vcc, v85, v137, vcc
	global_load_dword v164, v[164:165], off
.LBB61_104:                             ;   in Loop: Header=BB61_5 Depth=1
	s_or_b64 exec, exec, s[10:11]
	v_mov_b32_e32 v170, 0
	s_and_saveexec_b64 s[10:11], s[2:3]
	s_cbranch_execz .LBB61_106
; %bb.105:                              ;   in Loop: Header=BB61_5 Depth=1
	v_add_co_u32_e32 v170, vcc, v82, v136
	v_addc_co_u32_e32 v171, vcc, v79, v137, vcc
	global_load_dword v155, v[170:171], off
	v_add_co_u32_e32 v170, vcc, v84, v136
	v_addc_co_u32_e32 v171, vcc, v81, v137, vcc
	global_load_dword v170, v[170:171], off
.LBB61_106:                             ;   in Loop: Header=BB61_5 Depth=1
	s_or_b64 exec, exec, s[10:11]
	v_mov_b32_e32 v161, 0
	v_mov_b32_e32 v165, 0
	v_mov_b32_e32 v172, 0
	s_and_saveexec_b64 s[10:11], s[2:3]
	s_cbranch_execz .LBB61_108
; %bb.107:                              ;   in Loop: Header=BB61_5 Depth=1
	v_add_co_u32_e32 v172, vcc, v78, v136
	v_addc_co_u32_e32 v173, vcc, v75, v137, vcc
	global_load_dword v165, v[172:173], off
	v_add_co_u32_e32 v172, vcc, v80, v136
	v_addc_co_u32_e32 v173, vcc, v77, v137, vcc
	global_load_dword v172, v[172:173], off
.LBB61_108:                             ;   in Loop: Header=BB61_5 Depth=1
	s_or_b64 exec, exec, s[10:11]
	v_mov_b32_e32 v174, 0
	s_and_saveexec_b64 s[10:11], s[2:3]
	s_cbranch_execz .LBB61_110
; %bb.109:                              ;   in Loop: Header=BB61_5 Depth=1
	v_add_co_u32_e32 v174, vcc, v74, v136
	v_addc_co_u32_e32 v175, vcc, v71, v137, vcc
	global_load_dword v161, v[174:175], off
	v_add_co_u32_e32 v174, vcc, v76, v136
	v_addc_co_u32_e32 v175, vcc, v73, v137, vcc
	global_load_dword v174, v[174:175], off
.LBB61_110:                             ;   in Loop: Header=BB61_5 Depth=1
	;; [unrolled: 26-line block ×10, first 2 shown]
	s_or_b64 exec, exec, s[10:11]
	v_mov_b32_e32 v167, 0
	v_mov_b32_e32 v205, 0
	s_and_saveexec_b64 s[10:11], s[2:3]
	s_cbranch_execz .LBB61_3
; %bb.143:                              ;   in Loop: Header=BB61_5 Depth=1
	v_add_co_u32_e32 v208, vcc, v6, v136
	v_addc_co_u32_e32 v209, vcc, v1, v137, vcc
	global_load_dword v167, v[208:209], off
	v_add_co_u32_e32 v208, vcc, v8, v136
	v_addc_co_u32_e32 v209, vcc, v5, v137, vcc
	global_load_dword v205, v[208:209], off
	s_branch .LBB61_3
.LBB61_144:
                                        ; implicit-def: $vgpr3
	s_branch .LBB61_146
.LBB61_145:
	s_cbranch_execnz .LBB61_227
.LBB61_146:
	v_mov_b32_e32 v3, 0
	s_mov_b32 s7, 0
	s_and_b64 vcc, exec, s[0:1]
	v_mov_b32_e32 v2, v3
	s_cbranch_vccnz .LBB61_227
; %bb.147:
	v_bfe_u32 v208, v255, 10, 10
	s_add_u32 s2, s4, 64
	s_addc_u32 s3, s5, 0
	v_lshlrev_b32_e32 v0, 7, v208
	s_lshl_b64 s[0:1], s[24:25], 2
	v_mov_b32_e32 v1, s1
	v_add_co_u32_e32 v0, vcc, s0, v0
	v_addc_co_u32_e32 v1, vcc, 0, v1, vcc
	v_add_co_u32_e32 v24, vcc, 4, v0
	v_addc_co_u32_e32 v6, vcc, 0, v1, vcc
	;; [unrolled: 2-line block ×10, first 2 shown]
	v_add_co_u32_e32 v52, vcc, 40, v0
	v_pk_mov_b32 v[2:3], s[16:17], s[16:17] op_sel:[0,1]
	v_addc_co_u32_e32 v25, vcc, 0, v1, vcc
	v_pk_mov_b32 v[126:127], s[18:19], s[18:19] op_sel:[0,1]
	v_mad_u64_u32 v[4:5], s[0:1], s14, v24, v[2:3]
	v_mul_lo_u32 v26, s14, v6
	v_mul_lo_u32 v27, s15, v24
	;; [unrolled: 1-line block ×3, first 2 shown]
	v_mad_u64_u32 v[24:25], s[0:1], s14, v24, v[126:127]
	v_add3_u32 v5, v27, v5, v26
	v_mad_u64_u32 v[6:7], s[0:1], s14, v28, v[2:3]
	v_mul_lo_u32 v29, s14, v8
	v_mul_lo_u32 v30, s15, v28
	v_add3_u32 v25, v27, v25, v26
	v_mad_u64_u32 v[26:27], s[0:1], s14, v28, v[126:127]
	v_add3_u32 v7, v30, v7, v29
	v_mad_u64_u32 v[8:9], s[0:1], s14, v31, v[2:3]
	v_mul_lo_u32 v32, s14, v10
	v_mul_lo_u32 v33, s15, v31
	v_add3_u32 v27, v30, v27, v29
	v_mad_u64_u32 v[28:29], s[0:1], s14, v31, v[126:127]
	v_add3_u32 v9, v33, v9, v32
	v_mad_u64_u32 v[10:11], s[0:1], s14, v34, v[2:3]
	v_mul_lo_u32 v35, s14, v12
	v_mul_lo_u32 v36, s15, v34
	v_add_co_u32_e32 v55, vcc, 44, v0
	v_add3_u32 v29, v33, v29, v32
	v_mad_u64_u32 v[32:33], s[0:1], s14, v34, v[126:127]
	v_add3_u32 v11, v36, v11, v35
	v_mad_u64_u32 v[12:13], s[0:1], s14, v37, v[2:3]
	v_mul_lo_u32 v38, s14, v14
	v_mul_lo_u32 v39, s15, v37
	v_mad_u64_u32 v[14:15], s[0:1], s14, v40, v[2:3]
	v_mul_lo_u32 v41, s14, v16
	v_mul_lo_u32 v42, s15, v40
	v_addc_co_u32_e32 v56, vcc, 0, v1, vcc
	v_add3_u32 v33, v36, v33, v35
	v_mad_u64_u32 v[34:35], s[0:1], s14, v37, v[126:127]
	v_mad_u64_u32 v[36:37], s[0:1], s14, v40, v[126:127]
	v_add3_u32 v15, v42, v15, v41
	v_mul_lo_u32 v44, s14, v18
	v_mad_u64_u32 v[18:19], s[0:1], s14, v46, v[2:3]
	v_mul_lo_u32 v47, s14, v20
	v_mul_lo_u32 v48, s15, v46
	v_add3_u32 v37, v42, v37, v41
	v_add_co_u32_e32 v58, vcc, 48, v0
	v_mad_u64_u32 v[40:41], s[0:1], s14, v46, v[126:127]
	v_add3_u32 v19, v48, v19, v47
	v_mul_lo_u32 v50, s14, v22
	v_mad_u64_u32 v[22:23], s[0:1], s14, v52, v[2:3]
	v_mul_lo_u32 v54, s15, v52
	v_addc_co_u32_e32 v59, vcc, 0, v1, vcc
	v_add3_u32 v41, v48, v41, v47
	v_mad_u64_u32 v[46:47], s[0:1], s14, v52, v[126:127]
	v_add3_u32 v13, v39, v13, v38
	v_mad_u64_u32 v[16:17], s[0:1], s14, v43, v[2:3]
	v_mul_lo_u32 v45, s15, v43
	v_add3_u32 v23, v54, v23, v53
	v_add3_u32 v35, v39, v35, v38
	v_mad_u64_u32 v[38:39], s[0:1], s14, v43, v[126:127]
	v_add3_u32 v47, v54, v47, v53
	v_add_co_u32_e32 v54, vcc, 52, v0
	v_add3_u32 v17, v45, v17, v44
	v_mad_u64_u32 v[20:21], s[0:1], s14, v49, v[2:3]
	v_mul_lo_u32 v51, s15, v49
	v_mad_u64_u32 v[30:31], s[0:1], s14, v55, v[2:3]
	v_mul_lo_u32 v56, s14, v56
	v_mul_lo_u32 v57, s15, v55
	v_add3_u32 v39, v45, v39, v44
	v_mad_u64_u32 v[44:45], s[0:1], s14, v49, v[126:127]
	v_mad_u64_u32 v[48:49], s[0:1], s14, v55, v[126:127]
	v_addc_co_u32_e32 v55, vcc, 0, v1, vcc
	v_add3_u32 v21, v51, v21, v50
	v_add3_u32 v31, v57, v31, v56
	v_mad_u64_u32 v[42:43], s[0:1], s14, v58, v[2:3]
	v_add3_u32 v45, v51, v45, v50
	v_mul_lo_u32 v60, s15, v58
	v_add3_u32 v49, v57, v49, v56
	v_mad_u64_u32 v[50:51], s[0:1], s14, v58, v[126:127]
	v_mad_u64_u32 v[52:53], s[0:1], s14, v54, v[2:3]
	v_mul_lo_u32 v56, s14, v55
	v_mul_lo_u32 v57, s15, v54
	v_mad_u64_u32 v[54:55], s[0:1], s14, v54, v[126:127]
	v_add_co_u32_e32 v58, vcc, 56, v0
	v_mul_lo_u32 v59, s14, v59
	v_add3_u32 v53, v57, v53, v56
	v_add3_u32 v55, v57, v55, v56
	v_addc_co_u32_e32 v56, vcc, 0, v1, vcc
	v_add3_u32 v43, v60, v43, v59
	v_add3_u32 v51, v60, v51, v59
	v_mul_lo_u32 v60, s14, v56
	v_mul_lo_u32 v61, s15, v58
	v_mad_u64_u32 v[56:57], s[0:1], s14, v58, v[2:3]
	v_mad_u64_u32 v[58:59], s[0:1], s14, v58, v[126:127]
	v_add_co_u32_e32 v62, vcc, 60, v0
	v_add3_u32 v57, v61, v57, v60
	v_add3_u32 v59, v61, v59, v60
	v_addc_co_u32_e32 v60, vcc, 0, v1, vcc
	v_mul_lo_u32 v64, s14, v60
	v_mul_lo_u32 v65, s15, v62
	v_mad_u64_u32 v[60:61], s[0:1], s14, v62, v[2:3]
	v_mad_u64_u32 v[62:63], s[0:1], s14, v62, v[126:127]
	v_add_co_u32_e32 v66, vcc, 64, v0
	v_add3_u32 v61, v65, v61, v64
	v_add3_u32 v63, v65, v63, v64
	v_addc_co_u32_e32 v64, vcc, 0, v1, vcc
	v_mul_lo_u32 v68, s14, v64
	v_mul_lo_u32 v69, s15, v66
	v_mad_u64_u32 v[64:65], s[0:1], s14, v66, v[2:3]
	v_mad_u64_u32 v[66:67], s[0:1], s14, v66, v[126:127]
	s_movk_i32 s0, 0x44
	v_add_co_u32_e32 v70, vcc, s0, v0
	v_add3_u32 v65, v69, v65, v68
	v_add3_u32 v67, v69, v67, v68
	v_addc_co_u32_e32 v68, vcc, 0, v1, vcc
	v_mul_lo_u32 v72, s14, v68
	v_mul_lo_u32 v73, s15, v70
	v_mad_u64_u32 v[68:69], s[0:1], s14, v70, v[2:3]
	v_mad_u64_u32 v[70:71], s[0:1], s14, v70, v[126:127]
	s_movk_i32 s0, 0x48
	;; [unrolled: 9-line block ×15, first 2 shown]
	v_add_co_u32_e32 v0, vcc, s0, v0
	v_addc_co_u32_e32 v1, vcc, 0, v1, vcc
	v_add3_u32 v121, v125, v121, v124
	v_add3_u32 v123, v125, v123, v124
	v_mad_u64_u32 v[124:125], s[0:1], s14, v0, v[2:3]
	v_mul_lo_u32 v1, s14, v1
	v_mad_u64_u32 v[126:127], s[0:1], s14, v0, v[126:127]
	v_mul_lo_u32 v0, s15, v0
	v_lshlrev_b32_e32 v128, 5, v208
	v_add3_u32 v125, v0, v125, v1
	v_add3_u32 v127, v0, v127, v1
	v_mov_b32_e32 v1, s25
	v_add_co_u32_e32 v0, vcc, s24, v128
	v_addc_co_u32_e32 v1, vcc, 0, v1, vcc
	v_add_co_u32_e32 v2, vcc, 31, v0
	v_addc_co_u32_e32 v3, vcc, 0, v1, vcc
	v_mul_lo_u32 v129, s14, v3
	v_mul_lo_u32 v130, s15, v2
	v_mad_u64_u32 v[2:3], s[0:1], s14, v2, 0
	v_add3_u32 v3, v3, v129, v130
	v_add_co_u32_e32 v129, vcc, 30, v0
	v_addc_co_u32_e32 v130, vcc, 0, v1, vcc
	v_mul_lo_u32 v130, s14, v130
	v_mul_lo_u32 v131, s15, v129
	v_mad_u64_u32 v[134:135], s[0:1], s14, v129, 0
	v_add_co_u32_e32 v129, vcc, 29, v0
	v_add3_u32 v135, v135, v130, v131
	v_addc_co_u32_e32 v130, vcc, 0, v1, vcc
	v_mul_lo_u32 v130, s14, v130
	v_mul_lo_u32 v131, s15, v129
	v_mad_u64_u32 v[136:137], s[0:1], s14, v129, 0
	v_add_co_u32_e32 v129, vcc, 28, v0
	v_add3_u32 v137, v137, v130, v131
	;; [unrolled: 6-line block ×28, first 2 shown]
	v_addc_co_u32_e32 v130, vcc, 0, v1, vcc
	v_mul_lo_u32 v130, s14, v130
	v_mul_lo_u32 v131, s15, v129
	v_mad_u64_u32 v[190:191], s[0:1], s14, v129, 0
	v_add3_u32 v191, v191, v130, v131
	v_pk_mov_b32 v[130:131], s[14:15], s[14:15] op_sel:[0,1]
	v_mul_lo_u32 v129, s14, v1
	v_mad_u64_u32 v[192:193], s[0:1], s14, v0, v[130:131]
	v_mul_lo_u32 v130, s15, v0
	v_mad_u64_u32 v[0:1], s[0:1], s14, v0, 0
	v_add3_u32 v1, v1, v129, v130
	v_lshlrev_b64 v[132:133], 2, v[0:1]
	v_add3_u32 v193, v130, v193, v129
	v_mov_b32_e32 v0, s17
	v_add_co_u32_e32 v130, vcc, s16, v132
	v_addc_co_u32_e32 v1, vcc, v0, v133, vcc
	v_mov_b32_e32 v131, s19
	v_add_co_u32_e32 v132, vcc, s18, v132
	v_addc_co_u32_e32 v129, vcc, v131, v133, vcc
	v_lshlrev_b64 v[2:3], 2, v[2:3]
	v_add_co_u32_e32 v194, vcc, s16, v2
	v_addc_co_u32_e32 v133, vcc, v0, v3, vcc
	v_add_co_u32_e32 v2, vcc, s18, v2
	v_addc_co_u32_e32 v3, vcc, v131, v3, vcc
	v_accvgpr_write_b32 a4, v2
	v_accvgpr_write_b32 a3, v3
	v_lshlrev_b64 v[2:3], 2, v[134:135]
	v_add_co_u32_e32 v134, vcc, s16, v2
	v_accvgpr_write_b32 a1, v133
	v_addc_co_u32_e32 v133, vcc, v0, v3, vcc
	v_add_co_u32_e32 v2, vcc, s18, v2
	v_addc_co_u32_e32 v3, vcc, v131, v3, vcc
	v_accvgpr_write_b32 a8, v2
	v_accvgpr_write_b32 a7, v3
	v_lshlrev_b64 v[2:3], 2, v[136:137]
	v_accvgpr_write_b32 a6, v134
	v_add_co_u32_e32 v134, vcc, s16, v2
	v_accvgpr_write_b32 a5, v133
	v_addc_co_u32_e32 v133, vcc, v0, v3, vcc
	v_add_co_u32_e32 v2, vcc, s18, v2
	v_addc_co_u32_e32 v3, vcc, v131, v3, vcc
	v_accvgpr_write_b32 a12, v2
	v_accvgpr_write_b32 a11, v3
	v_lshlrev_b64 v[2:3], 2, v[138:139]
	v_accvgpr_write_b32 a10, v134
	;; [unrolled: 9-line block ×17, first 2 shown]
	v_add_co_u32_e32 v134, vcc, s16, v2
	v_accvgpr_write_b32 a69, v133
	v_addc_co_u32_e32 v133, vcc, v0, v3, vcc
	v_add_co_u32_e32 v2, vcc, s18, v2
	v_accvgpr_write_b32 a76, v2
	v_addc_co_u32_e32 v205, vcc, v131, v3, vcc
	v_lshlrev_b64 v[2:3], 2, v[170:171]
	v_add_co_u32_e32 v210, vcc, s16, v2
	v_addc_co_u32_e32 v207, vcc, v0, v3, vcc
	v_add_co_u32_e32 v212, vcc, s18, v2
	v_addc_co_u32_e32 v3, vcc, v131, v3, vcc
	v_accvgpr_write_b32 a75, v3
	v_lshlrev_b64 v[2:3], 2, v[172:173]
	v_add_co_u32_e32 v214, vcc, s16, v2
	v_addc_co_u32_e32 v211, vcc, v0, v3, vcc
	v_add_co_u32_e32 v216, vcc, s18, v2
	v_addc_co_u32_e32 v213, vcc, v131, v3, vcc
	v_lshlrev_b64 v[2:3], 2, v[174:175]
	v_add_co_u32_e32 v218, vcc, s16, v2
	v_addc_co_u32_e32 v215, vcc, v0, v3, vcc
	v_add_co_u32_e32 v220, vcc, s18, v2
	v_addc_co_u32_e32 v217, vcc, v131, v3, vcc
	;; [unrolled: 5-line block ×9, first 2 shown]
	v_lshlrev_b64 v[2:3], 2, v[190:191]
	v_add_co_u32_e32 v250, vcc, s16, v2
	s_load_dword s0, s[4:5], 0x44
	v_addc_co_u32_e32 v247, vcc, v0, v3, vcc
	v_add_co_u32_e32 v252, vcc, s18, v2
	v_addc_co_u32_e32 v249, vcc, v131, v3, vcc
	v_lshlrev_b64 v[2:3], 2, v[192:193]
	v_add_co_u32_e32 v254, vcc, s16, v2
	v_and_b32_e32 v209, 0x3ff, v255
	v_addc_co_u32_e32 v251, vcc, v0, v3, vcc
	v_add_u32_e32 v136, s9, v209
	s_waitcnt lgkmcnt(0)
	s_lshl_b32 s9, s0, 5
	v_mbcnt_lo_u32_b32 v0, -1, 0
	s_mul_i32 s0, s15, s9
	s_mul_hi_u32 s1, s14, s9
	v_mbcnt_hi_u32_b32 v0, -1, v0
	v_accvgpr_write_b32 a74, v134
	v_add_co_u32_e32 v134, vcc, s18, v2
	v_mov_b32_e32 v137, 0
	s_add_i32 s1, s1, s0
	s_mul_i32 s0, s14, s9
	v_lshlrev_b32_e32 v0, 2, v0
	v_accvgpr_write_b32 a2, v194
	v_accvgpr_write_b32 a73, v133
	v_addc_co_u32_e32 v253, vcc, v131, v3, vcc
	v_accvgpr_write_b32 a0, v255
	s_lshl_b64 s[10:11], s[0:1], 2
	s_mov_b64 s[16:17], 31
	v_and_b32_e32 v0, 0x100, v0
	v_mov_b32_e32 v2, 0
	v_mov_b32_e32 v3, v137
	s_mov_b64 s[18:19], s[24:25]
	v_mov_b32_e32 v255, v137
	v_accvgpr_write_b32 a77, v137
	v_lshlrev_b64 v[136:137], 2, v[136:137]
.LBB61_148:                             ; =>This Inner Loop Header: Depth=1
	s_add_u32 s0, s24, s16
	s_addc_u32 s1, 0, s17
	v_pk_mov_b32 v[138:139], s[12:13], s[12:13] op_sel:[0,1]
	v_cmp_ge_i64_e32 vcc, s[0:1], v[138:139]
	v_mov_b32_e32 v131, s25
	v_add_co_u32_e64 v138, s[0:1], s24, v128
	v_addc_co_u32_e64 v139, s[0:1], v131, v255, s[0:1]
	s_cbranch_vccz .LBB61_218
; %bb.149:                              ;   in Loop: Header=BB61_148 Depth=1
	s_load_dword s0, s[2:3], 0xc
	v_mov_b32_e32 v143, 0
	v_mov_b32_e32 v131, 0
	s_waitcnt lgkmcnt(0)
	s_and_b32 s0, s0, 0xffff
	v_mad_u32_u24 v133, v208, s0, v209
	v_and_b32_e32 v135, 63, v133
	v_cmp_gt_u32_e32 vcc, 32, v135
	v_mov_b32_e32 v133, 0
	s_and_saveexec_b64 s[0:1], vcc
	s_cbranch_execz .LBB61_153
; %bb.150:                              ;   in Loop: Header=BB61_148 Depth=1
	v_add_co_u32_e32 v140, vcc, v138, v135
	v_addc_co_u32_e32 v141, vcc, 0, v139, vcc
	v_cmp_gt_i64_e32 vcc, s[12:13], v[140:141]
	v_mov_b32_e32 v133, 0
	v_mov_b32_e32 v131, 0
	s_and_saveexec_b64 s[26:27], vcc
	s_cbranch_execz .LBB61_152
; %bb.151:                              ;   in Loop: Header=BB61_148 Depth=1
	v_lshlrev_b64 v[140:141], 2, v[140:141]
	v_mov_b32_e32 v131, s23
	v_add_co_u32_e32 v144, vcc, s22, v140
	v_addc_co_u32_e32 v145, vcc, v131, v141, vcc
	v_mov_b32_e32 v131, s21
	v_add_co_u32_e32 v140, vcc, s20, v140
	v_addc_co_u32_e32 v141, vcc, v131, v141, vcc
	global_load_dword v133, v[140:141], off
	global_load_dword v131, v[144:145], off
.LBB61_152:                             ;   in Loop: Header=BB61_148 Depth=1
	s_or_b64 exec, exec, s[26:27]
.LBB61_153:                             ;   in Loop: Header=BB61_148 Depth=1
	s_or_b64 exec, exec, s[0:1]
	v_cmp_gt_i64_e32 vcc, s[12:13], v[138:139]
	v_mov_b32_e32 v142, 0
	s_and_saveexec_b64 s[0:1], vcc
	s_cbranch_execz .LBB61_155
; %bb.154:                              ;   in Loop: Header=BB61_148 Depth=1
	v_add_co_u32_e32 v140, vcc, v130, v136
	v_addc_co_u32_e32 v141, vcc, v1, v137, vcc
	global_load_dword v143, v[140:141], off
	v_add_co_u32_e32 v140, vcc, v132, v136
	v_addc_co_u32_e32 v141, vcc, v129, v137, vcc
	global_load_dword v142, v[140:141], off
.LBB61_155:                             ;   in Loop: Header=BB61_148 Depth=1
	s_or_b64 exec, exec, s[0:1]
	v_add_co_u32_e32 v140, vcc, 1, v138
	v_addc_co_u32_e32 v141, vcc, 0, v139, vcc
	v_cmp_gt_i64_e32 vcc, s[12:13], v[140:141]
	v_mov_b32_e32 v149, 0
	v_mov_b32_e32 v151, 0
	v_mov_b32_e32 v148, 0
	s_and_saveexec_b64 s[0:1], vcc
	s_cbranch_execz .LBB61_157
; %bb.156:                              ;   in Loop: Header=BB61_148 Depth=1
	v_add_co_u32_e32 v140, vcc, v254, v136
	v_addc_co_u32_e32 v141, vcc, v251, v137, vcc
	global_load_dword v151, v[140:141], off
	v_add_co_u32_e32 v140, vcc, v134, v136
	v_addc_co_u32_e32 v141, vcc, v253, v137, vcc
	global_load_dword v148, v[140:141], off
.LBB61_157:                             ;   in Loop: Header=BB61_148 Depth=1
	s_or_b64 exec, exec, s[0:1]
	v_add_co_u32_e32 v140, vcc, 2, v138
	v_addc_co_u32_e32 v141, vcc, 0, v139, vcc
	v_cmp_gt_i64_e32 vcc, s[12:13], v[140:141]
	v_mov_b32_e32 v146, 0
	s_and_saveexec_b64 s[0:1], vcc
	s_cbranch_execz .LBB61_159
; %bb.158:                              ;   in Loop: Header=BB61_148 Depth=1
	v_add_co_u32_e32 v140, vcc, v250, v136
	v_addc_co_u32_e32 v141, vcc, v247, v137, vcc
	global_load_dword v149, v[140:141], off
	v_add_co_u32_e32 v140, vcc, v252, v136
	v_addc_co_u32_e32 v141, vcc, v249, v137, vcc
	global_load_dword v146, v[140:141], off
.LBB61_159:                             ;   in Loop: Header=BB61_148 Depth=1
	s_or_b64 exec, exec, s[0:1]
	v_add_co_u32_e32 v140, vcc, 3, v138
	v_addc_co_u32_e32 v141, vcc, 0, v139, vcc
	v_cmp_gt_i64_e32 vcc, s[12:13], v[140:141]
	v_mov_b32_e32 v159, 0
	v_mov_b32_e32 v161, 0
	v_mov_b32_e32 v158, 0
	s_and_saveexec_b64 s[0:1], vcc
	s_cbranch_execz .LBB61_161
; %bb.160:                              ;   in Loop: Header=BB61_148 Depth=1
	v_add_co_u32_e32 v140, vcc, v246, v136
	v_addc_co_u32_e32 v141, vcc, v243, v137, vcc
	global_load_dword v161, v[140:141], off
	v_add_co_u32_e32 v140, vcc, v248, v136
	v_addc_co_u32_e32 v141, vcc, v245, v137, vcc
	global_load_dword v158, v[140:141], off
.LBB61_161:                             ;   in Loop: Header=BB61_148 Depth=1
	s_or_b64 exec, exec, s[0:1]
	v_add_co_u32_e32 v140, vcc, 4, v138
	v_addc_co_u32_e32 v141, vcc, 0, v139, vcc
	;; [unrolled: 32-line block ×6, first 2 shown]
	v_cmp_gt_i64_e32 vcc, s[12:13], v[140:141]
	v_mov_b32_e32 v156, 0
	s_and_saveexec_b64 s[0:1], vcc
	s_cbranch_execz .LBB61_179
; %bb.178:                              ;   in Loop: Header=BB61_148 Depth=1
	v_add_co_u32_e32 v140, vcc, v210, v136
	v_addc_co_u32_e32 v141, vcc, v207, v137, vcc
	global_load_dword v145, v[140:141], off
	v_add_co_u32_e32 v140, vcc, v212, v136
	v_accvgpr_read_b32 v135, a75
	v_addc_co_u32_e32 v141, vcc, v135, v137, vcc
	global_load_dword v156, v[140:141], off
.LBB61_179:                             ;   in Loop: Header=BB61_148 Depth=1
	s_or_b64 exec, exec, s[0:1]
	v_add_co_u32_e32 v140, vcc, 13, v138
	v_addc_co_u32_e32 v141, vcc, 0, v139, vcc
	v_cmp_gt_i64_e32 vcc, s[12:13], v[140:141]
	v_mov_b32_e32 v153, 0
	v_mov_b32_e32 v157, 0
	;; [unrolled: 1-line block ×3, first 2 shown]
	s_and_saveexec_b64 s[0:1], vcc
	s_cbranch_execz .LBB61_181
; %bb.180:                              ;   in Loop: Header=BB61_148 Depth=1
	v_accvgpr_read_b32 v140, a74
	v_add_co_u32_e32 v140, vcc, v140, v136
	v_accvgpr_read_b32 v135, a73
	v_addc_co_u32_e32 v141, vcc, v135, v137, vcc
	global_load_dword v157, v[140:141], off
	v_accvgpr_read_b32 v140, a76
	v_add_co_u32_e32 v140, vcc, v140, v136
	v_addc_co_u32_e32 v141, vcc, v205, v137, vcc
	global_load_dword v152, v[140:141], off
.LBB61_181:                             ;   in Loop: Header=BB61_148 Depth=1
	s_or_b64 exec, exec, s[0:1]
	v_add_co_u32_e32 v140, vcc, 14, v138
	v_addc_co_u32_e32 v141, vcc, 0, v139, vcc
	v_cmp_gt_i64_e32 vcc, s[12:13], v[140:141]
	v_mov_b32_e32 v178, 0
	s_and_saveexec_b64 s[0:1], vcc
	s_cbranch_execz .LBB61_183
; %bb.182:                              ;   in Loop: Header=BB61_148 Depth=1
	v_accvgpr_read_b32 v140, a70
	v_add_co_u32_e32 v140, vcc, v140, v136
	v_accvgpr_read_b32 v135, a69
	v_addc_co_u32_e32 v141, vcc, v135, v137, vcc
	global_load_dword v153, v[140:141], off
	v_accvgpr_read_b32 v140, a72
	v_add_co_u32_e32 v140, vcc, v140, v136
	v_accvgpr_read_b32 v135, a71
	v_addc_co_u32_e32 v141, vcc, v135, v137, vcc
	global_load_dword v178, v[140:141], off
.LBB61_183:                             ;   in Loop: Header=BB61_148 Depth=1
	s_or_b64 exec, exec, s[0:1]
	v_add_co_u32_e32 v140, vcc, 15, v138
	v_addc_co_u32_e32 v141, vcc, 0, v139, vcc
	v_cmp_gt_i64_e32 vcc, s[12:13], v[140:141]
	v_mov_b32_e32 v163, 0
	v_mov_b32_e32 v167, 0
	v_mov_b32_e32 v162, 0
	s_and_saveexec_b64 s[0:1], vcc
	s_cbranch_execz .LBB61_185
; %bb.184:                              ;   in Loop: Header=BB61_148 Depth=1
	v_accvgpr_read_b32 v140, a66
	v_add_co_u32_e32 v140, vcc, v140, v136
	v_accvgpr_read_b32 v135, a65
	v_addc_co_u32_e32 v141, vcc, v135, v137, vcc
	global_load_dword v167, v[140:141], off
	v_accvgpr_read_b32 v140, a68
	v_add_co_u32_e32 v140, vcc, v140, v136
	v_accvgpr_read_b32 v135, a67
	v_addc_co_u32_e32 v141, vcc, v135, v137, vcc
	global_load_dword v162, v[140:141], off
.LBB61_185:                             ;   in Loop: Header=BB61_148 Depth=1
	s_or_b64 exec, exec, s[0:1]
	v_add_co_u32_e32 v140, vcc, 16, v138
	v_addc_co_u32_e32 v141, vcc, 0, v139, vcc
	v_cmp_gt_i64_e32 vcc, s[12:13], v[140:141]
	v_mov_b32_e32 v188, 0
	s_and_saveexec_b64 s[0:1], vcc
	s_cbranch_execz .LBB61_187
; %bb.186:                              ;   in Loop: Header=BB61_148 Depth=1
	v_accvgpr_read_b32 v140, a62
	v_add_co_u32_e32 v140, vcc, v140, v136
	v_accvgpr_read_b32 v135, a61
	v_addc_co_u32_e32 v141, vcc, v135, v137, vcc
	global_load_dword v163, v[140:141], off
	v_accvgpr_read_b32 v140, a64
	v_add_co_u32_e32 v140, vcc, v140, v136
	v_accvgpr_read_b32 v135, a63
	v_addc_co_u32_e32 v141, vcc, v135, v137, vcc
	global_load_dword v188, v[140:141], off
.LBB61_187:                             ;   in Loop: Header=BB61_148 Depth=1
	s_or_b64 exec, exec, s[0:1]
	v_add_co_u32_e32 v140, vcc, 17, v138
	v_addc_co_u32_e32 v141, vcc, 0, v139, vcc
	v_cmp_gt_i64_e32 vcc, s[12:13], v[140:141]
	v_mov_b32_e32 v175, 0
	v_mov_b32_e32 v179, 0
	v_mov_b32_e32 v174, 0
	s_and_saveexec_b64 s[0:1], vcc
	s_cbranch_execz .LBB61_189
; %bb.188:                              ;   in Loop: Header=BB61_148 Depth=1
	v_accvgpr_read_b32 v140, a58
	v_add_co_u32_e32 v140, vcc, v140, v136
	v_accvgpr_read_b32 v135, a57
	v_addc_co_u32_e32 v141, vcc, v135, v137, vcc
	global_load_dword v179, v[140:141], off
	v_accvgpr_read_b32 v140, a60
	v_add_co_u32_e32 v140, vcc, v140, v136
	v_accvgpr_read_b32 v135, a59
	v_addc_co_u32_e32 v141, vcc, v135, v137, vcc
	global_load_dword v174, v[140:141], off
.LBB61_189:                             ;   in Loop: Header=BB61_148 Depth=1
	;; [unrolled: 40-line block ×8, first 2 shown]
	s_or_b64 exec, exec, s[0:1]
	v_add_co_u32_e32 v140, vcc, 30, v138
	v_addc_co_u32_e32 v141, vcc, 0, v139, vcc
	v_cmp_gt_i64_e32 vcc, s[12:13], v[140:141]
	v_mov_b32_e32 v194, 0
	s_and_saveexec_b64 s[0:1], vcc
	s_cbranch_execz .LBB61_215
; %bb.214:                              ;   in Loop: Header=BB61_148 Depth=1
	v_accvgpr_read_b32 v140, a6
	v_add_co_u32_e32 v140, vcc, v140, v136
	v_accvgpr_read_b32 v141, a5
	v_addc_co_u32_e32 v141, vcc, v141, v137, vcc
	global_load_dword v195, v[140:141], off
	v_accvgpr_read_b32 v140, a8
	v_add_co_u32_e32 v140, vcc, v140, v136
	v_accvgpr_read_b32 v141, a7
	v_addc_co_u32_e32 v141, vcc, v141, v137, vcc
	global_load_dword v194, v[140:141], off
.LBB61_215:                             ;   in Loop: Header=BB61_148 Depth=1
	s_or_b64 exec, exec, s[0:1]
	v_add_co_u32_e32 v140, vcc, 31, v138
	v_addc_co_u32_e32 v141, vcc, 0, v139, vcc
	v_cmp_gt_i64_e32 vcc, s[12:13], v[140:141]
	v_mov_b32_e32 v141, 0
	v_mov_b32_e32 v140, 0
	s_and_saveexec_b64 s[0:1], vcc
	s_cbranch_execz .LBB61_217
; %bb.216:                              ;   in Loop: Header=BB61_148 Depth=1
	v_accvgpr_read_b32 v140, a2
	v_add_co_u32_e32 v140, vcc, v140, v136
	v_accvgpr_read_b32 v141, a1
	v_addc_co_u32_e32 v141, vcc, v141, v137, vcc
	global_load_dword v141, v[140:141], off
	v_accvgpr_read_b32 v140, a4
	v_mov_b32_e32 v150, v208
	v_add_co_u32_e32 v208, vcc, v140, v136
	v_mov_b32_e32 v160, v209
	v_accvgpr_read_b32 v209, a3
	v_addc_co_u32_e32 v209, vcc, v209, v137, vcc
	global_load_dword v140, v[208:209], off
	v_mov_b32_e32 v209, v160
	v_mov_b32_e32 v208, v150
.LBB61_217:                             ;   in Loop: Header=BB61_148 Depth=1
	s_or_b64 exec, exec, s[0:1]
	s_waitcnt vmcnt(1)
	ds_bpermute_b32 v160, v0, v133
	s_waitcnt vmcnt(0)
	ds_bpermute_b32 v150, v0, v131
	s_waitcnt lgkmcnt(1)
	v_sub_f32_e32 v142, v142, v160
	ds_bpermute_b32 v160, v0, v133 offset:4
	v_mul_f32_e32 v142, v143, v142
	s_waitcnt lgkmcnt(1)
	v_mul_f32_e32 v142, v142, v150
	ds_bpermute_b32 v150, v0, v131 offset:4
	v_pk_add_f32 v[142:143], v[2:3], v[142:143]
	s_waitcnt lgkmcnt(1)
	v_sub_f32_e32 v148, v148, v160
	ds_bpermute_b32 v160, v0, v133 offset:8
	v_mul_f32_e32 v148, v151, v148
	s_waitcnt lgkmcnt(1)
	v_mul_f32_e32 v150, v148, v150
	ds_bpermute_b32 v148, v0, v131 offset:8
	v_pk_add_f32 v[142:143], v[142:143], v[150:151]
	;; [unrolled: 8-line block ×3, first 2 shown]
	s_waitcnt lgkmcnt(1)
	v_sub_f32_e32 v158, v158, v160
	v_mul_f32_e32 v158, v161, v158
	ds_bpermute_b32 v148, v0, v133 offset:44
	s_waitcnt lgkmcnt(1)
	v_mul_f32_e32 v160, v158, v146
	ds_bpermute_b32 v158, v0, v133 offset:16
	ds_bpermute_b32 v146, v0, v131 offset:16
	;; [unrolled: 1-line block ×3, first 2 shown]
	s_waitcnt lgkmcnt(3)
	v_sub_f32_e32 v144, v144, v148
	ds_bpermute_b32 v148, v0, v133 offset:48
	s_waitcnt lgkmcnt(3)
	v_sub_f32_e32 v154, v154, v158
	v_mul_f32_e32 v154, v159, v154
	s_waitcnt lgkmcnt(2)
	v_mul_f32_e32 v158, v154, v146
	ds_bpermute_b32 v154, v0, v133 offset:20
	ds_bpermute_b32 v146, v0, v131 offset:20
	v_mul_f32_e32 v144, v147, v144
	s_waitcnt lgkmcnt(2)
	v_sub_f32_e32 v148, v156, v148
	v_mul_f32_e32 v148, v145, v148
	s_waitcnt lgkmcnt(1)
	v_sub_f32_e32 v154, v170, v154
	v_mul_f32_e32 v154, v173, v154
	s_waitcnt lgkmcnt(0)
	v_mul_f32_e32 v172, v154, v146
	ds_bpermute_b32 v154, v0, v133 offset:24
	ds_bpermute_b32 v146, v0, v131 offset:24
	v_sub_f32_e32 v149, v152, v149
	v_mul_f32_e32 v149, v157, v149
	v_pk_add_f32 v[142:143], v[142:143], v[160:161]
	s_waitcnt lgkmcnt(1)
	v_sub_f32_e32 v154, v166, v154
	v_mul_f32_e32 v154, v171, v154
	s_waitcnt lgkmcnt(0)
	v_mul_f32_e32 v170, v154, v146
	ds_bpermute_b32 v154, v0, v133 offset:28
	ds_bpermute_b32 v146, v0, v131 offset:28
	v_pk_add_f32 v[142:143], v[142:143], v[158:159]
	v_pk_add_f32 v[142:143], v[142:143], v[172:173]
	;; [unrolled: 1-line block ×3, first 2 shown]
	s_waitcnt lgkmcnt(1)
	v_sub_f32_e32 v154, v184, v154
	v_mul_f32_e32 v154, v185, v154
	s_waitcnt lgkmcnt(0)
	v_mul_f32_e32 v184, v154, v146
	ds_bpermute_b32 v154, v0, v133 offset:32
	ds_bpermute_b32 v146, v0, v131 offset:32
	v_pk_add_f32 v[142:143], v[142:143], v[184:185]
	s_waitcnt lgkmcnt(1)
	v_sub_f32_e32 v154, v182, v154
	v_mul_f32_e32 v154, v183, v154
	s_waitcnt lgkmcnt(0)
	v_mul_f32_e32 v182, v154, v146
	ds_bpermute_b32 v154, v0, v133 offset:36
	ds_bpermute_b32 v146, v0, v131 offset:36
	v_pk_add_f32 v[142:143], v[142:143], v[182:183]
	;; [unrolled: 8-line block ×3, first 2 shown]
	s_waitcnt lgkmcnt(1)
	v_sub_f32_e32 v154, v196, v154
	v_mul_f32_e32 v154, v197, v154
	s_waitcnt lgkmcnt(0)
	v_mul_f32_e32 v196, v154, v146
	ds_bpermute_b32 v146, v0, v131 offset:44
	v_pk_add_f32 v[142:143], v[142:143], v[196:197]
	s_waitcnt lgkmcnt(0)
	v_mul_f32_e32 v146, v144, v146
	ds_bpermute_b32 v144, v0, v131 offset:48
	v_pk_add_f32 v[142:143], v[142:143], v[146:147]
	;; [unrolled: 4-line block ×3, first 2 shown]
	ds_bpermute_b32 v144, v0, v133 offset:88
	s_waitcnt lgkmcnt(1)
	v_mul_f32_e32 v156, v149, v148
	ds_bpermute_b32 v149, v0, v133 offset:56
	ds_bpermute_b32 v148, v0, v131 offset:56
	s_waitcnt lgkmcnt(2)
	v_sub_f32_e32 v144, v168, v144
	v_mul_f32_e32 v144, v155, v144
	v_pk_add_f32 v[142:143], v[142:143], v[156:157]
	s_waitcnt lgkmcnt(1)
	v_sub_f32_e32 v149, v178, v149
	v_mul_f32_e32 v149, v153, v149
	s_waitcnt lgkmcnt(0)
	v_mul_f32_e32 v152, v149, v148
	ds_bpermute_b32 v149, v0, v133 offset:60
	ds_bpermute_b32 v148, v0, v131 offset:60
	v_pk_add_f32 v[142:143], v[142:143], v[152:153]
	s_waitcnt lgkmcnt(1)
	v_sub_f32_e32 v149, v162, v149
	v_mul_f32_e32 v149, v167, v149
	s_waitcnt lgkmcnt(0)
	v_mul_f32_e32 v166, v149, v148
	ds_bpermute_b32 v149, v0, v133 offset:64
	ds_bpermute_b32 v148, v0, v131 offset:64
	;; [unrolled: 8-line block ×7, first 2 shown]
	v_pk_add_f32 v[142:143], v[142:143], v[186:187]
	s_waitcnt lgkmcnt(1)
	v_sub_f32_e32 v148, v200, v148
	v_mul_f32_e32 v148, v201, v148
	s_waitcnt lgkmcnt(0)
	v_mul_f32_e32 v200, v148, v135
	ds_bpermute_b32 v135, v0, v131 offset:88
	v_pk_add_f32 v[142:143], v[142:143], v[200:201]
	s_waitcnt lgkmcnt(0)
	v_mul_f32_e32 v154, v144, v135
	ds_bpermute_b32 v144, v0, v133 offset:92
	ds_bpermute_b32 v135, v0, v131 offset:92
	v_pk_add_f32 v[142:143], v[142:143], v[154:155]
	s_waitcnt lgkmcnt(1)
	v_sub_f32_e32 v144, v164, v144
	v_mul_f32_e32 v144, v169, v144
	s_waitcnt lgkmcnt(0)
	v_mul_f32_e32 v168, v144, v135
	ds_bpermute_b32 v144, v0, v133 offset:96
	ds_bpermute_b32 v135, v0, v131 offset:96
	v_pk_add_f32 v[142:143], v[142:143], v[168:169]
	s_waitcnt lgkmcnt(1)
	v_sub_f32_e32 v144, v180, v144
	v_mul_f32_e32 v144, v165, v144
	;; [unrolled: 8-line block ×7, first 2 shown]
	s_waitcnt lgkmcnt(0)
	v_mul_f32_e32 v202, v144, v135
	ds_bpermute_b32 v144, v0, v133 offset:120
	ds_bpermute_b32 v135, v0, v131 offset:120
	;; [unrolled: 1-line block ×4, first 2 shown]
	v_pk_add_f32 v[142:143], v[142:143], v[202:203]
	s_waitcnt lgkmcnt(3)
	v_sub_f32_e32 v144, v194, v144
	v_mul_f32_e32 v144, v195, v144
	s_waitcnt lgkmcnt(2)
	v_mul_f32_e32 v194, v144, v135
	v_pk_add_f32 v[142:143], v[142:143], v[194:195]
	s_branch .LBB61_224
.LBB61_218:                             ;   in Loop: Header=BB61_148 Depth=1
                                        ; implicit-def: $vgpr142_vgpr143
                                        ; implicit-def: $vgpr131
                                        ; implicit-def: $vgpr141
                                        ; implicit-def: $vgpr140
                                        ; implicit-def: $vgpr133
	s_cbranch_execz .LBB61_224
; %bb.219:                              ;   in Loop: Header=BB61_148 Depth=1
	s_load_dword s0, s[2:3], 0x0
	s_waitcnt lgkmcnt(0)
	v_accvgpr_read_b32 v131, a77
	s_cmp_lt_u32 s6, s0
	s_cselect_b32 s0, 12, 18
	s_add_u32 s0, s2, s0
	s_addc_u32 s1, s3, 0
	global_load_ushort v133, v131, s[0:1]
	v_mov_b32_e32 v131, 0
	s_waitcnt vmcnt(0)
	v_mad_u32_u24 v133, v208, v133, v209
	v_and_b32_e32 v135, 63, v133
	v_cmp_gt_u32_e32 vcc, 32, v135
	v_mov_b32_e32 v133, 0
	s_and_saveexec_b64 s[0:1], vcc
	s_cbranch_execz .LBB61_223
; %bb.220:                              ;   in Loop: Header=BB61_148 Depth=1
	v_add_co_u32_e32 v138, vcc, v138, v135
	v_addc_co_u32_e32 v139, vcc, 0, v139, vcc
	v_cmp_gt_i64_e32 vcc, s[12:13], v[138:139]
	v_mov_b32_e32 v133, 0
	v_mov_b32_e32 v131, 0
	s_and_saveexec_b64 s[26:27], vcc
	s_cbranch_execz .LBB61_222
; %bb.221:                              ;   in Loop: Header=BB61_148 Depth=1
	v_lshlrev_b64 v[138:139], 2, v[138:139]
	v_mov_b32_e32 v131, s23
	v_add_co_u32_e32 v140, vcc, s22, v138
	v_addc_co_u32_e32 v141, vcc, v131, v139, vcc
	v_mov_b32_e32 v131, s21
	v_add_co_u32_e32 v138, vcc, s20, v138
	v_addc_co_u32_e32 v139, vcc, v131, v139, vcc
	global_load_dword v133, v[138:139], off
	global_load_dword v131, v[140:141], off
.LBB61_222:                             ;   in Loop: Header=BB61_148 Depth=1
	s_or_b64 exec, exec, s[26:27]
.LBB61_223:                             ;   in Loop: Header=BB61_148 Depth=1
	s_or_b64 exec, exec, s[0:1]
	v_add_co_u32_e32 v138, vcc, v130, v136
	v_addc_co_u32_e32 v139, vcc, v1, v137, vcc
	global_load_dword v181, v[138:139], off
	v_add_co_u32_e32 v138, vcc, v132, v136
	v_addc_co_u32_e32 v139, vcc, v129, v137, vcc
	global_load_dword v178, v[138:139], off
	;; [unrolled: 3-line block ×44, first 2 shown]
	v_add_co_u32_e32 v138, vcc, v88, v136
	v_addc_co_u32_e32 v139, vcc, v89, v137, vcc
	v_add_co_u32_e32 v140, vcc, v90, v136
	v_addc_co_u32_e32 v141, vcc, v91, v137, vcc
	global_load_dword v139, v[138:139], off
	s_waitcnt vmcnt(45)
	ds_bpermute_b32 v180, v0, v131
	global_load_dword v138, v[140:141], off
	v_add_co_u32_e32 v140, vcc, v92, v136
	v_addc_co_u32_e32 v141, vcc, v93, v137, vcc
	global_load_dword v143, v[140:141], off
	v_add_co_u32_e32 v140, vcc, v94, v136
	v_addc_co_u32_e32 v141, vcc, v95, v137, vcc
	global_load_dword v142, v[140:141], off
	v_add_co_u32_e32 v140, vcc, v96, v136
	v_addc_co_u32_e32 v141, vcc, v97, v137, vcc
	global_load_dword v145, v[140:141], off
	v_add_co_u32_e32 v140, vcc, v98, v136
	v_addc_co_u32_e32 v141, vcc, v99, v137, vcc
	global_load_dword v144, v[140:141], off
	v_add_co_u32_e32 v140, vcc, v100, v136
	v_addc_co_u32_e32 v141, vcc, v101, v137, vcc
	global_load_dword v147, v[140:141], off
	v_add_co_u32_e32 v140, vcc, v102, v136
	v_addc_co_u32_e32 v141, vcc, v103, v137, vcc
	global_load_dword v146, v[140:141], off
	v_add_co_u32_e32 v140, vcc, v104, v136
	v_addc_co_u32_e32 v141, vcc, v105, v137, vcc
	global_load_dword v149, v[140:141], off
	v_add_co_u32_e32 v140, vcc, v106, v136
	v_addc_co_u32_e32 v141, vcc, v107, v137, vcc
	global_load_dword v148, v[140:141], off
	v_add_co_u32_e32 v140, vcc, v108, v136
	v_addc_co_u32_e32 v141, vcc, v109, v137, vcc
	global_load_dword v151, v[140:141], off
	v_add_co_u32_e32 v140, vcc, v110, v136
	v_addc_co_u32_e32 v141, vcc, v111, v137, vcc
	global_load_dword v150, v[140:141], off
	v_add_co_u32_e32 v140, vcc, v112, v136
	v_addc_co_u32_e32 v141, vcc, v113, v137, vcc
	global_load_dword v153, v[140:141], off
	v_add_co_u32_e32 v140, vcc, v114, v136
	v_addc_co_u32_e32 v141, vcc, v115, v137, vcc
	global_load_dword v152, v[140:141], off
	v_add_co_u32_e32 v140, vcc, v116, v136
	v_addc_co_u32_e32 v141, vcc, v117, v137, vcc
	global_load_dword v157, v[140:141], off
	v_add_co_u32_e32 v140, vcc, v118, v136
	v_addc_co_u32_e32 v141, vcc, v119, v137, vcc
	global_load_dword v154, v[140:141], off
	v_add_co_u32_e32 v140, vcc, v120, v136
	v_addc_co_u32_e32 v141, vcc, v121, v137, vcc
	global_load_dword v155, v[140:141], off
	v_add_co_u32_e32 v140, vcc, v122, v136
	v_addc_co_u32_e32 v141, vcc, v123, v137, vcc
	global_load_dword v135, v[140:141], off
	v_add_co_u32_e32 v140, vcc, v124, v136
	v_addc_co_u32_e32 v141, vcc, v125, v137, vcc
	v_add_co_u32_e32 v202, vcc, v126, v136
	v_addc_co_u32_e32 v203, vcc, v127, v137, vcc
	global_load_dword v141, v[140:141], off
	s_nop 0
	global_load_dword v140, v[202:203], off
	ds_bpermute_b32 v202, v0, v133
	s_waitcnt vmcnt(62) lgkmcnt(0)
	v_sub_f32_e32 v178, v178, v202
	ds_bpermute_b32 v202, v0, v133 offset:4
	v_mul_f32_e32 v178, v181, v178
	v_mul_f32_e32 v180, v178, v180
	ds_bpermute_b32 v178, v0, v131 offset:4
	v_pk_add_f32 v[2:3], v[2:3], v[180:181]
	s_waitcnt vmcnt(60) lgkmcnt(1)
	v_sub_f32_e32 v182, v182, v202
	ds_bpermute_b32 v202, v0, v133 offset:8
	v_mul_f32_e32 v182, v183, v182
	s_waitcnt lgkmcnt(1)
	v_mul_f32_e32 v182, v182, v178
	ds_bpermute_b32 v178, v0, v131 offset:8
	ds_bpermute_b32 v180, v0, v133 offset:44
	s_waitcnt vmcnt(58) lgkmcnt(2)
	v_sub_f32_e32 v184, v184, v202
	ds_bpermute_b32 v202, v0, v133 offset:12
	v_mul_f32_e32 v184, v185, v184
	s_waitcnt lgkmcnt(2)
	v_mul_f32_e32 v184, v184, v178
	ds_bpermute_b32 v178, v0, v131 offset:12
	s_waitcnt vmcnt(40) lgkmcnt(2)
	v_sub_f32_e32 v158, v158, v180
	s_waitcnt lgkmcnt(1)
	v_sub_f32_e32 v186, v186, v202
	ds_bpermute_b32 v202, v0, v133 offset:16
	v_mul_f32_e32 v186, v187, v186
	s_waitcnt lgkmcnt(1)
	v_mul_f32_e32 v186, v186, v178
	ds_bpermute_b32 v178, v0, v131 offset:16
	ds_bpermute_b32 v180, v0, v133 offset:48
	s_waitcnt lgkmcnt(2)
	v_sub_f32_e32 v188, v188, v202
	ds_bpermute_b32 v202, v0, v133 offset:20
	v_mul_f32_e32 v188, v189, v188
	s_waitcnt lgkmcnt(2)
	v_mul_f32_e32 v188, v188, v178
	ds_bpermute_b32 v178, v0, v131 offset:20
	v_mul_f32_e32 v158, v159, v158
	s_waitcnt lgkmcnt(1)
	v_sub_f32_e32 v190, v190, v202
	ds_bpermute_b32 v202, v0, v133 offset:24
	v_mul_f32_e32 v190, v191, v190
	s_waitcnt lgkmcnt(1)
	v_mul_f32_e32 v190, v190, v178
	ds_bpermute_b32 v178, v0, v131 offset:24
	s_waitcnt vmcnt(38)
	v_sub_f32_e32 v160, v160, v180
	s_waitcnt lgkmcnt(1)
	v_sub_f32_e32 v192, v192, v202
	ds_bpermute_b32 v202, v0, v133 offset:28
	v_mul_f32_e32 v192, v193, v192
	s_waitcnt lgkmcnt(1)
	v_mul_f32_e32 v192, v192, v178
	ds_bpermute_b32 v178, v0, v131 offset:28
	ds_bpermute_b32 v180, v0, v133 offset:52
	s_waitcnt lgkmcnt(2)
	v_sub_f32_e32 v194, v194, v202
	ds_bpermute_b32 v202, v0, v133 offset:32
	v_mul_f32_e32 v194, v195, v194
	s_waitcnt lgkmcnt(2)
	v_mul_f32_e32 v194, v194, v178
	ds_bpermute_b32 v178, v0, v131 offset:32
	v_mul_f32_e32 v160, v161, v160
	s_waitcnt lgkmcnt(1)
	v_sub_f32_e32 v196, v196, v202
	ds_bpermute_b32 v202, v0, v133 offset:36
	v_mul_f32_e32 v196, v197, v196
	s_waitcnt lgkmcnt(1)
	v_mul_f32_e32 v196, v196, v178
	ds_bpermute_b32 v178, v0, v131 offset:36
	s_waitcnt vmcnt(36)
	v_sub_f32_e32 v162, v162, v180
	s_waitcnt lgkmcnt(1)
	v_sub_f32_e32 v198, v198, v202
	ds_bpermute_b32 v202, v0, v133 offset:40
	v_mul_f32_e32 v198, v199, v198
	s_waitcnt lgkmcnt(1)
	v_mul_f32_e32 v198, v198, v178
	ds_bpermute_b32 v178, v0, v131 offset:40
	ds_bpermute_b32 v180, v0, v133 offset:56
	s_waitcnt lgkmcnt(2)
	v_sub_f32_e32 v200, v200, v202
	v_mul_f32_e32 v200, v201, v200
	v_mul_f32_e32 v162, v163, v162
	s_waitcnt lgkmcnt(1)
	v_mul_f32_e32 v200, v200, v178
	ds_bpermute_b32 v178, v0, v131 offset:44
	s_waitcnt vmcnt(34) lgkmcnt(1)
	v_sub_f32_e32 v164, v164, v180
	ds_bpermute_b32 v180, v0, v133 offset:60
	v_mul_f32_e32 v164, v165, v164
	v_pk_add_f32 v[2:3], v[2:3], v[182:183]
	s_waitcnt lgkmcnt(1)
	v_mul_f32_e32 v158, v158, v178
	ds_bpermute_b32 v178, v0, v131 offset:48
	s_waitcnt vmcnt(32) lgkmcnt(1)
	v_sub_f32_e32 v166, v166, v180
	ds_bpermute_b32 v180, v0, v133 offset:64
	v_mul_f32_e32 v166, v167, v166
	v_pk_add_f32 v[2:3], v[2:3], v[184:185]
	;; [unrolled: 8-line block ×6, first 2 shown]
	s_waitcnt lgkmcnt(1)
	v_mul_f32_e32 v168, v168, v178
	ds_bpermute_b32 v178, v0, v131 offset:68
	s_waitcnt vmcnt(22) lgkmcnt(1)
	v_sub_f32_e32 v176, v176, v180
	ds_bpermute_b32 v180, v0, v133 offset:84
	v_pk_add_f32 v[2:3], v[2:3], v[194:195]
	v_mul_f32_e32 v176, v177, v176
	s_waitcnt lgkmcnt(1)
	v_mul_f32_e32 v170, v170, v178
	ds_bpermute_b32 v178, v0, v131 offset:72
	v_pk_add_f32 v[2:3], v[2:3], v[196:197]
	v_pk_add_f32 v[2:3], v[2:3], v[198:199]
	;; [unrolled: 1-line block ×3, first 2 shown]
	s_waitcnt vmcnt(20) lgkmcnt(1)
	v_sub_f32_e32 v156, v156, v180
	s_waitcnt lgkmcnt(0)
	v_mul_f32_e32 v172, v172, v178
	ds_bpermute_b32 v178, v0, v131 offset:76
	v_pk_add_f32 v[2:3], v[2:3], v[158:159]
	ds_bpermute_b32 v158, v0, v133 offset:88
	v_mul_f32_e32 v156, v179, v156
	v_pk_add_f32 v[2:3], v[2:3], v[160:161]
	s_waitcnt lgkmcnt(1)
	v_mul_f32_e32 v174, v174, v178
	ds_bpermute_b32 v178, v0, v131 offset:80
	s_waitcnt vmcnt(18) lgkmcnt(1)
	v_sub_f32_e32 v138, v138, v158
	ds_bpermute_b32 v158, v0, v133 offset:92
	v_mul_f32_e32 v138, v139, v138
	v_pk_add_f32 v[2:3], v[2:3], v[162:163]
	s_waitcnt lgkmcnt(1)
	v_mul_f32_e32 v176, v176, v178
	ds_bpermute_b32 v178, v0, v131 offset:84
	s_waitcnt vmcnt(16) lgkmcnt(1)
	v_sub_f32_e32 v142, v142, v158
	;; [unrolled: 8-line block ×6, first 2 shown]
	ds_bpermute_b32 v158, v0, v133 offset:112
	v_mul_f32_e32 v150, v151, v150
	v_pk_add_f32 v[2:3], v[2:3], v[172:173]
	s_waitcnt lgkmcnt(1)
	v_mul_f32_e32 v146, v146, v156
	ds_bpermute_b32 v156, v0, v131 offset:104
	v_pk_add_f32 v[2:3], v[2:3], v[174:175]
	v_pk_add_f32 v[2:3], v[2:3], v[176:177]
	;; [unrolled: 1-line block ×3, first 2 shown]
	s_waitcnt vmcnt(6) lgkmcnt(1)
	v_sub_f32_e32 v152, v152, v158
	s_waitcnt lgkmcnt(0)
	v_mul_f32_e32 v148, v148, v156
	ds_bpermute_b32 v156, v0, v131 offset:108
	ds_bpermute_b32 v158, v0, v133 offset:116
	v_mul_f32_e32 v152, v153, v152
	v_pk_add_f32 v[2:3], v[2:3], v[138:139]
	ds_bpermute_b32 v139, v0, v133 offset:120
	s_waitcnt lgkmcnt(2)
	v_mul_f32_e32 v150, v150, v156
	ds_bpermute_b32 v156, v0, v131 offset:112
	v_pk_add_f32 v[2:3], v[2:3], v[142:143]
	v_pk_add_f32 v[2:3], v[2:3], v[144:145]
	ds_bpermute_b32 v138, v0, v131 offset:120
	v_pk_add_f32 v[2:3], v[2:3], v[146:147]
	s_waitcnt lgkmcnt(1)
	v_mul_f32_e32 v152, v152, v156
	ds_bpermute_b32 v156, v0, v131 offset:116
	s_waitcnt vmcnt(4)
	v_sub_f32_e32 v154, v154, v158
	v_pk_add_f32 v[2:3], v[2:3], v[148:149]
	v_mul_f32_e32 v154, v157, v154
	v_pk_add_f32 v[2:3], v[2:3], v[150:151]
	s_waitcnt vmcnt(2)
	v_sub_f32_e32 v135, v135, v139
	s_waitcnt lgkmcnt(0)
	v_mul_f32_e32 v156, v154, v156
	v_pk_add_f32 v[2:3], v[2:3], v[152:153]
	v_mul_f32_e32 v135, v155, v135
	v_pk_add_f32 v[2:3], v[2:3], v[156:157]
	;; [unrolled: 2-line block ×3, first 2 shown]
	ds_bpermute_b32 v131, v0, v131 offset:124
	ds_bpermute_b32 v133, v0, v133 offset:124
.LBB61_224:                             ;   in Loop: Header=BB61_148 Depth=1
	s_waitcnt vmcnt(0) lgkmcnt(0)
	v_sub_f32_e32 v2, v140, v133
	v_mul_f32_e32 v2, v141, v2
	v_mul_f32_e32 v140, v2, v131
	v_add_co_u32_e32 v128, vcc, s9, v128
	v_mov_b32_e32 v131, s7
	v_addc_co_u32_e32 v255, vcc, v255, v131, vcc
	v_add_co_u32_e32 v4, vcc, s10, v4
	v_mov_b32_e32 v131, s11
	v_addc_co_u32_e32 v5, vcc, v5, v131, vcc
	v_add_co_u32_e32 v6, vcc, s10, v6
	v_addc_co_u32_e32 v7, vcc, v7, v131, vcc
	v_add_co_u32_e32 v8, vcc, s10, v8
	v_addc_co_u32_e32 v9, vcc, v9, v131, vcc
	v_add_co_u32_e32 v10, vcc, s10, v10
	v_addc_co_u32_e32 v11, vcc, v11, v131, vcc
	v_add_co_u32_e32 v12, vcc, s10, v12
	v_addc_co_u32_e32 v13, vcc, v13, v131, vcc
	v_add_co_u32_e32 v14, vcc, s10, v14
	v_addc_co_u32_e32 v15, vcc, v15, v131, vcc
	v_add_co_u32_e32 v16, vcc, s10, v16
	v_addc_co_u32_e32 v17, vcc, v17, v131, vcc
	v_add_co_u32_e32 v18, vcc, s10, v18
	v_addc_co_u32_e32 v19, vcc, v19, v131, vcc
	v_add_co_u32_e32 v20, vcc, s10, v20
	v_addc_co_u32_e32 v21, vcc, v21, v131, vcc
	v_add_co_u32_e32 v22, vcc, s10, v22
	v_addc_co_u32_e32 v23, vcc, v23, v131, vcc
	v_add_co_u32_e32 v30, vcc, s10, v30
	v_addc_co_u32_e32 v31, vcc, v31, v131, vcc
	v_add_co_u32_e32 v42, vcc, s10, v42
	v_addc_co_u32_e32 v43, vcc, v43, v131, vcc
	v_add_co_u32_e32 v52, vcc, s10, v52
	v_addc_co_u32_e32 v53, vcc, v53, v131, vcc
	v_add_co_u32_e32 v56, vcc, s10, v56
	v_addc_co_u32_e32 v57, vcc, v57, v131, vcc
	v_add_co_u32_e32 v60, vcc, s10, v60
	v_addc_co_u32_e32 v61, vcc, v61, v131, vcc
	v_add_co_u32_e32 v64, vcc, s10, v64
	v_addc_co_u32_e32 v65, vcc, v65, v131, vcc
	v_add_co_u32_e32 v68, vcc, s10, v68
	v_addc_co_u32_e32 v69, vcc, v69, v131, vcc
	v_add_co_u32_e32 v72, vcc, s10, v72
	v_addc_co_u32_e32 v73, vcc, v73, v131, vcc
	v_add_co_u32_e32 v76, vcc, s10, v76
	v_addc_co_u32_e32 v77, vcc, v77, v131, vcc
	v_add_co_u32_e32 v80, vcc, s10, v80
	v_addc_co_u32_e32 v81, vcc, v81, v131, vcc
	v_add_co_u32_e32 v84, vcc, s10, v84
	v_addc_co_u32_e32 v85, vcc, v85, v131, vcc
	v_add_co_u32_e32 v88, vcc, s10, v88
	v_addc_co_u32_e32 v89, vcc, v89, v131, vcc
	v_add_co_u32_e32 v92, vcc, s10, v92
	v_addc_co_u32_e32 v93, vcc, v93, v131, vcc
	v_add_co_u32_e32 v96, vcc, s10, v96
	v_addc_co_u32_e32 v97, vcc, v97, v131, vcc
	v_add_co_u32_e32 v100, vcc, s10, v100
	v_addc_co_u32_e32 v101, vcc, v101, v131, vcc
	v_add_co_u32_e32 v104, vcc, s10, v104
	v_addc_co_u32_e32 v105, vcc, v105, v131, vcc
	v_add_co_u32_e32 v108, vcc, s10, v108
	v_addc_co_u32_e32 v109, vcc, v109, v131, vcc
	v_add_co_u32_e32 v112, vcc, s10, v112
	v_addc_co_u32_e32 v113, vcc, v113, v131, vcc
	v_add_co_u32_e32 v116, vcc, s10, v116
	v_addc_co_u32_e32 v117, vcc, v117, v131, vcc
	v_add_co_u32_e32 v120, vcc, s10, v120
	v_addc_co_u32_e32 v121, vcc, v121, v131, vcc
	v_add_co_u32_e32 v124, vcc, s10, v124
	v_addc_co_u32_e32 v125, vcc, v125, v131, vcc
	v_add_co_u32_e32 v130, vcc, s10, v130
	v_addc_co_u32_e32 v1, vcc, v1, v131, vcc
	v_add_co_u32_e32 v24, vcc, s10, v24
	v_addc_co_u32_e32 v25, vcc, v25, v131, vcc
	v_add_co_u32_e32 v26, vcc, s10, v26
	v_addc_co_u32_e32 v27, vcc, v27, v131, vcc
	v_add_co_u32_e32 v28, vcc, s10, v28
	v_addc_co_u32_e32 v29, vcc, v29, v131, vcc
	v_add_co_u32_e32 v32, vcc, s10, v32
	v_addc_co_u32_e32 v33, vcc, v33, v131, vcc
	v_add_co_u32_e32 v34, vcc, s10, v34
	v_addc_co_u32_e32 v35, vcc, v35, v131, vcc
	v_add_co_u32_e32 v36, vcc, s10, v36
	v_addc_co_u32_e32 v37, vcc, v37, v131, vcc
	v_add_co_u32_e32 v38, vcc, s10, v38
	v_addc_co_u32_e32 v39, vcc, v39, v131, vcc
	v_add_co_u32_e32 v40, vcc, s10, v40
	v_addc_co_u32_e32 v41, vcc, v41, v131, vcc
	v_add_co_u32_e32 v44, vcc, s10, v44
	v_addc_co_u32_e32 v45, vcc, v45, v131, vcc
	v_add_co_u32_e32 v46, vcc, s10, v46
	v_addc_co_u32_e32 v47, vcc, v47, v131, vcc
	v_add_co_u32_e32 v48, vcc, s10, v48
	v_addc_co_u32_e32 v49, vcc, v49, v131, vcc
	v_add_co_u32_e32 v50, vcc, s10, v50
	v_addc_co_u32_e32 v51, vcc, v51, v131, vcc
	v_add_co_u32_e32 v54, vcc, s10, v54
	v_addc_co_u32_e32 v55, vcc, v55, v131, vcc
	v_add_co_u32_e32 v58, vcc, s10, v58
	v_addc_co_u32_e32 v59, vcc, v59, v131, vcc
	v_add_co_u32_e32 v62, vcc, s10, v62
	v_addc_co_u32_e32 v63, vcc, v63, v131, vcc
	v_add_co_u32_e32 v66, vcc, s10, v66
	v_addc_co_u32_e32 v67, vcc, v67, v131, vcc
	v_add_co_u32_e32 v70, vcc, s10, v70
	v_addc_co_u32_e32 v71, vcc, v71, v131, vcc
	v_add_co_u32_e32 v74, vcc, s10, v74
	v_addc_co_u32_e32 v75, vcc, v75, v131, vcc
	v_add_co_u32_e32 v78, vcc, s10, v78
	v_addc_co_u32_e32 v79, vcc, v79, v131, vcc
	v_add_co_u32_e32 v82, vcc, s10, v82
	v_addc_co_u32_e32 v83, vcc, v83, v131, vcc
	v_add_co_u32_e32 v86, vcc, s10, v86
	v_addc_co_u32_e32 v87, vcc, v87, v131, vcc
	v_add_co_u32_e32 v90, vcc, s10, v90
	v_addc_co_u32_e32 v91, vcc, v91, v131, vcc
	v_add_co_u32_e32 v94, vcc, s10, v94
	v_addc_co_u32_e32 v95, vcc, v95, v131, vcc
	v_add_co_u32_e32 v98, vcc, s10, v98
	v_addc_co_u32_e32 v99, vcc, v99, v131, vcc
	v_add_co_u32_e32 v102, vcc, s10, v102
	v_addc_co_u32_e32 v103, vcc, v103, v131, vcc
	v_add_co_u32_e32 v106, vcc, s10, v106
	v_addc_co_u32_e32 v107, vcc, v107, v131, vcc
	v_add_co_u32_e32 v110, vcc, s10, v110
	v_addc_co_u32_e32 v111, vcc, v111, v131, vcc
	v_add_co_u32_e32 v114, vcc, s10, v114
	v_addc_co_u32_e32 v115, vcc, v115, v131, vcc
	v_add_co_u32_e32 v118, vcc, s10, v118
	v_addc_co_u32_e32 v119, vcc, v119, v131, vcc
	v_add_co_u32_e32 v122, vcc, s10, v122
	v_addc_co_u32_e32 v123, vcc, v123, v131, vcc
	v_add_co_u32_e32 v126, vcc, s10, v126
	v_addc_co_u32_e32 v127, vcc, v127, v131, vcc
	v_add_co_u32_e32 v132, vcc, s10, v132
	v_addc_co_u32_e32 v129, vcc, v129, v131, vcc
	v_accvgpr_read_b32 v138, a2
	v_add_co_u32_e32 v138, vcc, s10, v138
	v_accvgpr_read_b32 v133, a1
	v_accvgpr_write_b32 a2, v138
	v_addc_co_u32_e32 v133, vcc, v133, v131, vcc
	v_accvgpr_read_b32 v138, a4
	v_accvgpr_write_b32 a1, v133
	v_add_co_u32_e32 v138, vcc, s10, v138
	v_accvgpr_read_b32 v133, a3
	v_accvgpr_write_b32 a4, v138
	v_addc_co_u32_e32 v133, vcc, v133, v131, vcc
	v_accvgpr_read_b32 v138, a6
	v_accvgpr_write_b32 a3, v133
	;; [unrolled: 6-line block ×36, first 2 shown]
	v_add_co_u32_e32 v138, vcc, s10, v138
	v_accvgpr_read_b32 v133, a73
	v_accvgpr_write_b32 a74, v138
	v_addc_co_u32_e32 v133, vcc, v133, v131, vcc
	v_accvgpr_read_b32 v138, a76
	v_add_co_u32_e32 v138, vcc, s10, v138
	v_addc_co_u32_e32 v205, vcc, v205, v131, vcc
	v_add_co_u32_e32 v210, vcc, s10, v210
	v_addc_co_u32_e32 v207, vcc, v207, v131, vcc
	v_accvgpr_write_b32 a73, v133
	v_add_co_u32_e32 v212, vcc, s10, v212
	v_accvgpr_read_b32 v133, a75
	v_addc_co_u32_e32 v133, vcc, v133, v131, vcc
	v_add_co_u32_e32 v214, vcc, s10, v214
	v_addc_co_u32_e32 v211, vcc, v211, v131, vcc
	v_add_co_u32_e32 v216, vcc, s10, v216
	;; [unrolled: 2-line block ×21, first 2 shown]
	v_addc_co_u32_e32 v251, vcc, v251, v131, vcc
	s_add_u32 s18, s18, s9
	v_add_co_u32_e32 v134, vcc, s10, v134
	s_addc_u32 s19, s19, 0
	v_accvgpr_write_b32 a76, v138
	v_addc_co_u32_e32 v253, vcc, v253, v131, vcc
	v_pk_mov_b32 v[138:139], s[12:13], s[12:13] op_sel:[0,1]
	s_add_u32 s16, s16, s9
	v_cmp_ge_i64_e32 vcc, s[18:19], v[138:139]
	v_pk_add_f32 v[2:3], v[142:143], v[140:141]
	s_addc_u32 s17, s17, 0
	s_cbranch_vccnz .LBB61_226
; %bb.225:                              ;   in Loop: Header=BB61_148 Depth=1
	v_accvgpr_write_b32 a75, v133
	s_branch .LBB61_148
.LBB61_226:
	v_accvgpr_read_b32 v255, a0
.LBB61_227:
	s_mov_b32 s7, 0
	s_lshl_b64 s[0:1], s[6:7], 5
	v_and_b32_e32 v0, 0x3ff, v255
	v_or_b32_e32 v6, s0, v0
	v_mov_b32_e32 v7, s1
	v_cmp_gt_i64_e32 vcc, s[14:15], v[6:7]
	s_and_saveexec_b64 s[0:1], vcc
	s_cbranch_execz .LBB61_232
; %bb.228:
	s_load_dword s6, s[4:5], 0x4c
	s_load_dwordx4 s[0:3], s[4:5], 0x30
	v_bfe_u32 v0, v255, 10, 10
	v_mov_b32_e32 v1, 0
	v_mov_b32_e32 v4, s8
	s_waitcnt lgkmcnt(0)
	s_lshr_b32 s4, s6, 16
	v_mad_u64_u32 v[4:5], s[4:5], s4, v4, v[0:1]
	s_cmp_eq_u64 s[0:1], 0
	v_mul_lo_u32 v5, v5, s14
	v_mul_lo_u32 v8, v4, s15
	v_lshlrev_b64 v[0:1], 2, v[6:7]
	s_cbranch_scc1 .LBB61_230
; %bb.229:
	v_mad_u64_u32 v[6:7], s[4:5], v4, s14, 0
	v_add3_u32 v7, v7, v8, v5
	v_lshlrev_b64 v[6:7], 2, v[6:7]
	v_mov_b32_e32 v9, s1
	v_add_co_u32_e32 v6, vcc, s0, v6
	v_addc_co_u32_e32 v7, vcc, v9, v7, vcc
	v_add_co_u32_e32 v6, vcc, v6, v0
	v_addc_co_u32_e32 v7, vcc, v7, v1, vcc
	global_store_dword v[6:7], v2, off
.LBB61_230:
	s_cmp_eq_u64 s[2:3], 0
	s_cbranch_scc1 .LBB61_232
; %bb.231:
	v_mad_u64_u32 v[6:7], s[0:1], v4, s14, 0
	v_add3_u32 v7, v7, v8, v5
	v_lshlrev_b64 v[4:5], 2, v[6:7]
	v_mov_b32_e32 v2, s3
	v_add_co_u32_e32 v4, vcc, s2, v4
	v_addc_co_u32_e32 v2, vcc, v2, v5, vcc
	v_add_co_u32_e32 v0, vcc, v4, v0
	v_addc_co_u32_e32 v1, vcc, v2, v1, vcc
	global_store_dword v[0:1], v3, off
.LBB61_232:
	s_endpgm
	.section	.rodata,"a",@progbits
	.p2align	6, 0x0
	.amdhsa_kernel _ZN2at6native12_GLOBAL__N_135GammaBetaBackwardCUDAKernelTemplateIffLj32ELj1ELj32ELb1ELb0ELb0EEEvllPKT_S5_PKT0_S8_PS3_S9_
		.amdhsa_group_segment_fixed_size 0
		.amdhsa_private_segment_fixed_size 0
		.amdhsa_kernarg_size 320
		.amdhsa_user_sgpr_count 6
		.amdhsa_user_sgpr_private_segment_buffer 1
		.amdhsa_user_sgpr_dispatch_ptr 0
		.amdhsa_user_sgpr_queue_ptr 0
		.amdhsa_user_sgpr_kernarg_segment_ptr 1
		.amdhsa_user_sgpr_dispatch_id 0
		.amdhsa_user_sgpr_flat_scratch_init 0
		.amdhsa_user_sgpr_kernarg_preload_length 0
		.amdhsa_user_sgpr_kernarg_preload_offset 0
		.amdhsa_user_sgpr_private_segment_size 0
		.amdhsa_uses_dynamic_stack 0
		.amdhsa_system_sgpr_private_segment_wavefront_offset 0
		.amdhsa_system_sgpr_workgroup_id_x 1
		.amdhsa_system_sgpr_workgroup_id_y 1
		.amdhsa_system_sgpr_workgroup_id_z 0
		.amdhsa_system_sgpr_workgroup_info 0
		.amdhsa_system_vgpr_workitem_id 1
		.amdhsa_next_free_vgpr 334
		.amdhsa_next_free_sgpr 38
		.amdhsa_accum_offset 256
		.amdhsa_reserve_vcc 1
		.amdhsa_reserve_flat_scratch 0
		.amdhsa_float_round_mode_32 0
		.amdhsa_float_round_mode_16_64 0
		.amdhsa_float_denorm_mode_32 3
		.amdhsa_float_denorm_mode_16_64 3
		.amdhsa_dx10_clamp 1
		.amdhsa_ieee_mode 1
		.amdhsa_fp16_overflow 0
		.amdhsa_tg_split 0
		.amdhsa_exception_fp_ieee_invalid_op 0
		.amdhsa_exception_fp_denorm_src 0
		.amdhsa_exception_fp_ieee_div_zero 0
		.amdhsa_exception_fp_ieee_overflow 0
		.amdhsa_exception_fp_ieee_underflow 0
		.amdhsa_exception_fp_ieee_inexact 0
		.amdhsa_exception_int_div_zero 0
	.end_amdhsa_kernel
	.section	.text._ZN2at6native12_GLOBAL__N_135GammaBetaBackwardCUDAKernelTemplateIffLj32ELj1ELj32ELb1ELb0ELb0EEEvllPKT_S5_PKT0_S8_PS3_S9_,"axG",@progbits,_ZN2at6native12_GLOBAL__N_135GammaBetaBackwardCUDAKernelTemplateIffLj32ELj1ELj32ELb1ELb0ELb0EEEvllPKT_S5_PKT0_S8_PS3_S9_,comdat
.Lfunc_end61:
	.size	_ZN2at6native12_GLOBAL__N_135GammaBetaBackwardCUDAKernelTemplateIffLj32ELj1ELj32ELb1ELb0ELb0EEEvllPKT_S5_PKT0_S8_PS3_S9_, .Lfunc_end61-_ZN2at6native12_GLOBAL__N_135GammaBetaBackwardCUDAKernelTemplateIffLj32ELj1ELj32ELb1ELb0ELb0EEEvllPKT_S5_PKT0_S8_PS3_S9_
                                        ; -- End function
	.section	.AMDGPU.csdata,"",@progbits
; Kernel info:
; codeLenInByte = 24388
; NumSgprs: 42
; NumVgprs: 256
; NumAgprs: 78
; TotalNumVgprs: 334
; ScratchSize: 0
; MemoryBound: 0
; FloatMode: 240
; IeeeMode: 1
; LDSByteSize: 0 bytes/workgroup (compile time only)
; SGPRBlocks: 5
; VGPRBlocks: 41
; NumSGPRsForWavesPerEU: 42
; NumVGPRsForWavesPerEU: 334
; AccumOffset: 256
; Occupancy: 1
; WaveLimiterHint : 0
; COMPUTE_PGM_RSRC2:SCRATCH_EN: 0
; COMPUTE_PGM_RSRC2:USER_SGPR: 6
; COMPUTE_PGM_RSRC2:TRAP_HANDLER: 0
; COMPUTE_PGM_RSRC2:TGID_X_EN: 1
; COMPUTE_PGM_RSRC2:TGID_Y_EN: 1
; COMPUTE_PGM_RSRC2:TGID_Z_EN: 0
; COMPUTE_PGM_RSRC2:TIDIG_COMP_CNT: 1
; COMPUTE_PGM_RSRC3_GFX90A:ACCUM_OFFSET: 63
; COMPUTE_PGM_RSRC3_GFX90A:TG_SPLIT: 0
	.section	.text._ZN2at6native12_GLOBAL__N_135GammaBetaBackwardCUDAKernelTemplateIffLj32ELj1ELj8ELb1ELb1ELb0EEEvllPKT_S5_PKT0_S8_PS3_S9_,"axG",@progbits,_ZN2at6native12_GLOBAL__N_135GammaBetaBackwardCUDAKernelTemplateIffLj32ELj1ELj8ELb1ELb1ELb0EEEvllPKT_S5_PKT0_S8_PS3_S9_,comdat
	.globl	_ZN2at6native12_GLOBAL__N_135GammaBetaBackwardCUDAKernelTemplateIffLj32ELj1ELj8ELb1ELb1ELb0EEEvllPKT_S5_PKT0_S8_PS3_S9_ ; -- Begin function _ZN2at6native12_GLOBAL__N_135GammaBetaBackwardCUDAKernelTemplateIffLj32ELj1ELj8ELb1ELb1ELb0EEEvllPKT_S5_PKT0_S8_PS3_S9_
	.p2align	8
	.type	_ZN2at6native12_GLOBAL__N_135GammaBetaBackwardCUDAKernelTemplateIffLj32ELj1ELj8ELb1ELb1ELb0EEEvllPKT_S5_PKT0_S8_PS3_S9_,@function
_ZN2at6native12_GLOBAL__N_135GammaBetaBackwardCUDAKernelTemplateIffLj32ELj1ELj8ELb1ELb1ELb0EEEvllPKT_S5_PKT0_S8_PS3_S9_: ; @_ZN2at6native12_GLOBAL__N_135GammaBetaBackwardCUDAKernelTemplateIffLj32ELj1ELj8ELb1ELb1ELb0EEEvllPKT_S5_PKT0_S8_PS3_S9_
; %bb.0:
	s_load_dwordx4 s[16:19], s[4:5], 0x0
	s_lshl_b32 s24, s7, 3
	s_mov_b32 s25, 0
	s_mov_b32 s2, s7
	v_bfe_u32 v10, v0, 10, 10
	s_waitcnt lgkmcnt(0)
	v_pk_mov_b32 v[2:3], s[16:17], s[16:17] op_sel:[0,1]
	v_cmp_lt_i64_e32 vcc, s[24:25], v[2:3]
	s_cbranch_vccnz .LBB62_2
; %bb.1:
	s_add_u32 s26, s4, 64
	s_addc_u32 s27, s5, 0
	s_mov_b64 s[0:1], 0
	v_bfe_u32 v2, v0, 10, 10
	s_branch .LBB62_3
.LBB62_2:
	s_mov_b64 s[0:1], -1
                                        ; implicit-def: $sgpr26_sgpr27
                                        ; implicit-def: $vgpr2
.LBB62_3:
	s_load_dwordx4 s[20:23], s[4:5], 0x30
	v_and_b32_e32 v11, 0x3ff, v0
	s_andn2_b64 vcc, exec, s[0:1]
	v_mov_b32_e32 v1, s25
	v_mov_b32_e32 v0, s25
	s_cbranch_vccnz .LBB62_11
; %bb.4:
	s_load_dword s0, s[4:5], 0x4c
	s_load_dword s3, s[4:5], 0x44
	s_load_dwordx8 s[8:15], s[4:5], 0x10
	v_mbcnt_lo_u32_b32 v4, -1, 0
	s_add_u32 s26, s4, 64
	v_mbcnt_hi_u32_b32 v4, -1, v4
	s_addc_u32 s27, s5, 0
	s_waitcnt lgkmcnt(0)
	s_and_b32 s0, s0, 0xffff
	v_lshlrev_b32_e32 v3, 3, v10
	v_lshlrev_b32_e32 v4, 2, v4
	v_mad_u32_u24 v0, v10, s0, v11
	v_and_b32_e32 v12, 0x100, v4
	v_mov_b32_e32 v4, s25
	v_add_co_u32_e32 v6, vcc, s24, v3
	v_and_b32_e32 v2, 63, v0
	v_addc_co_u32_e32 v7, vcc, 0, v4, vcc
	v_cmp_gt_u32_e64 s[0:1], 8, v2
	v_add_co_u32_e32 v2, vcc, v6, v2
	s_lshl_b32 s4, s3, 3
	v_addc_co_u32_e32 v3, vcc, 0, v7, vcc
	v_mul_lo_u32 v8, s19, v6
	v_mul_lo_u32 v9, s18, v7
	v_mad_u64_u32 v[6:7], s[30:31], s18, v6, 0
	v_mov_b32_e32 v1, 0
	v_lshl_add_u32 v0, s6, 5, v11
	v_add3_u32 v7, v7, v9, v8
	s_mul_i32 s3, s19, s4
	s_mul_hi_u32 s7, s18, s4
	s_mov_b32 s5, 0
	v_lshlrev_b64 v[6:7], 2, v[6:7]
	v_lshlrev_b64 v[8:9], 2, v[0:1]
	s_add_i32 s31, s7, s3
	s_mul_i32 s30, s18, s4
	s_lshl_b64 s[28:29], s[4:5], 2
	v_add_co_u32_e32 v6, vcc, v6, v8
	s_lshl_b64 s[30:31], s[30:31], 2
	s_lshl_b64 s[34:35], s[18:19], 2
	v_or_b32_e32 v13, 4, v12
	v_or_b32_e32 v14, 8, v12
	v_or_b32_e32 v15, 12, v12
	v_or_b32_e32 v16, 16, v12
	v_or_b32_e32 v17, 20, v12
	v_or_b32_e32 v18, 24, v12
	v_or_b32_e32 v19, 28, v12
	v_lshlrev_b64 v[4:5], 2, v[2:3]
	v_addc_co_u32_e32 v7, vcc, v7, v9, vcc
	v_mov_b32_e32 v20, s9
	v_mov_b32_e32 v21, s11
	;; [unrolled: 1-line block ×6, first 2 shown]
	v_pk_mov_b32 v[8:9], s[16:17], s[16:17] op_sel:[0,1]
	v_mov_b32_e32 v0, v1
	s_branch .LBB62_7
.LBB62_5:                               ;   in Loop: Header=BB62_7 Depth=1
	s_or_b64 exec, exec, s[38:39]
.LBB62_6:                               ;   in Loop: Header=BB62_7 Depth=1
	s_or_b64 exec, exec, s[36:37]
	v_add_co_u32_e32 v28, vcc, s8, v6
	v_addc_co_u32_e32 v29, vcc, v20, v7, vcc
	v_add_co_u32_e32 v32, vcc, s10, v6
	v_addc_co_u32_e32 v33, vcc, v21, v7, vcc
	global_load_dword v31, v[28:29], off
	v_add_co_u32_e32 v28, vcc, s34, v28
	v_addc_co_u32_e32 v29, vcc, v29, v22, vcc
	global_load_dword v30, v[32:33], off
	;; [unrolled: 3-line block ×13, first 2 shown]
	global_load_dword v45, v[28:29], off
	v_add_co_u32_e32 v28, vcc, s34, v28
	v_addc_co_u32_e32 v29, vcc, v29, v22, vcc
	v_add_co_u32_e32 v32, vcc, s34, v32
	v_addc_co_u32_e32 v33, vcc, v33, v22, vcc
	global_load_dword v46, v[32:33], off
	global_load_dword v47, v[28:29], off
	s_waitcnt vmcnt(17)
	ds_bpermute_b32 v28, v12, v27
	s_waitcnt vmcnt(16)
	ds_bpermute_b32 v29, v12, v26
	ds_bpermute_b32 v32, v13, v27
	;; [unrolled: 1-line block ×3, first 2 shown]
	v_add_co_u32_e32 v4, vcc, s28, v4
	v_addc_co_u32_e32 v5, vcc, v5, v23, vcc
	v_add_co_u32_e32 v2, vcc, s4, v2
	v_addc_co_u32_e32 v3, vcc, v3, v24, vcc
	s_add_u32 s24, s24, s4
	v_add_co_u32_e32 v6, vcc, s30, v6
	s_waitcnt vmcnt(14) lgkmcnt(3)
	v_sub_f32_e32 v28, v30, v28
	v_mul_f32_e32 v28, v31, v28
	s_waitcnt lgkmcnt(2)
	v_mul_f32_e32 v30, v28, v29
	ds_bpermute_b32 v28, v13, v26
	ds_bpermute_b32 v29, v14, v27
	v_pk_add_f32 v[0:1], v[0:1], v[30:31]
	s_addc_u32 s25, s25, 0
	v_addc_co_u32_e32 v7, vcc, v7, v25, vcc
	v_cmp_lt_i64_e32 vcc, s[24:25], v[8:9]
	s_waitcnt vmcnt(12) lgkmcnt(3)
	v_sub_f32_e32 v32, v34, v32
	v_mul_f32_e32 v32, v35, v32
	s_waitcnt lgkmcnt(1)
	v_mul_f32_e32 v34, v32, v28
	ds_bpermute_b32 v32, v16, v27
	v_pk_add_f32 v[0:1], v[0:1], v[34:35]
	s_and_b64 vcc, exec, vcc
	s_waitcnt vmcnt(10) lgkmcnt(1)
	v_sub_f32_e32 v28, v36, v29
	ds_bpermute_b32 v29, v15, v27
	v_mul_f32_e32 v28, v37, v28
	v_mul_f32_e32 v36, v28, v33
	ds_bpermute_b32 v28, v15, v26
	ds_bpermute_b32 v33, v16, v26
	v_pk_add_f32 v[0:1], v[0:1], v[36:37]
	s_waitcnt vmcnt(8) lgkmcnt(2)
	v_sub_f32_e32 v29, v38, v29
	v_mul_f32_e32 v29, v39, v29
	s_waitcnt lgkmcnt(1)
	v_mul_f32_e32 v38, v29, v28
	ds_bpermute_b32 v29, v17, v27
	v_pk_add_f32 v[0:1], v[0:1], v[38:39]
	s_waitcnt vmcnt(6)
	v_sub_f32_e32 v28, v40, v32
	v_mul_f32_e32 v28, v41, v28
	s_waitcnt lgkmcnt(1)
	v_mul_f32_e32 v40, v28, v33
	ds_bpermute_b32 v28, v17, v26
	ds_bpermute_b32 v32, v18, v27
	;; [unrolled: 1-line block ×5, first 2 shown]
	v_pk_add_f32 v[0:1], v[0:1], v[40:41]
	s_waitcnt vmcnt(4) lgkmcnt(5)
	v_sub_f32_e32 v29, v42, v29
	v_mul_f32_e32 v29, v43, v29
	s_waitcnt lgkmcnt(4)
	v_mul_f32_e32 v42, v29, v28
	v_pk_add_f32 v[0:1], v[0:1], v[42:43]
	s_waitcnt vmcnt(3) lgkmcnt(3)
	v_sub_f32_e32 v28, v44, v32
	s_waitcnt vmcnt(2)
	v_mul_f32_e32 v28, v45, v28
	s_waitcnt lgkmcnt(1)
	v_mul_f32_e32 v44, v28, v33
	v_pk_add_f32 v[0:1], v[0:1], v[44:45]
	s_waitcnt vmcnt(1)
	v_sub_f32_e32 v27, v46, v27
	s_waitcnt vmcnt(0)
	v_mul_f32_e32 v27, v47, v27
	s_waitcnt lgkmcnt(0)
	v_mul_f32_e32 v46, v27, v26
	v_pk_add_f32 v[0:1], v[0:1], v[46:47]
	s_cbranch_vccz .LBB62_10
.LBB62_7:                               ; =>This Inner Loop Header: Depth=1
	v_mov_b32_e32 v26, 0
	v_mov_b32_e32 v27, 0
	s_and_saveexec_b64 s[36:37], s[0:1]
	s_cbranch_execz .LBB62_6
; %bb.8:                                ;   in Loop: Header=BB62_7 Depth=1
	v_cmp_gt_i64_e32 vcc, s[16:17], v[2:3]
	v_mov_b32_e32 v27, 0
	v_mov_b32_e32 v26, 0
	s_and_saveexec_b64 s[38:39], vcc
	s_cbranch_execz .LBB62_5
; %bb.9:                                ;   in Loop: Header=BB62_7 Depth=1
	v_mov_b32_e32 v26, s15
	v_add_co_u32_e32 v28, vcc, s14, v4
	v_addc_co_u32_e32 v29, vcc, v26, v5, vcc
	v_mov_b32_e32 v26, s13
	v_add_co_u32_e32 v30, vcc, s12, v4
	v_addc_co_u32_e32 v31, vcc, v26, v5, vcc
	global_load_dword v27, v[30:31], off
	global_load_dword v26, v[28:29], off
	s_branch .LBB62_5
.LBB62_10:
	v_mov_b32_e32 v2, v10
.LBB62_11:
	s_mov_b32 s7, 0
	s_lshl_b64 s[0:1], s[6:7], 5
	v_mov_b32_e32 v4, s1
	s_load_dword s1, s[26:27], 0xc
	v_add_co_u32_e32 v8, vcc, s0, v11
	v_mov_b32_e32 v3, 0
	v_addc_co_u32_e32 v9, vcc, 0, v4, vcc
	s_waitcnt lgkmcnt(0)
	s_lshr_b32 s0, s1, 16
	v_mov_b32_e32 v4, s2
	v_mad_u64_u32 v[4:5], s[0:1], s0, v4, v[2:3]
	s_cmp_eq_u64 s[20:21], 0
	v_mul_lo_u32 v5, v5, s18
	v_mul_lo_u32 v6, v4, s19
	v_lshlrev_b64 v[2:3], 2, v[8:9]
	s_cbranch_scc1 .LBB62_13
; %bb.12:
	v_mad_u64_u32 v[8:9], s[0:1], v4, s18, 0
	v_add3_u32 v9, v9, v6, v5
	v_lshlrev_b64 v[8:9], 2, v[8:9]
	v_mov_b32_e32 v7, s21
	v_add_co_u32_e32 v8, vcc, s20, v8
	v_addc_co_u32_e32 v7, vcc, v7, v9, vcc
	v_add_co_u32_e32 v8, vcc, v8, v2
	v_addc_co_u32_e32 v9, vcc, v7, v3, vcc
	global_store_dword v[8:9], v0, off
.LBB62_13:
	s_cmp_eq_u64 s[22:23], 0
	s_cbranch_scc1 .LBB62_15
; %bb.14:
	v_mad_u64_u32 v[8:9], s[0:1], v4, s18, 0
	v_add3_u32 v9, v9, v6, v5
	v_lshlrev_b64 v[4:5], 2, v[8:9]
	v_mov_b32_e32 v0, s23
	v_add_co_u32_e32 v4, vcc, s22, v4
	v_addc_co_u32_e32 v0, vcc, v0, v5, vcc
	v_add_co_u32_e32 v2, vcc, v4, v2
	v_addc_co_u32_e32 v3, vcc, v0, v3, vcc
	global_store_dword v[2:3], v1, off
.LBB62_15:
	s_endpgm
	.section	.rodata,"a",@progbits
	.p2align	6, 0x0
	.amdhsa_kernel _ZN2at6native12_GLOBAL__N_135GammaBetaBackwardCUDAKernelTemplateIffLj32ELj1ELj8ELb1ELb1ELb0EEEvllPKT_S5_PKT0_S8_PS3_S9_
		.amdhsa_group_segment_fixed_size 0
		.amdhsa_private_segment_fixed_size 0
		.amdhsa_kernarg_size 320
		.amdhsa_user_sgpr_count 6
		.amdhsa_user_sgpr_private_segment_buffer 1
		.amdhsa_user_sgpr_dispatch_ptr 0
		.amdhsa_user_sgpr_queue_ptr 0
		.amdhsa_user_sgpr_kernarg_segment_ptr 1
		.amdhsa_user_sgpr_dispatch_id 0
		.amdhsa_user_sgpr_flat_scratch_init 0
		.amdhsa_user_sgpr_kernarg_preload_length 0
		.amdhsa_user_sgpr_kernarg_preload_offset 0
		.amdhsa_user_sgpr_private_segment_size 0
		.amdhsa_uses_dynamic_stack 0
		.amdhsa_system_sgpr_private_segment_wavefront_offset 0
		.amdhsa_system_sgpr_workgroup_id_x 1
		.amdhsa_system_sgpr_workgroup_id_y 1
		.amdhsa_system_sgpr_workgroup_id_z 0
		.amdhsa_system_sgpr_workgroup_info 0
		.amdhsa_system_vgpr_workitem_id 1
		.amdhsa_next_free_vgpr 48
		.amdhsa_next_free_sgpr 40
		.amdhsa_accum_offset 48
		.amdhsa_reserve_vcc 1
		.amdhsa_reserve_flat_scratch 0
		.amdhsa_float_round_mode_32 0
		.amdhsa_float_round_mode_16_64 0
		.amdhsa_float_denorm_mode_32 3
		.amdhsa_float_denorm_mode_16_64 3
		.amdhsa_dx10_clamp 1
		.amdhsa_ieee_mode 1
		.amdhsa_fp16_overflow 0
		.amdhsa_tg_split 0
		.amdhsa_exception_fp_ieee_invalid_op 0
		.amdhsa_exception_fp_denorm_src 0
		.amdhsa_exception_fp_ieee_div_zero 0
		.amdhsa_exception_fp_ieee_overflow 0
		.amdhsa_exception_fp_ieee_underflow 0
		.amdhsa_exception_fp_ieee_inexact 0
		.amdhsa_exception_int_div_zero 0
	.end_amdhsa_kernel
	.section	.text._ZN2at6native12_GLOBAL__N_135GammaBetaBackwardCUDAKernelTemplateIffLj32ELj1ELj8ELb1ELb1ELb0EEEvllPKT_S5_PKT0_S8_PS3_S9_,"axG",@progbits,_ZN2at6native12_GLOBAL__N_135GammaBetaBackwardCUDAKernelTemplateIffLj32ELj1ELj8ELb1ELb1ELb0EEEvllPKT_S5_PKT0_S8_PS3_S9_,comdat
.Lfunc_end62:
	.size	_ZN2at6native12_GLOBAL__N_135GammaBetaBackwardCUDAKernelTemplateIffLj32ELj1ELj8ELb1ELb1ELb0EEEvllPKT_S5_PKT0_S8_PS3_S9_, .Lfunc_end62-_ZN2at6native12_GLOBAL__N_135GammaBetaBackwardCUDAKernelTemplateIffLj32ELj1ELj8ELb1ELb1ELb0EEEvllPKT_S5_PKT0_S8_PS3_S9_
                                        ; -- End function
	.section	.AMDGPU.csdata,"",@progbits
; Kernel info:
; codeLenInByte = 1360
; NumSgprs: 44
; NumVgprs: 48
; NumAgprs: 0
; TotalNumVgprs: 48
; ScratchSize: 0
; MemoryBound: 0
; FloatMode: 240
; IeeeMode: 1
; LDSByteSize: 0 bytes/workgroup (compile time only)
; SGPRBlocks: 5
; VGPRBlocks: 5
; NumSGPRsForWavesPerEU: 44
; NumVGPRsForWavesPerEU: 48
; AccumOffset: 48
; Occupancy: 8
; WaveLimiterHint : 0
; COMPUTE_PGM_RSRC2:SCRATCH_EN: 0
; COMPUTE_PGM_RSRC2:USER_SGPR: 6
; COMPUTE_PGM_RSRC2:TRAP_HANDLER: 0
; COMPUTE_PGM_RSRC2:TGID_X_EN: 1
; COMPUTE_PGM_RSRC2:TGID_Y_EN: 1
; COMPUTE_PGM_RSRC2:TGID_Z_EN: 0
; COMPUTE_PGM_RSRC2:TIDIG_COMP_CNT: 1
; COMPUTE_PGM_RSRC3_GFX90A:ACCUM_OFFSET: 11
; COMPUTE_PGM_RSRC3_GFX90A:TG_SPLIT: 0
	.section	.text._ZN2at6native12_GLOBAL__N_135GammaBetaBackwardCUDAKernelTemplateIffLj32ELj1ELj8ELb1ELb0ELb0EEEvllPKT_S5_PKT0_S8_PS3_S9_,"axG",@progbits,_ZN2at6native12_GLOBAL__N_135GammaBetaBackwardCUDAKernelTemplateIffLj32ELj1ELj8ELb1ELb0ELb0EEEvllPKT_S5_PKT0_S8_PS3_S9_,comdat
	.globl	_ZN2at6native12_GLOBAL__N_135GammaBetaBackwardCUDAKernelTemplateIffLj32ELj1ELj8ELb1ELb0ELb0EEEvllPKT_S5_PKT0_S8_PS3_S9_ ; -- Begin function _ZN2at6native12_GLOBAL__N_135GammaBetaBackwardCUDAKernelTemplateIffLj32ELj1ELj8ELb1ELb0ELb0EEEvllPKT_S5_PKT0_S8_PS3_S9_
	.p2align	8
	.type	_ZN2at6native12_GLOBAL__N_135GammaBetaBackwardCUDAKernelTemplateIffLj32ELj1ELj8ELb1ELb0ELb0EEEvllPKT_S5_PKT0_S8_PS3_S9_,@function
_ZN2at6native12_GLOBAL__N_135GammaBetaBackwardCUDAKernelTemplateIffLj32ELj1ELj8ELb1ELb0ELb0EEEvllPKT_S5_PKT0_S8_PS3_S9_: ; @_ZN2at6native12_GLOBAL__N_135GammaBetaBackwardCUDAKernelTemplateIffLj32ELj1ELj8ELb1ELb0ELb0EEEvllPKT_S5_PKT0_S8_PS3_S9_
; %bb.0:
	s_load_dwordx8 s[12:19], s[4:5], 0x0
	s_load_dwordx4 s[28:31], s[4:5], 0x20
	s_mov_b32 s8, s7
	s_lshl_b32 s7, s6, 5
	s_mov_b32 s20, 0
	s_or_b32 s0, s7, 31
	s_mov_b32 s1, s20
	s_waitcnt lgkmcnt(0)
	v_pk_mov_b32 v[2:3], s[14:15], s[14:15] op_sel:[0,1]
	v_cmp_ge_i64_e32 vcc, s[0:1], v[2:3]
	s_lshl_b32 s34, s8, 3
	s_mov_b32 s35, s20
	v_pk_mov_b32 v[2:3], s[12:13], s[12:13] op_sel:[0,1]
	v_cmp_lt_i64_e64 s[0:1], s[34:35], v[2:3]
	v_cndmask_b32_e64 v1, 0, 1, s[0:1]
	v_cmp_ne_u32_e64 s[0:1], 1, v1
	s_cbranch_vccz .LBB63_48
; %bb.1:
	v_mov_b32_e32 v27, 0
	s_and_b64 vcc, exec, s[0:1]
	v_mov_b32_e32 v26, v27
	s_cbranch_vccnz .LBB63_49
; %bb.2:
	v_and_b32_e32 v63, 0x3ff, v0
	v_bfe_u32 v66, v0, 10, 10
	v_add_u32_e32 v2, s7, v63
	v_mov_b32_e32 v3, 0
	v_lshlrev_b32_e32 v28, 3, v66
	v_cmp_gt_i64_e64 s[2:3], s[14:15], v[2:3]
	v_lshlrev_b64 v[30:31], 2, v[2:3]
	v_mov_b32_e32 v2, s35
	v_add_co_u32_e32 v6, vcc, s34, v28
	v_addc_co_u32_e32 v2, vcc, 0, v2, vcc
	v_add_co_u32_e32 v4, vcc, 7, v6
	v_addc_co_u32_e32 v5, vcc, 0, v2, vcc
	v_mul_lo_u32 v7, s15, v4
	v_mul_lo_u32 v8, s14, v5
	v_mad_u64_u32 v[4:5], s[10:11], s14, v4, 0
	s_load_dword s9, s[4:5], 0x44
	v_add3_u32 v5, v5, v8, v7
	v_lshlrev_b64 v[4:5], 2, v[4:5]
	v_mov_b32_e32 v7, s17
	v_add_co_u32_e32 v32, vcc, s16, v4
	v_addc_co_u32_e32 v29, vcc, v7, v5, vcc
	s_add_u32 s36, s4, 64
	v_mov_b32_e32 v8, s19
	v_add_co_u32_e32 v34, vcc, s18, v4
	s_addc_u32 s37, s5, 0
	s_waitcnt lgkmcnt(0)
	s_lshl_b32 s9, s9, 3
	v_addc_co_u32_e32 v33, vcc, v8, v5, vcc
	s_mul_i32 s10, s15, s9
	s_mul_hi_u32 s11, s14, s9
	v_add_co_u32_e32 v4, vcc, 6, v6
	s_add_i32 s11, s11, s10
	s_mul_i32 s10, s14, s9
	v_addc_co_u32_e32 v5, vcc, 0, v2, vcc
	s_lshl_b64 s[40:41], s[10:11], 2
	v_mul_lo_u32 v9, s15, v4
	v_mul_lo_u32 v10, s14, v5
	v_mad_u64_u32 v[4:5], s[10:11], s14, v4, 0
	v_add3_u32 v5, v5, v10, v9
	v_lshlrev_b64 v[4:5], 2, v[4:5]
	v_add_co_u32_e32 v36, vcc, s16, v4
	v_addc_co_u32_e32 v35, vcc, v7, v5, vcc
	v_add_co_u32_e32 v38, vcc, s18, v4
	v_addc_co_u32_e32 v37, vcc, v8, v5, vcc
	v_add_co_u32_e32 v4, vcc, 5, v6
	v_addc_co_u32_e32 v5, vcc, 0, v2, vcc
	v_mul_lo_u32 v9, s15, v4
	v_mul_lo_u32 v10, s14, v5
	v_mad_u64_u32 v[4:5], s[10:11], s14, v4, 0
	v_add3_u32 v5, v5, v10, v9
	v_lshlrev_b64 v[4:5], 2, v[4:5]
	v_add_co_u32_e32 v40, vcc, s16, v4
	v_addc_co_u32_e32 v39, vcc, v7, v5, vcc
	v_add_co_u32_e32 v42, vcc, s18, v4
	v_addc_co_u32_e32 v41, vcc, v8, v5, vcc
	v_add_co_u32_e32 v4, vcc, 4, v6
	v_addc_co_u32_e32 v5, vcc, 0, v2, vcc
	;; [unrolled: 11-line block ×4, first 2 shown]
	v_mul_lo_u32 v9, s15, v4
	v_mul_lo_u32 v10, s14, v5
	v_mad_u64_u32 v[4:5], s[10:11], s14, v4, 0
	v_add3_u32 v5, v5, v10, v9
	v_lshlrev_b64 v[4:5], 2, v[4:5]
	v_add_co_u32_e32 v52, vcc, s16, v4
	v_addc_co_u32_e32 v51, vcc, v7, v5, vcc
	v_add_co_u32_e32 v54, vcc, s18, v4
	v_addc_co_u32_e32 v53, vcc, v8, v5, vcc
	v_pk_mov_b32 v[4:5], s[14:15], s[14:15] op_sel:[0,1]
	v_mad_u64_u32 v[4:5], s[10:11], s14, v6, v[4:5]
	v_mul_lo_u32 v2, s14, v2
	v_mul_lo_u32 v9, s15, v6
	v_add3_u32 v5, v9, v5, v2
	v_lshlrev_b64 v[4:5], 2, v[4:5]
	v_add_co_u32_e32 v56, vcc, s16, v4
	v_addc_co_u32_e32 v55, vcc, v7, v5, vcc
	v_add_co_u32_e32 v58, vcc, s18, v4
	v_addc_co_u32_e32 v57, vcc, v8, v5, vcc
	v_mad_u64_u32 v[4:5], s[10:11], s14, v6, 0
	v_add3_u32 v5, v5, v2, v9
	v_lshlrev_b64 v[4:5], 2, v[4:5]
	v_add_co_u32_e32 v60, vcc, s16, v4
	v_mbcnt_lo_u32_b32 v2, -1, 0
	v_addc_co_u32_e32 v59, vcc, v7, v5, vcc
	v_mbcnt_hi_u32_b32 v2, -1, v2
	v_add_co_u32_e32 v62, vcc, s18, v4
	v_lshlrev_b32_e32 v2, 2, v2
	v_mov_b32_e32 v1, v3
	s_mov_b32 s33, s20
	s_mov_b64 s[38:39], 7
	v_addc_co_u32_e32 v61, vcc, v8, v5, vcc
	v_and_b32_e32 v67, 0x100, v2
	s_mov_b64 s[42:43], s[34:35]
	v_mov_b32_e32 v26, v3
	v_mov_b32_e32 v27, v3
	s_branch .LBB63_5
.LBB63_3:                               ;   in Loop: Header=BB63_5 Depth=1
	s_or_b64 exec, exec, s[10:11]
	s_waitcnt vmcnt(1)
	ds_bpermute_b32 v2, v67, v69
	ds_bpermute_b32 v4, v67, v69 offset:4
	s_waitcnt vmcnt(0)
	ds_bpermute_b32 v5, v67, v68
	ds_bpermute_b32 v6, v67, v68 offset:4
	ds_bpermute_b32 v9, v67, v68 offset:12
	s_waitcnt lgkmcnt(4)
	v_sub_f32_e32 v2, v10, v2
	v_mul_f32_e32 v2, v18, v2
	s_waitcnt lgkmcnt(3)
	v_sub_f32_e32 v7, v11, v4
	s_waitcnt lgkmcnt(2)
	v_mul_f32_e32 v4, v2, v5
	ds_bpermute_b32 v2, v67, v69 offset:8
	v_mul_f32_e32 v5, v19, v7
	s_waitcnt lgkmcnt(2)
	v_mul_f32_e32 v6, v5, v6
	ds_bpermute_b32 v5, v67, v68 offset:8
	ds_bpermute_b32 v7, v67, v69 offset:12
	s_waitcnt lgkmcnt(2)
	v_sub_f32_e32 v2, v12, v2
	v_mul_f32_e32 v2, v20, v2
	v_mov_b32_e32 v11, v21
	s_waitcnt lgkmcnt(1)
	v_mul_f32_e32 v8, v2, v5
	s_waitcnt lgkmcnt(0)
	v_sub_f32_e32 v2, v13, v7
	ds_bpermute_b32 v5, v67, v69 offset:16
	v_mul_f32_e32 v2, v21, v2
	v_mul_f32_e32 v10, v2, v9
	ds_bpermute_b32 v2, v67, v68 offset:16
	ds_bpermute_b32 v7, v67, v69 offset:20
	;; [unrolled: 1-line block ×3, first 2 shown]
	s_waitcnt lgkmcnt(3)
	v_sub_f32_e32 v5, v14, v5
	v_mul_f32_e32 v5, v22, v5
	s_waitcnt lgkmcnt(2)
	v_mul_f32_e32 v12, v5, v2
	s_waitcnt lgkmcnt(1)
	v_sub_f32_e32 v2, v15, v7
	v_mul_f32_e32 v2, v23, v2
	s_waitcnt lgkmcnt(0)
	v_mul_f32_e32 v14, v2, v9
	v_mov_b32_e32 v5, v18
	ds_bpermute_b32 v2, v67, v69 offset:24
	v_pk_add_f32 v[4:5], v[26:27], v[4:5]
	v_mov_b32_e32 v7, v19
	v_pk_add_f32 v[4:5], v[6:7], v[4:5]
	ds_bpermute_b32 v7, v67, v68 offset:24
	v_mov_b32_e32 v9, v20
	v_pk_add_f32 v[4:5], v[8:9], v[4:5]
	v_pk_add_f32 v[4:5], v[10:11], v[4:5]
	v_mov_b32_e32 v13, v22
	s_waitcnt lgkmcnt(1)
	v_sub_f32_e32 v8, v16, v2
	v_pk_add_f32 v[4:5], v[12:13], v[4:5]
	v_mov_b32_e32 v15, v23
	v_mul_f32_e32 v8, v24, v8
	v_pk_add_f32 v[4:5], v[14:15], v[4:5]
	s_waitcnt lgkmcnt(0)
	v_mul_f32_e32 v8, v8, v7
	v_mov_b32_e32 v9, v24
	ds_bpermute_b32 v2, v67, v68 offset:28
	ds_bpermute_b32 v6, v67, v69 offset:28
	v_pk_add_f32 v[4:5], v[8:9], v[4:5]
.LBB63_4:                               ;   in Loop: Header=BB63_5 Depth=1
	s_waitcnt lgkmcnt(0)
	v_sub_f32_e32 v6, v17, v6
	v_mul_f32_e32 v6, v25, v6
	v_mul_f32_e32 v24, v6, v2
	v_mov_b32_e32 v2, s41
	v_add_co_u32_e32 v32, vcc, s40, v32
	v_addc_co_u32_e32 v29, vcc, v29, v2, vcc
	v_add_co_u32_e32 v34, vcc, s40, v34
	v_addc_co_u32_e32 v33, vcc, v33, v2, vcc
	;; [unrolled: 2-line block ×14, first 2 shown]
	v_pk_add_f32 v[26:27], v[4:5], v[24:25]
	v_mov_b32_e32 v4, s33
	v_add_co_u32_e32 v28, vcc, s9, v28
	v_addc_co_u32_e32 v1, vcc, v1, v4, vcc
	v_add_co_u32_e32 v60, vcc, s40, v60
	v_addc_co_u32_e32 v59, vcc, v59, v2, vcc
	s_add_u32 s42, s42, s9
	v_add_co_u32_e32 v62, vcc, s40, v62
	s_addc_u32 s43, s43, 0
	v_addc_co_u32_e32 v61, vcc, v61, v2, vcc
	v_pk_mov_b32 v[4:5], s[12:13], s[12:13] op_sel:[0,1]
	s_add_u32 s38, s38, s9
	v_cmp_lt_i64_e32 vcc, s[42:43], v[4:5]
	s_addc_u32 s39, s39, 0
	s_cbranch_vccz .LBB63_49
.LBB63_5:                               ; =>This Inner Loop Header: Depth=1
	s_add_u32 s10, s34, s38
	s_addc_u32 s11, 0, s39
	v_pk_mov_b32 v[4:5], s[12:13], s[12:13] op_sel:[0,1]
	v_cmp_ge_i64_e32 vcc, s[10:11], v[4:5]
	v_mov_b32_e32 v2, s35
	v_add_co_u32_e64 v64, s[10:11], s34, v28
	v_addc_co_u32_e64 v65, s[10:11], v2, v1, s[10:11]
	s_cbranch_vccz .LBB63_27
; %bb.6:                                ;   in Loop: Header=BB63_5 Depth=1
	s_load_dword s10, s[36:37], 0xc
	v_mov_b32_e32 v68, 0
	v_mov_b32_e32 v69, 0
	s_waitcnt lgkmcnt(0)
	s_and_b32 s10, s10, 0xffff
	v_mad_u32_u24 v2, v66, s10, v63
	v_and_b32_e32 v2, 63, v2
	v_cmp_gt_u32_e32 vcc, 8, v2
	s_and_saveexec_b64 s[10:11], vcc
	s_cbranch_execz .LBB63_10
; %bb.7:                                ;   in Loop: Header=BB63_5 Depth=1
	v_add_co_u32_e32 v4, vcc, v64, v2
	v_addc_co_u32_e32 v5, vcc, 0, v65, vcc
	v_cmp_gt_i64_e32 vcc, s[12:13], v[4:5]
	v_mov_b32_e32 v69, 0
	v_mov_b32_e32 v68, 0
	s_and_saveexec_b64 s[22:23], vcc
	s_cbranch_execz .LBB63_9
; %bb.8:                                ;   in Loop: Header=BB63_5 Depth=1
	v_lshlrev_b64 v[4:5], 2, v[4:5]
	v_mov_b32_e32 v2, s31
	v_add_co_u32_e32 v6, vcc, s30, v4
	v_addc_co_u32_e32 v7, vcc, v2, v5, vcc
	v_mov_b32_e32 v2, s29
	v_add_co_u32_e32 v4, vcc, s28, v4
	v_addc_co_u32_e32 v5, vcc, v2, v5, vcc
	global_load_dword v69, v[4:5], off
	global_load_dword v68, v[6:7], off
.LBB63_9:                               ;   in Loop: Header=BB63_5 Depth=1
	s_or_b64 exec, exec, s[22:23]
.LBB63_10:                              ;   in Loop: Header=BB63_5 Depth=1
	s_or_b64 exec, exec, s[10:11]
	s_mov_b32 s21, s20
	s_mov_b32 s22, s20
	;; [unrolled: 1-line block ×7, first 2 shown]
	v_pk_mov_b32 v[10:11], s[20:21], s[20:21] op_sel:[0,1]
	v_pk_mov_b32 v[16:17], s[26:27], s[26:27] op_sel:[0,1]
	v_cmp_gt_i64_e32 vcc, s[12:13], v[64:65]
	v_pk_mov_b32 v[12:13], s[22:23], s[22:23] op_sel:[0,1]
	v_pk_mov_b32 v[14:15], s[24:25], s[24:25] op_sel:[0,1]
	;; [unrolled: 1-line block ×3, first 2 shown]
	s_and_b64 s[44:45], s[2:3], vcc
	v_pk_mov_b32 v[22:23], v[14:15], v[14:15] op_sel:[0,1]
	v_pk_mov_b32 v[20:21], v[12:13], v[12:13] op_sel:[0,1]
	;; [unrolled: 1-line block ×3, first 2 shown]
	s_and_saveexec_b64 s[10:11], s[44:45]
	s_cbranch_execz .LBB63_12
; %bb.11:                               ;   in Loop: Header=BB63_5 Depth=1
	v_add_co_u32_e32 v4, vcc, v60, v30
	v_addc_co_u32_e32 v5, vcc, v59, v31, vcc
	global_load_dword v2, v[4:5], off
	v_add_co_u32_e32 v4, vcc, v62, v30
	v_addc_co_u32_e32 v5, vcc, v61, v31, vcc
	global_load_dword v10, v[4:5], off
	v_mov_b32_e32 v8, v3
	v_mov_b32_e32 v9, v3
	v_mov_b32_e32 v4, v3
	v_mov_b32_e32 v5, v3
	v_mov_b32_e32 v6, v3
	v_mov_b32_e32 v7, v3
	s_waitcnt vmcnt(1)
	v_pk_mov_b32 v[24:25], v[8:9], v[8:9] op_sel:[0,1]
	v_mov_b32_e32 v11, v3
	v_mov_b32_e32 v12, v3
	;; [unrolled: 1-line block ×7, first 2 shown]
	v_pk_mov_b32 v[22:23], v[6:7], v[6:7] op_sel:[0,1]
	v_pk_mov_b32 v[20:21], v[4:5], v[4:5] op_sel:[0,1]
	;; [unrolled: 1-line block ×3, first 2 shown]
.LBB63_12:                              ;   in Loop: Header=BB63_5 Depth=1
	s_or_b64 exec, exec, s[10:11]
	v_add_co_u32_e32 v4, vcc, 1, v64
	v_addc_co_u32_e32 v5, vcc, 0, v65, vcc
	v_cmp_gt_i64_e32 vcc, s[12:13], v[4:5]
	s_and_b64 s[22:23], s[2:3], vcc
	s_and_saveexec_b64 s[10:11], s[22:23]
	s_cbranch_execz .LBB63_14
; %bb.13:                               ;   in Loop: Header=BB63_5 Depth=1
	v_add_co_u32_e32 v4, vcc, v56, v30
	v_addc_co_u32_e32 v5, vcc, v55, v31, vcc
	global_load_dword v19, v[4:5], off
	v_add_co_u32_e32 v4, vcc, v58, v30
	v_addc_co_u32_e32 v5, vcc, v57, v31, vcc
	global_load_dword v11, v[4:5], off
.LBB63_14:                              ;   in Loop: Header=BB63_5 Depth=1
	s_or_b64 exec, exec, s[10:11]
	v_add_co_u32_e32 v4, vcc, 2, v64
	v_addc_co_u32_e32 v5, vcc, 0, v65, vcc
	v_cmp_gt_i64_e32 vcc, s[12:13], v[4:5]
	s_and_b64 s[22:23], s[2:3], vcc
	s_and_saveexec_b64 s[10:11], s[22:23]
	s_cbranch_execz .LBB63_16
; %bb.15:                               ;   in Loop: Header=BB63_5 Depth=1
	v_add_co_u32_e32 v4, vcc, v52, v30
	v_addc_co_u32_e32 v5, vcc, v51, v31, vcc
	global_load_dword v20, v[4:5], off
	v_add_co_u32_e32 v4, vcc, v54, v30
	v_addc_co_u32_e32 v5, vcc, v53, v31, vcc
	global_load_dword v12, v[4:5], off
.LBB63_16:                              ;   in Loop: Header=BB63_5 Depth=1
	;; [unrolled: 15-line block ×7, first 2 shown]
	s_or_b64 exec, exec, s[10:11]
	s_waitcnt vmcnt(1)
	ds_bpermute_b32 v2, v67, v69
	ds_bpermute_b32 v4, v67, v69 offset:4
	s_waitcnt vmcnt(0)
	ds_bpermute_b32 v5, v67, v68
	ds_bpermute_b32 v6, v67, v68 offset:4
	ds_bpermute_b32 v9, v67, v68 offset:12
	s_waitcnt lgkmcnt(4)
	v_sub_f32_e32 v2, v10, v2
	v_mul_f32_e32 v2, v18, v2
	s_waitcnt lgkmcnt(3)
	v_sub_f32_e32 v7, v11, v4
	s_waitcnt lgkmcnt(2)
	v_mul_f32_e32 v4, v2, v5
	ds_bpermute_b32 v2, v67, v69 offset:8
	v_mul_f32_e32 v5, v19, v7
	s_waitcnt lgkmcnt(2)
	v_mul_f32_e32 v6, v5, v6
	ds_bpermute_b32 v5, v67, v68 offset:8
	ds_bpermute_b32 v7, v67, v69 offset:12
	s_waitcnt lgkmcnt(2)
	v_sub_f32_e32 v2, v12, v2
	v_mul_f32_e32 v2, v20, v2
	v_mov_b32_e32 v11, v21
	s_waitcnt lgkmcnt(1)
	v_mul_f32_e32 v8, v2, v5
	s_waitcnt lgkmcnt(0)
	v_sub_f32_e32 v2, v13, v7
	ds_bpermute_b32 v5, v67, v69 offset:16
	v_mul_f32_e32 v2, v21, v2
	v_mul_f32_e32 v10, v2, v9
	ds_bpermute_b32 v2, v67, v68 offset:16
	ds_bpermute_b32 v7, v67, v69 offset:20
	;; [unrolled: 1-line block ×3, first 2 shown]
	s_waitcnt lgkmcnt(3)
	v_sub_f32_e32 v5, v14, v5
	v_mul_f32_e32 v5, v22, v5
	s_waitcnt lgkmcnt(2)
	v_mul_f32_e32 v12, v5, v2
	s_waitcnt lgkmcnt(1)
	v_sub_f32_e32 v2, v15, v7
	v_mul_f32_e32 v2, v23, v2
	s_waitcnt lgkmcnt(0)
	v_mul_f32_e32 v14, v2, v9
	ds_bpermute_b32 v2, v67, v69 offset:24
	v_mov_b32_e32 v5, v18
	v_pk_add_f32 v[4:5], v[26:27], v[4:5]
	v_mov_b32_e32 v7, v19
	v_pk_add_f32 v[4:5], v[6:7], v[4:5]
	ds_bpermute_b32 v7, v67, v68 offset:24
	v_mov_b32_e32 v9, v20
	s_waitcnt lgkmcnt(1)
	v_sub_f32_e32 v2, v16, v2
	v_pk_add_f32 v[4:5], v[8:9], v[4:5]
	v_mul_f32_e32 v8, v24, v2
	ds_bpermute_b32 v2, v67, v68 offset:28
	ds_bpermute_b32 v6, v67, v69 offset:28
	v_pk_add_f32 v[4:5], v[10:11], v[4:5]
	v_mov_b32_e32 v13, v22
	v_pk_add_f32 v[4:5], v[12:13], v[4:5]
	v_mov_b32_e32 v15, v23
	v_pk_add_f32 v[4:5], v[14:15], v[4:5]
	s_waitcnt lgkmcnt(2)
	v_mul_f32_e32 v8, v8, v7
	v_mov_b32_e32 v9, v24
	v_pk_add_f32 v[4:5], v[8:9], v[4:5]
	s_branch .LBB63_4
.LBB63_27:                              ;   in Loop: Header=BB63_5 Depth=1
                                        ; implicit-def: $vgpr4_vgpr5
                                        ; implicit-def: $vgpr2
                                        ; implicit-def: $vgpr10_vgpr11_vgpr12_vgpr13_vgpr14_vgpr15_vgpr16_vgpr17
                                        ; implicit-def: $vgpr18_vgpr19_vgpr20_vgpr21_vgpr22_vgpr23_vgpr24_vgpr25
                                        ; implicit-def: $vgpr6
	s_cbranch_execz .LBB63_4
; %bb.28:                               ;   in Loop: Header=BB63_5 Depth=1
	s_load_dword s10, s[36:37], 0x0
	v_mov_b32_e32 v68, 0
	v_mov_b32_e32 v69, 0
	s_waitcnt lgkmcnt(0)
	s_cmp_lt_u32 s6, s10
	s_cselect_b32 s10, 12, 18
	s_add_u32 s10, s36, s10
	s_addc_u32 s11, s37, 0
	global_load_ushort v2, v3, s[10:11]
	s_waitcnt vmcnt(0)
	v_mad_u32_u24 v2, v66, v2, v63
	v_and_b32_e32 v2, 63, v2
	v_cmp_gt_u32_e32 vcc, 8, v2
	s_and_saveexec_b64 s[10:11], vcc
	s_cbranch_execz .LBB63_32
; %bb.29:                               ;   in Loop: Header=BB63_5 Depth=1
	v_add_co_u32_e32 v4, vcc, v64, v2
	v_addc_co_u32_e32 v5, vcc, 0, v65, vcc
	v_cmp_gt_i64_e32 vcc, s[12:13], v[4:5]
	v_mov_b32_e32 v69, 0
	v_mov_b32_e32 v68, 0
	s_and_saveexec_b64 s[22:23], vcc
	s_cbranch_execz .LBB63_31
; %bb.30:                               ;   in Loop: Header=BB63_5 Depth=1
	v_lshlrev_b64 v[4:5], 2, v[4:5]
	v_mov_b32_e32 v2, s31
	v_add_co_u32_e32 v6, vcc, s30, v4
	v_addc_co_u32_e32 v7, vcc, v2, v5, vcc
	v_mov_b32_e32 v2, s29
	v_add_co_u32_e32 v4, vcc, s28, v4
	v_addc_co_u32_e32 v5, vcc, v2, v5, vcc
	global_load_dword v69, v[4:5], off
	global_load_dword v68, v[6:7], off
.LBB63_31:                              ;   in Loop: Header=BB63_5 Depth=1
	s_or_b64 exec, exec, s[22:23]
.LBB63_32:                              ;   in Loop: Header=BB63_5 Depth=1
	s_or_b64 exec, exec, s[10:11]
	s_mov_b32 s21, s20
	s_mov_b32 s22, s20
	;; [unrolled: 1-line block ×7, first 2 shown]
	v_pk_mov_b32 v[10:11], s[20:21], s[20:21] op_sel:[0,1]
	v_pk_mov_b32 v[16:17], s[26:27], s[26:27] op_sel:[0,1]
	;; [unrolled: 1-line block ×8, first 2 shown]
	s_and_saveexec_b64 s[10:11], s[2:3]
	s_cbranch_execnz .LBB63_40
; %bb.33:                               ;   in Loop: Header=BB63_5 Depth=1
	s_or_b64 exec, exec, s[10:11]
	s_and_saveexec_b64 s[10:11], s[2:3]
	s_cbranch_execnz .LBB63_41
.LBB63_34:                              ;   in Loop: Header=BB63_5 Depth=1
	s_or_b64 exec, exec, s[10:11]
	s_and_saveexec_b64 s[10:11], s[2:3]
	s_cbranch_execnz .LBB63_42
.LBB63_35:                              ;   in Loop: Header=BB63_5 Depth=1
	s_or_b64 exec, exec, s[10:11]
	s_and_saveexec_b64 s[10:11], s[2:3]
	s_cbranch_execnz .LBB63_43
.LBB63_36:                              ;   in Loop: Header=BB63_5 Depth=1
	s_or_b64 exec, exec, s[10:11]
	s_and_saveexec_b64 s[10:11], s[2:3]
	s_cbranch_execnz .LBB63_44
.LBB63_37:                              ;   in Loop: Header=BB63_5 Depth=1
	s_or_b64 exec, exec, s[10:11]
	s_and_saveexec_b64 s[10:11], s[2:3]
	s_cbranch_execnz .LBB63_45
.LBB63_38:                              ;   in Loop: Header=BB63_5 Depth=1
	s_or_b64 exec, exec, s[10:11]
	s_and_saveexec_b64 s[10:11], s[2:3]
	s_cbranch_execnz .LBB63_46
.LBB63_39:                              ;   in Loop: Header=BB63_5 Depth=1
	s_or_b64 exec, exec, s[10:11]
	s_and_saveexec_b64 s[10:11], s[2:3]
	s_cbranch_execz .LBB63_3
	s_branch .LBB63_47
.LBB63_40:                              ;   in Loop: Header=BB63_5 Depth=1
	v_add_co_u32_e32 v4, vcc, v60, v30
	v_addc_co_u32_e32 v5, vcc, v59, v31, vcc
	global_load_dword v2, v[4:5], off
	v_add_co_u32_e32 v4, vcc, v62, v30
	v_addc_co_u32_e32 v5, vcc, v61, v31, vcc
	global_load_dword v10, v[4:5], off
	v_mov_b32_e32 v8, v3
	v_mov_b32_e32 v9, v3
	;; [unrolled: 1-line block ×6, first 2 shown]
	s_waitcnt vmcnt(1)
	v_pk_mov_b32 v[24:25], v[8:9], v[8:9] op_sel:[0,1]
	v_mov_b32_e32 v11, v3
	v_mov_b32_e32 v12, v3
	;; [unrolled: 1-line block ×7, first 2 shown]
	v_pk_mov_b32 v[22:23], v[6:7], v[6:7] op_sel:[0,1]
	v_pk_mov_b32 v[20:21], v[4:5], v[4:5] op_sel:[0,1]
	;; [unrolled: 1-line block ×3, first 2 shown]
	s_or_b64 exec, exec, s[10:11]
	s_and_saveexec_b64 s[10:11], s[2:3]
	s_cbranch_execz .LBB63_34
.LBB63_41:                              ;   in Loop: Header=BB63_5 Depth=1
	v_add_co_u32_e32 v4, vcc, v56, v30
	v_addc_co_u32_e32 v5, vcc, v55, v31, vcc
	global_load_dword v19, v[4:5], off
	v_add_co_u32_e32 v4, vcc, v58, v30
	v_addc_co_u32_e32 v5, vcc, v57, v31, vcc
	global_load_dword v11, v[4:5], off
	s_or_b64 exec, exec, s[10:11]
	s_and_saveexec_b64 s[10:11], s[2:3]
	s_cbranch_execz .LBB63_35
.LBB63_42:                              ;   in Loop: Header=BB63_5 Depth=1
	v_add_co_u32_e32 v4, vcc, v52, v30
	v_addc_co_u32_e32 v5, vcc, v51, v31, vcc
	global_load_dword v20, v[4:5], off
	v_add_co_u32_e32 v4, vcc, v54, v30
	v_addc_co_u32_e32 v5, vcc, v53, v31, vcc
	global_load_dword v12, v[4:5], off
	s_or_b64 exec, exec, s[10:11]
	s_and_saveexec_b64 s[10:11], s[2:3]
	s_cbranch_execz .LBB63_36
.LBB63_43:                              ;   in Loop: Header=BB63_5 Depth=1
	v_add_co_u32_e32 v4, vcc, v48, v30
	v_addc_co_u32_e32 v5, vcc, v47, v31, vcc
	global_load_dword v21, v[4:5], off
	v_add_co_u32_e32 v4, vcc, v50, v30
	v_addc_co_u32_e32 v5, vcc, v49, v31, vcc
	global_load_dword v13, v[4:5], off
	s_or_b64 exec, exec, s[10:11]
	s_and_saveexec_b64 s[10:11], s[2:3]
	s_cbranch_execz .LBB63_37
.LBB63_44:                              ;   in Loop: Header=BB63_5 Depth=1
	v_add_co_u32_e32 v4, vcc, v44, v30
	v_addc_co_u32_e32 v5, vcc, v43, v31, vcc
	global_load_dword v22, v[4:5], off
	v_add_co_u32_e32 v4, vcc, v46, v30
	v_addc_co_u32_e32 v5, vcc, v45, v31, vcc
	global_load_dword v14, v[4:5], off
	s_or_b64 exec, exec, s[10:11]
	s_and_saveexec_b64 s[10:11], s[2:3]
	s_cbranch_execz .LBB63_38
.LBB63_45:                              ;   in Loop: Header=BB63_5 Depth=1
	v_add_co_u32_e32 v4, vcc, v40, v30
	v_addc_co_u32_e32 v5, vcc, v39, v31, vcc
	global_load_dword v23, v[4:5], off
	v_add_co_u32_e32 v4, vcc, v42, v30
	v_addc_co_u32_e32 v5, vcc, v41, v31, vcc
	global_load_dword v15, v[4:5], off
	s_or_b64 exec, exec, s[10:11]
	s_and_saveexec_b64 s[10:11], s[2:3]
	s_cbranch_execz .LBB63_39
.LBB63_46:                              ;   in Loop: Header=BB63_5 Depth=1
	v_add_co_u32_e32 v4, vcc, v36, v30
	v_addc_co_u32_e32 v5, vcc, v35, v31, vcc
	global_load_dword v24, v[4:5], off
	v_add_co_u32_e32 v4, vcc, v38, v30
	v_addc_co_u32_e32 v5, vcc, v37, v31, vcc
	global_load_dword v16, v[4:5], off
	s_or_b64 exec, exec, s[10:11]
	s_and_saveexec_b64 s[10:11], s[2:3]
	s_cbranch_execz .LBB63_3
.LBB63_47:                              ;   in Loop: Header=BB63_5 Depth=1
	v_add_co_u32_e32 v4, vcc, v32, v30
	v_addc_co_u32_e32 v5, vcc, v29, v31, vcc
	global_load_dword v25, v[4:5], off
	v_add_co_u32_e32 v4, vcc, v34, v30
	v_addc_co_u32_e32 v5, vcc, v33, v31, vcc
	global_load_dword v17, v[4:5], off
	s_branch .LBB63_3
.LBB63_48:
                                        ; implicit-def: $vgpr27
	s_branch .LBB63_50
.LBB63_49:
	s_cbranch_execnz .LBB63_81
.LBB63_50:
	v_mov_b32_e32 v27, 0
	s_mov_b32 s20, 0
	s_and_b64 vcc, exec, s[0:1]
	v_mov_b32_e32 v26, v27
	s_cbranch_vccnz .LBB63_81
; %bb.51:
	v_bfe_u32 v83, v0, 10, 10
	s_add_u32 s2, s4, 64
	s_addc_u32 s3, s5, 0
	v_lshlrev_b32_e32 v1, 5, v83
	s_lshl_b64 s[0:1], s[34:35], 2
	v_mov_b32_e32 v2, s1
	v_add_co_u32_e32 v1, vcc, s0, v1
	v_addc_co_u32_e32 v4, vcc, 0, v2, vcc
	v_add_co_u32_e32 v6, vcc, 4, v1
	v_addc_co_u32_e32 v5, vcc, 0, v4, vcc
	v_add_co_u32_e32 v9, vcc, 8, v1
	v_mul_lo_u32 v7, s14, v5
	v_addc_co_u32_e32 v5, vcc, 0, v4, vcc
	v_add_co_u32_e32 v12, vcc, 12, v1
	v_mul_lo_u32 v10, s14, v5
	v_addc_co_u32_e32 v5, vcc, 0, v4, vcc
	v_add_co_u32_e32 v15, vcc, 16, v1
	v_mul_lo_u32 v13, s14, v5
	v_addc_co_u32_e32 v5, vcc, 0, v4, vcc
	v_add_co_u32_e32 v18, vcc, 20, v1
	v_mul_lo_u32 v16, s14, v5
	v_addc_co_u32_e32 v5, vcc, 0, v4, vcc
	v_add_co_u32_e32 v26, vcc, 24, v1
	v_mul_lo_u32 v19, s14, v5
	v_addc_co_u32_e32 v5, vcc, 0, v4, vcc
	v_add_co_u32_e32 v52, vcc, 28, v1
	v_lshlrev_b32_e32 v20, 3, v83
	v_addc_co_u32_e32 v1, vcc, 0, v4, vcc
	v_mul_lo_u32 v54, s14, v1
	v_mov_b32_e32 v1, s35
	v_add_co_u32_e32 v56, vcc, s34, v20
	v_pk_mov_b32 v[2:3], s[16:17], s[16:17] op_sel:[0,1]
	v_addc_co_u32_e32 v57, vcc, 0, v1, vcc
	v_mad_u64_u32 v[22:23], s[0:1], s14, v6, v[2:3]
	v_mad_u64_u32 v[24:25], s[0:1], s14, v9, v[2:3]
	;; [unrolled: 1-line block ×7, first 2 shown]
	v_mul_lo_u32 v58, s15, v56
	v_mul_lo_u32 v59, s14, v57
	v_mad_u64_u32 v[2:3], s[0:1], s14, v56, 0
	v_add3_u32 v3, v3, v59, v58
	v_lshlrev_b64 v[2:3], 2, v[2:3]
	v_mul_lo_u32 v27, s14, v5
	v_mov_b32_e32 v77, s17
	v_add_co_u32_e32 v38, vcc, s16, v2
	v_pk_mov_b32 v[4:5], s[18:19], s[18:19] op_sel:[0,1]
	v_mul_lo_u32 v17, s15, v15
	v_mul_lo_u32 v55, s15, v52
	v_addc_co_u32_e32 v1, vcc, v77, v3, vcc
	v_mad_u64_u32 v[46:47], s[0:1], s14, v15, v[4:5]
	v_mad_u64_u32 v[52:53], s[0:1], s14, v52, v[4:5]
	v_add3_u32 v31, v17, v31, v16
	v_mul_lo_u32 v21, s15, v18
	v_add3_u32 v37, v55, v37, v54
	v_add3_u32 v47, v17, v47, v16
	v_mad_u64_u32 v[48:49], s[0:1], s14, v18, v[4:5]
	v_add3_u32 v53, v55, v53, v54
	v_mov_b32_e32 v16, s19
	v_add_co_u32_e32 v54, vcc, s18, v2
	v_add3_u32 v33, v21, v33, v19
	v_add3_u32 v49, v21, v49, v19
	v_addc_co_u32_e32 v21, vcc, v16, v3, vcc
	v_add_co_u32_e32 v2, vcc, 7, v56
	v_addc_co_u32_e32 v3, vcc, 0, v57, vcc
	v_mad_u64_u32 v[40:41], s[0:1], s14, v6, v[4:5]
	v_mad_u64_u32 v[42:43], s[0:1], s14, v9, v[4:5]
	;; [unrolled: 1-line block ×4, first 2 shown]
	v_mul_lo_u32 v4, s15, v2
	v_mul_lo_u32 v5, s14, v3
	v_mad_u64_u32 v[2:3], s[0:1], s14, v2, 0
	v_add3_u32 v3, v3, v5, v4
	v_add_co_u32_e32 v4, vcc, 6, v56
	v_mul_lo_u32 v8, s15, v6
	v_addc_co_u32_e32 v5, vcc, 0, v57, vcc
	v_add3_u32 v23, v8, v23, v7
	v_add3_u32 v41, v8, v41, v7
	v_mul_lo_u32 v6, s15, v4
	v_mul_lo_u32 v7, s14, v5
	v_mad_u64_u32 v[4:5], s[0:1], s14, v4, 0
	v_add3_u32 v5, v5, v7, v6
	v_add_co_u32_e32 v6, vcc, 5, v56
	v_addc_co_u32_e32 v7, vcc, 0, v57, vcc
	v_mul_lo_u32 v11, s15, v9
	v_mul_lo_u32 v8, s15, v6
	;; [unrolled: 1-line block ×3, first 2 shown]
	v_mad_u64_u32 v[6:7], s[0:1], s14, v6, 0
	v_add3_u32 v7, v7, v9, v8
	v_add_co_u32_e32 v8, vcc, 4, v56
	v_addc_co_u32_e32 v9, vcc, 0, v57, vcc
	v_add3_u32 v25, v11, v25, v10
	v_add3_u32 v43, v11, v43, v10
	v_mul_lo_u32 v10, s15, v8
	v_mul_lo_u32 v11, s14, v9
	v_mad_u64_u32 v[8:9], s[0:1], s14, v8, 0
	v_add3_u32 v9, v9, v11, v10
	v_add_co_u32_e32 v10, vcc, 3, v56
	v_mul_lo_u32 v14, s15, v12
	v_addc_co_u32_e32 v11, vcc, 0, v57, vcc
	v_add3_u32 v29, v14, v29, v13
	v_add3_u32 v45, v14, v45, v13
	v_mul_lo_u32 v12, s15, v10
	v_mul_lo_u32 v13, s14, v11
	v_mad_u64_u32 v[10:11], s[0:1], s14, v10, 0
	v_add3_u32 v11, v11, v13, v12
	v_add_co_u32_e32 v12, vcc, 2, v56
	v_addc_co_u32_e32 v13, vcc, 0, v57, vcc
	v_mul_lo_u32 v14, s15, v12
	v_mul_lo_u32 v15, s14, v13
	v_mad_u64_u32 v[12:13], s[0:1], s14, v12, 0
	v_lshlrev_b64 v[2:3], 2, v[2:3]
	v_add3_u32 v13, v13, v15, v14
	v_pk_mov_b32 v[14:15], s[14:15], s[14:15] op_sel:[0,1]
	v_mul_lo_u32 v39, s15, v26
	v_mad_u64_u32 v[14:15], s[0:1], s14, v56, v[14:15]
	v_add_co_u32_e32 v56, vcc, s16, v2
	v_add3_u32 v35, v39, v35, v27
	v_add3_u32 v51, v39, v51, v27
	v_addc_co_u32_e32 v39, vcc, v77, v3, vcc
	v_add3_u32 v15, v58, v15, v59
	v_add_co_u32_e32 v58, vcc, s18, v2
	v_addc_co_u32_e32 v55, vcc, v16, v3, vcc
	v_lshlrev_b64 v[2:3], 2, v[4:5]
	v_add_co_u32_e32 v60, vcc, s16, v2
	v_addc_co_u32_e32 v57, vcc, v77, v3, vcc
	v_add_co_u32_e32 v62, vcc, s18, v2
	v_addc_co_u32_e32 v59, vcc, v16, v3, vcc
	v_lshlrev_b64 v[2:3], 2, v[6:7]
	v_add_co_u32_e32 v64, vcc, s16, v2
	v_addc_co_u32_e32 v61, vcc, v77, v3, vcc
	;; [unrolled: 5-line block ×5, first 2 shown]
	s_load_dword s0, s[4:5], 0x44
	v_add_co_u32_e32 v78, vcc, s18, v2
	v_addc_co_u32_e32 v75, vcc, v16, v3, vcc
	v_lshlrev_b64 v[2:3], 2, v[14:15]
	v_add_co_u32_e32 v80, vcc, s16, v2
	v_addc_co_u32_e32 v77, vcc, v77, v3, vcc
	v_and_b32_e32 v88, 0x3ff, v0
	v_add_co_u32_e32 v82, vcc, s18, v2
	v_add_u32_e32 v2, s7, v88
	s_waitcnt lgkmcnt(0)
	s_lshl_b32 s7, s0, 3
	v_mbcnt_lo_u32_b32 v4, -1, 0
	s_mul_i32 s0, s15, s7
	s_mul_hi_u32 s1, s14, s7
	v_mbcnt_hi_u32_b32 v4, -1, v4
	v_addc_co_u32_e32 v79, vcc, v16, v3, vcc
	v_mov_b32_e32 v3, 0
	s_add_i32 s1, s1, s0
	s_mul_i32 s0, s14, s7
	v_lshlrev_b32_e32 v4, 2, v4
	s_mov_b32 s9, s20
	s_lshl_b64 s[10:11], s[0:1], 2
	s_mov_b64 s[16:17], 7
	v_and_b32_e32 v89, 0x100, v4
	s_mov_b64 s[18:19], s[34:35]
	v_mov_b32_e32 v26, v3
	v_mov_b32_e32 v27, v3
	;; [unrolled: 1-line block ×3, first 2 shown]
	v_lshlrev_b64 v[84:85], 2, v[2:3]
	s_branch .LBB63_55
.LBB63_52:                              ;   in Loop: Header=BB63_55 Depth=1
	s_or_b64 exec, exec, s[22:23]
.LBB63_53:                              ;   in Loop: Header=BB63_55 Depth=1
	s_or_b64 exec, exec, s[0:1]
	v_add_co_u32_e32 v4, vcc, v38, v84
	v_addc_co_u32_e32 v5, vcc, v1, v85, vcc
	v_add_co_u32_e32 v8, vcc, v54, v84
	v_addc_co_u32_e32 v9, vcc, v21, v85, vcc
	global_load_dword v5, v[4:5], off
	s_nop 0
	global_load_dword v4, v[8:9], off
	v_add_co_u32_e32 v8, vcc, v22, v84
	v_addc_co_u32_e32 v9, vcc, v23, v85, vcc
	v_add_co_u32_e32 v10, vcc, v40, v84
	v_addc_co_u32_e32 v11, vcc, v41, v85, vcc
	global_load_dword v9, v[8:9], off
	s_nop 0
	global_load_dword v8, v[10:11], off
	v_add_co_u32_e32 v10, vcc, v24, v84
	v_addc_co_u32_e32 v11, vcc, v25, v85, vcc
	global_load_dword v13, v[10:11], off
	v_add_co_u32_e32 v10, vcc, v42, v84
	v_addc_co_u32_e32 v11, vcc, v43, v85, vcc
	;; [unrolled: 3-line block ×11, first 2 shown]
	v_add_co_u32_e32 v90, vcc, v52, v84
	v_addc_co_u32_e32 v91, vcc, v53, v85, vcc
	global_load_dword v92, v[90:91], off
	global_load_dword v11, v[86:87], off
	s_waitcnt vmcnt(17)
	ds_bpermute_b32 v86, v89, v6
	s_waitcnt vmcnt(16)
	ds_bpermute_b32 v87, v89, v2
	ds_bpermute_b32 v90, v89, v6 offset:4
	s_waitcnt vmcnt(14) lgkmcnt(2)
	v_sub_f32_e32 v4, v4, v86
	ds_bpermute_b32 v86, v89, v2 offset:4
	v_mul_f32_e32 v4, v5, v4
	s_waitcnt lgkmcnt(2)
	v_mul_f32_e32 v4, v4, v87
	ds_bpermute_b32 v87, v89, v6 offset:8
	v_pk_add_f32 v[4:5], v[26:27], v[4:5]
	s_waitcnt vmcnt(12) lgkmcnt(2)
	v_sub_f32_e32 v8, v8, v90
	v_mul_f32_e32 v8, v9, v8
	s_waitcnt lgkmcnt(1)
	v_mul_f32_e32 v8, v8, v86
	ds_bpermute_b32 v86, v89, v2 offset:8
	ds_bpermute_b32 v90, v89, v6 offset:12
	v_pk_add_f32 v[4:5], v[4:5], v[8:9]
	ds_bpermute_b32 v8, v89, v6 offset:24
	ds_bpermute_b32 v9, v89, v2 offset:24
	s_waitcnt vmcnt(10) lgkmcnt(4)
	v_sub_f32_e32 v12, v12, v87
	v_mul_f32_e32 v12, v13, v12
	ds_bpermute_b32 v87, v89, v2 offset:12
	s_waitcnt lgkmcnt(4)
	v_mul_f32_e32 v12, v12, v86
	ds_bpermute_b32 v86, v89, v6 offset:16
	v_pk_add_f32 v[4:5], v[4:5], v[12:13]
	s_waitcnt vmcnt(8) lgkmcnt(4)
	v_sub_f32_e32 v14, v14, v90
	v_mul_f32_e32 v14, v15, v14
	ds_bpermute_b32 v90, v89, v6 offset:20
	s_waitcnt lgkmcnt(2)
	v_mul_f32_e32 v14, v14, v87
	ds_bpermute_b32 v87, v89, v2 offset:16
	v_pk_add_f32 v[4:5], v[4:5], v[14:15]
	s_waitcnt vmcnt(6) lgkmcnt(2)
	v_sub_f32_e32 v16, v16, v86
	ds_bpermute_b32 v86, v89, v2 offset:20
	v_mul_f32_e32 v16, v17, v16
	s_waitcnt lgkmcnt(1)
	v_mul_f32_e32 v16, v16, v87
	ds_bpermute_b32 v2, v89, v2 offset:28
	v_pk_add_f32 v[4:5], v[4:5], v[16:17]
	s_waitcnt vmcnt(4)
	v_sub_f32_e32 v18, v18, v90
	v_mul_f32_e32 v18, v19, v18
	s_waitcnt lgkmcnt(1)
	v_mul_f32_e32 v18, v18, v86
	v_pk_add_f32 v[4:5], v[4:5], v[18:19]
	s_waitcnt vmcnt(2)
	v_sub_f32_e32 v8, v10, v8
	ds_bpermute_b32 v10, v89, v6 offset:28
	v_mul_f32_e32 v6, v7, v8
	v_mul_f32_e32 v6, v6, v9
	v_pk_add_f32 v[4:5], v[4:5], v[6:7]
	s_waitcnt vmcnt(1) lgkmcnt(0)
	v_sub_f32_e32 v6, v92, v10
	s_waitcnt vmcnt(0)
	v_mul_f32_e32 v6, v11, v6
	v_mul_f32_e32 v10, v6, v2
.LBB63_54:                              ;   in Loop: Header=BB63_55 Depth=1
	v_mov_b32_e32 v2, s9
	v_add_co_u32_e32 v20, vcc, s7, v20
	v_addc_co_u32_e32 v81, vcc, v81, v2, vcc
	v_mov_b32_e32 v2, s11
	v_add_co_u32_e32 v22, vcc, s10, v22
	v_addc_co_u32_e32 v23, vcc, v23, v2, vcc
	v_add_co_u32_e32 v24, vcc, s10, v24
	v_addc_co_u32_e32 v25, vcc, v25, v2, vcc
	;; [unrolled: 2-line block ×29, first 2 shown]
	s_add_u32 s18, s18, s7
	v_add_co_u32_e32 v82, vcc, s10, v82
	v_pk_add_f32 v[26:27], v[4:5], v[10:11]
	s_addc_u32 s19, s19, 0
	v_addc_co_u32_e32 v79, vcc, v79, v2, vcc
	v_pk_mov_b32 v[4:5], s[12:13], s[12:13] op_sel:[0,1]
	s_add_u32 s16, s16, s7
	v_cmp_ge_i64_e32 vcc, s[18:19], v[4:5]
	s_addc_u32 s17, s17, 0
	s_cbranch_vccnz .LBB63_81
.LBB63_55:                              ; =>This Inner Loop Header: Depth=1
	s_add_u32 s0, s34, s16
	s_addc_u32 s1, 0, s17
	v_pk_mov_b32 v[4:5], s[12:13], s[12:13] op_sel:[0,1]
	v_cmp_ge_i64_e32 vcc, s[0:1], v[4:5]
	v_mov_b32_e32 v2, s35
	v_add_co_u32_e64 v86, s[0:1], s34, v20
	v_addc_co_u32_e64 v87, s[0:1], v2, v81, s[0:1]
	s_cbranch_vccz .LBB63_77
; %bb.56:                               ;   in Loop: Header=BB63_55 Depth=1
	s_load_dword s0, s[2:3], 0xc
	v_mov_b32_e32 v90, 0
	v_mov_b32_e32 v91, 0
	s_waitcnt lgkmcnt(0)
	s_and_b32 s0, s0, 0xffff
	v_mad_u32_u24 v2, v83, s0, v88
	v_and_b32_e32 v2, 63, v2
	v_cmp_gt_u32_e32 vcc, 8, v2
	s_and_saveexec_b64 s[0:1], vcc
	s_cbranch_execz .LBB63_60
; %bb.57:                               ;   in Loop: Header=BB63_55 Depth=1
	v_add_co_u32_e32 v4, vcc, v86, v2
	v_addc_co_u32_e32 v5, vcc, 0, v87, vcc
	v_cmp_gt_i64_e32 vcc, s[12:13], v[4:5]
	v_mov_b32_e32 v91, 0
	v_mov_b32_e32 v90, 0
	s_and_saveexec_b64 s[22:23], vcc
	s_cbranch_execz .LBB63_59
; %bb.58:                               ;   in Loop: Header=BB63_55 Depth=1
	v_lshlrev_b64 v[4:5], 2, v[4:5]
	v_mov_b32_e32 v2, s31
	v_add_co_u32_e32 v6, vcc, s30, v4
	v_addc_co_u32_e32 v7, vcc, v2, v5, vcc
	v_mov_b32_e32 v2, s29
	v_add_co_u32_e32 v4, vcc, s28, v4
	v_addc_co_u32_e32 v5, vcc, v2, v5, vcc
	global_load_dword v91, v[4:5], off
	global_load_dword v90, v[6:7], off
.LBB63_59:                              ;   in Loop: Header=BB63_55 Depth=1
	s_or_b64 exec, exec, s[22:23]
.LBB63_60:                              ;   in Loop: Header=BB63_55 Depth=1
	s_or_b64 exec, exec, s[0:1]
	s_mov_b32 s21, s20
	s_mov_b32 s22, s20
	;; [unrolled: 1-line block ×7, first 2 shown]
	v_pk_mov_b32 v[12:13], s[20:21], s[20:21] op_sel:[0,1]
	v_pk_mov_b32 v[14:15], s[22:23], s[22:23] op_sel:[0,1]
	;; [unrolled: 1-line block ×5, first 2 shown]
	v_cmp_gt_i64_e32 vcc, s[12:13], v[86:87]
	v_pk_mov_b32 v[6:7], v[14:15], v[14:15] op_sel:[0,1]
	v_pk_mov_b32 v[8:9], v[16:17], v[16:17] op_sel:[0,1]
	;; [unrolled: 1-line block ×3, first 2 shown]
	s_and_saveexec_b64 s[0:1], vcc
	s_cbranch_execz .LBB63_62
; %bb.61:                               ;   in Loop: Header=BB63_55 Depth=1
	v_add_co_u32_e32 v4, vcc, v38, v84
	v_addc_co_u32_e32 v5, vcc, v1, v85, vcc
	global_load_dword v2, v[4:5], off
	v_add_co_u32_e32 v4, vcc, v54, v84
	v_addc_co_u32_e32 v5, vcc, v21, v85, vcc
	global_load_dword v12, v[4:5], off
	v_mov_b32_e32 v4, v3
	v_mov_b32_e32 v5, v3
	;; [unrolled: 1-line block ×6, first 2 shown]
	s_waitcnt vmcnt(1)
	v_pk_mov_b32 v[10:11], v[8:9], v[8:9] op_sel:[0,1]
	v_mov_b32_e32 v13, v3
	v_mov_b32_e32 v14, v3
	;; [unrolled: 1-line block ×7, first 2 shown]
	v_pk_mov_b32 v[8:9], v[6:7], v[6:7] op_sel:[0,1]
	v_pk_mov_b32 v[6:7], v[4:5], v[4:5] op_sel:[0,1]
	;; [unrolled: 1-line block ×3, first 2 shown]
.LBB63_62:                              ;   in Loop: Header=BB63_55 Depth=1
	s_or_b64 exec, exec, s[0:1]
	v_add_co_u32_e32 v92, vcc, 1, v86
	v_addc_co_u32_e32 v93, vcc, 0, v87, vcc
	v_cmp_gt_i64_e32 vcc, s[12:13], v[92:93]
	s_and_saveexec_b64 s[0:1], vcc
	s_cbranch_execz .LBB63_64
; %bb.63:                               ;   in Loop: Header=BB63_55 Depth=1
	v_add_co_u32_e32 v92, vcc, v80, v84
	v_addc_co_u32_e32 v93, vcc, v77, v85, vcc
	global_load_dword v5, v[92:93], off
	v_add_co_u32_e32 v92, vcc, v82, v84
	v_addc_co_u32_e32 v93, vcc, v79, v85, vcc
	global_load_dword v13, v[92:93], off
.LBB63_64:                              ;   in Loop: Header=BB63_55 Depth=1
	s_or_b64 exec, exec, s[0:1]
	v_add_co_u32_e32 v92, vcc, 2, v86
	v_addc_co_u32_e32 v93, vcc, 0, v87, vcc
	v_cmp_gt_i64_e32 vcc, s[12:13], v[92:93]
	s_and_saveexec_b64 s[0:1], vcc
	s_cbranch_execz .LBB63_66
; %bb.65:                               ;   in Loop: Header=BB63_55 Depth=1
	v_add_co_u32_e32 v92, vcc, v76, v84
	v_addc_co_u32_e32 v93, vcc, v73, v85, vcc
	global_load_dword v6, v[92:93], off
	v_add_co_u32_e32 v92, vcc, v78, v84
	v_addc_co_u32_e32 v93, vcc, v75, v85, vcc
	global_load_dword v14, v[92:93], off
.LBB63_66:                              ;   in Loop: Header=BB63_55 Depth=1
	;; [unrolled: 14-line block ×7, first 2 shown]
	s_or_b64 exec, exec, s[0:1]
	s_waitcnt vmcnt(1)
	ds_bpermute_b32 v2, v89, v91
	ds_bpermute_b32 v92, v89, v91 offset:4
	s_waitcnt vmcnt(0)
	ds_bpermute_b32 v93, v89, v90
	ds_bpermute_b32 v94, v89, v90 offset:4
	v_mov_b32_e32 v95, v7
	s_waitcnt lgkmcnt(3)
	v_sub_f32_e32 v2, v12, v2
	v_mul_f32_e32 v2, v4, v2
	s_waitcnt lgkmcnt(2)
	v_sub_f32_e32 v13, v13, v92
	s_waitcnt lgkmcnt(1)
	v_mul_f32_e32 v12, v2, v93
	ds_bpermute_b32 v2, v89, v91 offset:8
	v_mul_f32_e32 v13, v5, v13
	s_waitcnt lgkmcnt(1)
	v_mul_f32_e32 v92, v13, v94
	ds_bpermute_b32 v13, v89, v90 offset:8
	ds_bpermute_b32 v93, v89, v91 offset:12
	;; [unrolled: 1-line block ×3, first 2 shown]
	s_waitcnt lgkmcnt(3)
	v_sub_f32_e32 v2, v14, v2
	v_mul_f32_e32 v2, v6, v2
	s_waitcnt lgkmcnt(2)
	v_mul_f32_e32 v14, v2, v13
	s_waitcnt lgkmcnt(1)
	v_sub_f32_e32 v2, v15, v93
	ds_bpermute_b32 v13, v89, v91 offset:16
	v_mul_f32_e32 v2, v7, v2
	s_waitcnt lgkmcnt(1)
	v_mul_f32_e32 v94, v2, v94
	ds_bpermute_b32 v2, v89, v90 offset:16
	ds_bpermute_b32 v15, v89, v91 offset:20
	ds_bpermute_b32 v93, v89, v90 offset:20
	s_waitcnt lgkmcnt(3)
	v_sub_f32_e32 v13, v16, v13
	v_mul_f32_e32 v13, v8, v13
	s_waitcnt lgkmcnt(2)
	v_mul_f32_e32 v16, v13, v2
	s_waitcnt lgkmcnt(1)
	v_sub_f32_e32 v2, v17, v15
	v_mul_f32_e32 v2, v9, v2
	s_waitcnt lgkmcnt(0)
	v_mul_f32_e32 v96, v2, v93
	ds_bpermute_b32 v2, v89, v91 offset:24
	v_mov_b32_e32 v15, v6
	ds_bpermute_b32 v6, v89, v90 offset:24
	v_mov_b32_e32 v13, v4
	v_pk_add_f32 v[12:13], v[26:27], v[12:13]
	v_mov_b32_e32 v93, v5
	v_pk_add_f32 v[4:5], v[92:93], v[12:13]
	v_mov_b32_e32 v17, v8
	s_waitcnt lgkmcnt(1)
	v_sub_f32_e32 v2, v18, v2
	ds_bpermute_b32 v8, v89, v91 offset:28
	v_pk_add_f32 v[4:5], v[14:15], v[4:5]
	v_mul_f32_e32 v2, v10, v2
	v_pk_add_f32 v[4:5], v[94:95], v[4:5]
	s_waitcnt lgkmcnt(1)
	v_mul_f32_e32 v6, v2, v6
	ds_bpermute_b32 v2, v89, v90 offset:28
	v_pk_add_f32 v[4:5], v[16:17], v[4:5]
	v_mov_b32_e32 v97, v9
	v_pk_add_f32 v[4:5], v[96:97], v[4:5]
	v_mov_b32_e32 v7, v10
	v_pk_add_f32 v[4:5], v[6:7], v[4:5]
	s_waitcnt lgkmcnt(1)
	v_sub_f32_e32 v6, v19, v8
	v_mul_f32_e32 v6, v11, v6
	s_waitcnt lgkmcnt(0)
	v_mul_f32_e32 v10, v6, v2
	s_branch .LBB63_54
.LBB63_77:                              ;   in Loop: Header=BB63_55 Depth=1
                                        ; implicit-def: $vgpr4_vgpr5
                                        ; implicit-def: $vgpr10_vgpr11
	s_cbranch_execz .LBB63_54
; %bb.78:                               ;   in Loop: Header=BB63_55 Depth=1
	s_load_dword s0, s[2:3], 0x0
	v_mov_b32_e32 v2, 0
	v_mov_b32_e32 v6, 0
	s_waitcnt lgkmcnt(0)
	s_cmp_lt_u32 s6, s0
	s_cselect_b32 s0, 12, 18
	s_add_u32 s0, s2, s0
	s_addc_u32 s1, s3, 0
	global_load_ushort v4, v3, s[0:1]
	s_waitcnt vmcnt(0)
	v_mad_u32_u24 v4, v83, v4, v88
	v_and_b32_e32 v4, 63, v4
	v_cmp_gt_u32_e32 vcc, 8, v4
	s_and_saveexec_b64 s[0:1], vcc
	s_cbranch_execz .LBB63_53
; %bb.79:                               ;   in Loop: Header=BB63_55 Depth=1
	v_add_co_u32_e32 v4, vcc, v86, v4
	v_addc_co_u32_e32 v5, vcc, 0, v87, vcc
	v_cmp_gt_i64_e32 vcc, s[12:13], v[4:5]
	v_mov_b32_e32 v6, 0
	v_mov_b32_e32 v2, 0
	s_and_saveexec_b64 s[22:23], vcc
	s_cbranch_execz .LBB63_52
; %bb.80:                               ;   in Loop: Header=BB63_55 Depth=1
	v_lshlrev_b64 v[4:5], 2, v[4:5]
	v_mov_b32_e32 v2, s31
	v_add_co_u32_e32 v8, vcc, s30, v4
	v_addc_co_u32_e32 v9, vcc, v2, v5, vcc
	v_mov_b32_e32 v2, s29
	v_add_co_u32_e32 v4, vcc, s28, v4
	v_addc_co_u32_e32 v5, vcc, v2, v5, vcc
	global_load_dword v6, v[4:5], off
	global_load_dword v2, v[8:9], off
	s_branch .LBB63_52
.LBB63_81:
	s_mov_b32 s7, 0
	s_lshl_b64 s[0:1], s[6:7], 5
	v_and_b32_e32 v1, 0x3ff, v0
	v_or_b32_e32 v4, s0, v1
	v_mov_b32_e32 v5, s1
	v_cmp_gt_i64_e32 vcc, s[14:15], v[4:5]
	s_and_saveexec_b64 s[0:1], vcc
	s_cbranch_execz .LBB63_86
; %bb.82:
	s_load_dword s6, s[4:5], 0x4c
	s_load_dwordx4 s[0:3], s[4:5], 0x30
	v_bfe_u32 v0, v0, 10, 10
	v_mov_b32_e32 v1, 0
	v_mov_b32_e32 v2, s8
	s_waitcnt lgkmcnt(0)
	s_lshr_b32 s4, s6, 16
	v_mad_u64_u32 v[2:3], s[4:5], s4, v2, v[0:1]
	s_cmp_eq_u64 s[0:1], 0
	v_mul_lo_u32 v3, v3, s14
	v_mul_lo_u32 v6, v2, s15
	v_lshlrev_b64 v[0:1], 2, v[4:5]
	s_cbranch_scc1 .LBB63_84
; %bb.83:
	v_mad_u64_u32 v[4:5], s[4:5], v2, s14, 0
	v_add3_u32 v5, v5, v6, v3
	v_lshlrev_b64 v[4:5], 2, v[4:5]
	v_mov_b32_e32 v7, s1
	v_add_co_u32_e32 v4, vcc, s0, v4
	v_addc_co_u32_e32 v5, vcc, v7, v5, vcc
	v_add_co_u32_e32 v4, vcc, v4, v0
	v_addc_co_u32_e32 v5, vcc, v5, v1, vcc
	global_store_dword v[4:5], v26, off
.LBB63_84:
	s_cmp_eq_u64 s[2:3], 0
	s_cbranch_scc1 .LBB63_86
; %bb.85:
	v_mad_u64_u32 v[4:5], s[0:1], v2, s14, 0
	v_add3_u32 v5, v5, v6, v3
	v_lshlrev_b64 v[2:3], 2, v[4:5]
	v_mov_b32_e32 v4, s3
	v_add_co_u32_e32 v2, vcc, s2, v2
	v_addc_co_u32_e32 v3, vcc, v4, v3, vcc
	v_add_co_u32_e32 v0, vcc, v2, v0
	v_addc_co_u32_e32 v1, vcc, v3, v1, vcc
	global_store_dword v[0:1], v27, off
.LBB63_86:
	s_endpgm
	.section	.rodata,"a",@progbits
	.p2align	6, 0x0
	.amdhsa_kernel _ZN2at6native12_GLOBAL__N_135GammaBetaBackwardCUDAKernelTemplateIffLj32ELj1ELj8ELb1ELb0ELb0EEEvllPKT_S5_PKT0_S8_PS3_S9_
		.amdhsa_group_segment_fixed_size 0
		.amdhsa_private_segment_fixed_size 0
		.amdhsa_kernarg_size 320
		.amdhsa_user_sgpr_count 6
		.amdhsa_user_sgpr_private_segment_buffer 1
		.amdhsa_user_sgpr_dispatch_ptr 0
		.amdhsa_user_sgpr_queue_ptr 0
		.amdhsa_user_sgpr_kernarg_segment_ptr 1
		.amdhsa_user_sgpr_dispatch_id 0
		.amdhsa_user_sgpr_flat_scratch_init 0
		.amdhsa_user_sgpr_kernarg_preload_length 0
		.amdhsa_user_sgpr_kernarg_preload_offset 0
		.amdhsa_user_sgpr_private_segment_size 0
		.amdhsa_uses_dynamic_stack 0
		.amdhsa_system_sgpr_private_segment_wavefront_offset 0
		.amdhsa_system_sgpr_workgroup_id_x 1
		.amdhsa_system_sgpr_workgroup_id_y 1
		.amdhsa_system_sgpr_workgroup_id_z 0
		.amdhsa_system_sgpr_workgroup_info 0
		.amdhsa_system_vgpr_workitem_id 1
		.amdhsa_next_free_vgpr 98
		.amdhsa_next_free_sgpr 46
		.amdhsa_accum_offset 100
		.amdhsa_reserve_vcc 1
		.amdhsa_reserve_flat_scratch 0
		.amdhsa_float_round_mode_32 0
		.amdhsa_float_round_mode_16_64 0
		.amdhsa_float_denorm_mode_32 3
		.amdhsa_float_denorm_mode_16_64 3
		.amdhsa_dx10_clamp 1
		.amdhsa_ieee_mode 1
		.amdhsa_fp16_overflow 0
		.amdhsa_tg_split 0
		.amdhsa_exception_fp_ieee_invalid_op 0
		.amdhsa_exception_fp_denorm_src 0
		.amdhsa_exception_fp_ieee_div_zero 0
		.amdhsa_exception_fp_ieee_overflow 0
		.amdhsa_exception_fp_ieee_underflow 0
		.amdhsa_exception_fp_ieee_inexact 0
		.amdhsa_exception_int_div_zero 0
	.end_amdhsa_kernel
	.section	.text._ZN2at6native12_GLOBAL__N_135GammaBetaBackwardCUDAKernelTemplateIffLj32ELj1ELj8ELb1ELb0ELb0EEEvllPKT_S5_PKT0_S8_PS3_S9_,"axG",@progbits,_ZN2at6native12_GLOBAL__N_135GammaBetaBackwardCUDAKernelTemplateIffLj32ELj1ELj8ELb1ELb0ELb0EEEvllPKT_S5_PKT0_S8_PS3_S9_,comdat
.Lfunc_end63:
	.size	_ZN2at6native12_GLOBAL__N_135GammaBetaBackwardCUDAKernelTemplateIffLj32ELj1ELj8ELb1ELb0ELb0EEEvllPKT_S5_PKT0_S8_PS3_S9_, .Lfunc_end63-_ZN2at6native12_GLOBAL__N_135GammaBetaBackwardCUDAKernelTemplateIffLj32ELj1ELj8ELb1ELb0ELb0EEEvllPKT_S5_PKT0_S8_PS3_S9_
                                        ; -- End function
	.section	.AMDGPU.csdata,"",@progbits
; Kernel info:
; codeLenInByte = 6884
; NumSgprs: 50
; NumVgprs: 98
; NumAgprs: 0
; TotalNumVgprs: 98
; ScratchSize: 0
; MemoryBound: 0
; FloatMode: 240
; IeeeMode: 1
; LDSByteSize: 0 bytes/workgroup (compile time only)
; SGPRBlocks: 6
; VGPRBlocks: 12
; NumSGPRsForWavesPerEU: 50
; NumVGPRsForWavesPerEU: 98
; AccumOffset: 100
; Occupancy: 4
; WaveLimiterHint : 0
; COMPUTE_PGM_RSRC2:SCRATCH_EN: 0
; COMPUTE_PGM_RSRC2:USER_SGPR: 6
; COMPUTE_PGM_RSRC2:TRAP_HANDLER: 0
; COMPUTE_PGM_RSRC2:TGID_X_EN: 1
; COMPUTE_PGM_RSRC2:TGID_Y_EN: 1
; COMPUTE_PGM_RSRC2:TGID_Z_EN: 0
; COMPUTE_PGM_RSRC2:TIDIG_COMP_CNT: 1
; COMPUTE_PGM_RSRC3_GFX90A:ACCUM_OFFSET: 24
; COMPUTE_PGM_RSRC3_GFX90A:TG_SPLIT: 0
	.section	.text._ZN2at6native12_GLOBAL__N_135GammaBetaBackwardCUDAKernelTemplateIffLj32ELj8ELj64ELb0ELb1ELb0EEEvllPKT_S5_PKT0_S8_PS3_S9_,"axG",@progbits,_ZN2at6native12_GLOBAL__N_135GammaBetaBackwardCUDAKernelTemplateIffLj32ELj8ELj64ELb0ELb1ELb0EEEvllPKT_S5_PKT0_S8_PS3_S9_,comdat
	.globl	_ZN2at6native12_GLOBAL__N_135GammaBetaBackwardCUDAKernelTemplateIffLj32ELj8ELj64ELb0ELb1ELb0EEEvllPKT_S5_PKT0_S8_PS3_S9_ ; -- Begin function _ZN2at6native12_GLOBAL__N_135GammaBetaBackwardCUDAKernelTemplateIffLj32ELj8ELj64ELb0ELb1ELb0EEEvllPKT_S5_PKT0_S8_PS3_S9_
	.p2align	8
	.type	_ZN2at6native12_GLOBAL__N_135GammaBetaBackwardCUDAKernelTemplateIffLj32ELj8ELj64ELb0ELb1ELb0EEEvllPKT_S5_PKT0_S8_PS3_S9_,@function
_ZN2at6native12_GLOBAL__N_135GammaBetaBackwardCUDAKernelTemplateIffLj32ELj8ELj64ELb0ELb1ELb0EEEvllPKT_S5_PKT0_S8_PS3_S9_: ; @_ZN2at6native12_GLOBAL__N_135GammaBetaBackwardCUDAKernelTemplateIffLj32ELj8ELj64ELb0ELb1ELb0EEEvllPKT_S5_PKT0_S8_PS3_S9_
; %bb.0:
	s_load_dwordx4 s[20:23], s[4:5], 0x0
	s_lshl_b32 s2, s7, 6
	s_mov_b32 s3, 0
	v_bfe_u32 v12, v0, 10, 10
	s_waitcnt lgkmcnt(0)
	v_pk_mov_b32 v[2:3], s[20:21], s[20:21] op_sel:[0,1]
	v_cmp_lt_i64_e32 vcc, s[2:3], v[2:3]
	s_cbranch_vccnz .LBB64_2
; %bb.1:
	s_mov_b64 s[0:1], 0
	v_bfe_u32 v2, v0, 10, 10
	s_branch .LBB64_3
.LBB64_2:
	s_mov_b64 s[0:1], -1
                                        ; implicit-def: $vgpr2
.LBB64_3:
	s_load_dwordx4 s[16:19], s[4:5], 0x30
	v_and_b32_e32 v10, 0x3ff, v0
	s_andn2_b64 vcc, exec, s[0:1]
	v_mov_b32_e32 v1, s3
	v_mbcnt_lo_u32_b32 v11, -1, 0
	v_mov_b32_e32 v0, s3
	s_cbranch_vccnz .LBB64_11
; %bb.4:
	s_load_dword s0, s[4:5], 0x4c
	s_load_dword s7, s[4:5], 0x44
	s_load_dwordx8 s[8:15], s[4:5], 0x10
	v_mbcnt_hi_u32_b32 v4, -1, v11
	v_lshlrev_b32_e32 v2, 3, v12
	s_waitcnt lgkmcnt(0)
	s_and_b32 s0, s0, 0xffff
	v_lshlrev_b32_e32 v4, 2, v4
	v_mad_u32_u24 v0, v12, s0, v10
	v_and_b32_e32 v13, 0x100, v4
	v_mov_b32_e32 v4, s3
	v_add_co_u32_e32 v6, vcc, s2, v2
	v_and_b32_e32 v3, 63, v0
	v_addc_co_u32_e32 v7, vcc, 0, v4, vcc
	v_add_co_u32_e32 v2, vcc, v6, v3
	v_cmp_gt_u32_e64 s[0:1], 8, v3
	s_lshl_b32 s4, s7, 6
	v_addc_co_u32_e32 v3, vcc, 0, v7, vcc
	v_mul_lo_u32 v8, s23, v6
	v_mul_lo_u32 v9, s22, v7
	v_mad_u64_u32 v[6:7], s[26:27], s22, v6, 0
	v_mov_b32_e32 v1, 0
	v_lshl_add_u32 v0, s6, 5, v10
	v_add3_u32 v7, v7, v9, v8
	s_mul_i32 s7, s23, s4
	s_mul_hi_u32 s26, s22, s4
	s_mov_b32 s5, 0
	v_lshlrev_b64 v[6:7], 2, v[6:7]
	v_lshlrev_b64 v[8:9], 2, v[0:1]
	s_add_i32 s27, s26, s7
	s_mul_i32 s26, s22, s4
	s_lshl_b64 s[24:25], s[4:5], 2
	v_add_co_u32_e32 v6, vcc, v6, v8
	s_lshl_b64 s[26:27], s[26:27], 2
	s_lshl_b64 s[22:23], s[22:23], 2
	v_or_b32_e32 v14, 4, v13
	v_or_b32_e32 v15, 8, v13
	v_or_b32_e32 v16, 12, v13
	v_or_b32_e32 v17, 16, v13
	v_or_b32_e32 v18, 20, v13
	v_or_b32_e32 v19, 24, v13
	v_or_b32_e32 v20, 28, v13
	v_lshlrev_b64 v[4:5], 2, v[2:3]
	v_addc_co_u32_e32 v7, vcc, v7, v9, vcc
	v_mov_b32_e32 v21, s9
	v_mov_b32_e32 v22, s11
	;; [unrolled: 1-line block ×6, first 2 shown]
	v_pk_mov_b32 v[8:9], s[20:21], s[20:21] op_sel:[0,1]
	v_mov_b32_e32 v0, v1
	s_branch .LBB64_7
.LBB64_5:                               ;   in Loop: Header=BB64_7 Depth=1
	s_or_b64 exec, exec, s[30:31]
.LBB64_6:                               ;   in Loop: Header=BB64_7 Depth=1
	s_or_b64 exec, exec, s[28:29]
	v_add_co_u32_e32 v30, vcc, s8, v6
	v_addc_co_u32_e32 v31, vcc, v21, v7, vcc
	v_add_co_u32_e32 v34, vcc, s10, v6
	v_addc_co_u32_e32 v35, vcc, v22, v7, vcc
	global_load_dword v33, v[30:31], off
	v_add_co_u32_e32 v30, vcc, s22, v30
	v_addc_co_u32_e32 v31, vcc, v31, v23, vcc
	global_load_dword v32, v[34:35], off
	;; [unrolled: 3-line block ×13, first 2 shown]
	global_load_dword v47, v[30:31], off
	v_add_co_u32_e32 v30, vcc, s22, v30
	v_addc_co_u32_e32 v31, vcc, v31, v23, vcc
	v_add_co_u32_e32 v34, vcc, s22, v34
	v_addc_co_u32_e32 v35, vcc, v35, v23, vcc
	global_load_dword v48, v[34:35], off
	global_load_dword v29, v[30:31], off
	s_waitcnt vmcnt(17)
	ds_bpermute_b32 v30, v13, v28
	s_waitcnt vmcnt(16)
	ds_bpermute_b32 v31, v13, v27
	ds_bpermute_b32 v34, v14, v28
	;; [unrolled: 1-line block ×3, first 2 shown]
	v_add_co_u32_e32 v4, vcc, s24, v4
	v_addc_co_u32_e32 v5, vcc, v5, v24, vcc
	v_add_co_u32_e32 v2, vcc, s4, v2
	v_addc_co_u32_e32 v3, vcc, v3, v25, vcc
	s_add_u32 s2, s2, s4
	v_add_co_u32_e32 v6, vcc, s26, v6
	s_waitcnt vmcnt(14) lgkmcnt(3)
	v_sub_f32_e32 v30, v32, v30
	v_mul_f32_e32 v30, v33, v30
	s_waitcnt lgkmcnt(2)
	v_mul_f32_e32 v32, v30, v31
	ds_bpermute_b32 v30, v14, v27
	ds_bpermute_b32 v31, v15, v28
	v_pk_add_f32 v[0:1], v[0:1], v[32:33]
	s_addc_u32 s3, s3, 0
	v_addc_co_u32_e32 v7, vcc, v7, v26, vcc
	v_cmp_lt_i64_e32 vcc, s[2:3], v[8:9]
	s_waitcnt vmcnt(12) lgkmcnt(3)
	v_sub_f32_e32 v34, v36, v34
	v_mul_f32_e32 v34, v37, v34
	s_waitcnt lgkmcnt(1)
	v_mul_f32_e32 v36, v34, v30
	ds_bpermute_b32 v34, v17, v28
	v_pk_add_f32 v[0:1], v[0:1], v[36:37]
	s_and_b64 vcc, exec, vcc
	s_waitcnt vmcnt(10) lgkmcnt(1)
	v_sub_f32_e32 v30, v38, v31
	ds_bpermute_b32 v31, v16, v28
	v_mul_f32_e32 v30, v39, v30
	v_mul_f32_e32 v38, v30, v35
	ds_bpermute_b32 v30, v16, v27
	ds_bpermute_b32 v35, v17, v27
	v_pk_add_f32 v[0:1], v[0:1], v[38:39]
	s_waitcnt vmcnt(8) lgkmcnt(2)
	v_sub_f32_e32 v31, v40, v31
	v_mul_f32_e32 v31, v41, v31
	s_waitcnt lgkmcnt(1)
	v_mul_f32_e32 v40, v31, v30
	ds_bpermute_b32 v31, v18, v28
	v_pk_add_f32 v[0:1], v[0:1], v[40:41]
	s_waitcnt vmcnt(6)
	v_sub_f32_e32 v30, v42, v34
	v_mul_f32_e32 v30, v43, v30
	s_waitcnt lgkmcnt(1)
	v_mul_f32_e32 v42, v30, v35
	ds_bpermute_b32 v30, v18, v27
	ds_bpermute_b32 v34, v19, v28
	;; [unrolled: 1-line block ×5, first 2 shown]
	v_pk_add_f32 v[0:1], v[0:1], v[42:43]
	s_waitcnt vmcnt(4) lgkmcnt(5)
	v_sub_f32_e32 v31, v44, v31
	v_mul_f32_e32 v31, v45, v31
	s_waitcnt lgkmcnt(4)
	v_mul_f32_e32 v44, v31, v30
	v_pk_add_f32 v[0:1], v[0:1], v[44:45]
	s_waitcnt vmcnt(3) lgkmcnt(3)
	v_sub_f32_e32 v30, v46, v34
	s_waitcnt vmcnt(2)
	v_mul_f32_e32 v30, v47, v30
	s_waitcnt lgkmcnt(1)
	v_mul_f32_e32 v46, v30, v35
	v_pk_add_f32 v[0:1], v[0:1], v[46:47]
	s_waitcnt vmcnt(1)
	v_sub_f32_e32 v28, v48, v28
	s_waitcnt vmcnt(0)
	v_mul_f32_e32 v28, v29, v28
	s_waitcnt lgkmcnt(0)
	v_mul_f32_e32 v28, v28, v27
	v_pk_add_f32 v[0:1], v[0:1], v[28:29]
	s_cbranch_vccz .LBB64_10
.LBB64_7:                               ; =>This Inner Loop Header: Depth=1
	v_mov_b32_e32 v27, 0
	v_mov_b32_e32 v28, 0
	s_and_saveexec_b64 s[28:29], s[0:1]
	s_cbranch_execz .LBB64_6
; %bb.8:                                ;   in Loop: Header=BB64_7 Depth=1
	v_cmp_gt_i64_e32 vcc, s[20:21], v[2:3]
	v_mov_b32_e32 v28, 0
	v_mov_b32_e32 v27, 0
	s_and_saveexec_b64 s[30:31], vcc
	s_cbranch_execz .LBB64_5
; %bb.9:                                ;   in Loop: Header=BB64_7 Depth=1
	v_mov_b32_e32 v27, s15
	v_add_co_u32_e32 v30, vcc, s14, v4
	v_addc_co_u32_e32 v31, vcc, v27, v5, vcc
	v_mov_b32_e32 v27, s13
	v_add_co_u32_e32 v32, vcc, s12, v4
	v_addc_co_u32_e32 v33, vcc, v27, v5, vcc
	global_load_dword v28, v[32:33], off
	global_load_dword v27, v[30:31], off
	s_branch .LBB64_5
.LBB64_10:
	v_mov_b32_e32 v2, v12
.LBB64_11:
	v_mad_u32_u24 v3, v2, 33, v10
	v_lshl_add_u32 v4, v3, 2, 0
	ds_write_b32 v4, v0
	ds_write_b32 v4, v1 offset:1056
	v_sub_u32_e32 v0, v3, v2
	s_movk_i32 s0, 0x800
	s_mov_b32 s7, 0
	v_cmp_gt_u32_e32 vcc, s0, v0
	s_waitcnt lgkmcnt(0)
	s_barrier
	s_and_saveexec_b64 s[0:1], vcc
	s_cbranch_execz .LBB64_21
; %bb.12:
	v_lshrrev_b32_e32 v4, 6, v0
	v_and_b32_e32 v5, 63, v0
	v_mbcnt_hi_u32_b32 v0, -1, v11
	v_and_b32_e32 v1, 64, v0
	v_add_u32_e32 v1, 64, v1
	v_xor_b32_e32 v2, 4, v0
	v_cmp_lt_i32_e32 vcc, v2, v1
	v_cndmask_b32_e32 v2, v0, v2, vcc
	v_lshlrev_b32_e32 v6, 2, v2
	v_xor_b32_e32 v2, 2, v0
	v_cmp_lt_i32_e32 vcc, v2, v1
	v_cndmask_b32_e32 v2, v0, v2, vcc
	v_lshlrev_b32_e32 v7, 2, v2
	v_xor_b32_e32 v2, 1, v0
	s_cmp_lg_u64 s[16:17], 0
	v_cmp_lt_i32_e32 vcc, v2, v1
	s_cselect_b64 s[4:5], -1, 0
	s_cmp_lg_u64 s[18:19], 0
	v_cndmask_b32_e32 v0, v0, v2, vcc
	s_cselect_b64 s[10:11], -1, 0
	v_lshlrev_b32_e32 v8, 2, v0
	s_lshl_b64 s[6:7], s[6:7], 7
	v_lshlrev_b32_e32 v0, 2, v4
	v_mov_b32_e32 v1, s7
	v_add_co_u32_e32 v2, vcc, s6, v0
	v_addc_co_u32_e32 v3, vcc, 0, v1, vcc
	v_mov_b32_e32 v1, s19
	v_add_co_u32_e32 v0, vcc, s18, v2
	v_addc_co_u32_e32 v1, vcc, v1, v3, vcc
	v_cmp_eq_u32_e64 s[2:3], 0, v10
	v_add_u32_e32 v9, -4, v4
	v_mov_b32_e32 v10, s17
	v_add_co_u32_e32 v2, vcc, s16, v2
	v_mad_u32_u24 v4, v5, 33, v4
	v_addc_co_u32_e32 v3, vcc, v10, v3, vcc
	v_lshl_add_u32 v10, v4, 2, 0
	v_cndmask_b32_e64 v4, 0, 1, s[4:5]
	v_cmp_ne_u32_e64 s[4:5], 1, v4
	v_cndmask_b32_e64 v4, 0, 1, s[10:11]
	v_cmp_gt_u32_e64 s[0:1], 8, v5
	s_mov_b64 s[8:9], 0
	v_cmp_ne_u32_e64 s[6:7], 1, v4
                                        ; implicit-def: $vgpr4
	s_branch .LBB64_14
.LBB64_13:                              ;   in Loop: Header=BB64_14 Depth=1
	s_or_b64 exec, exec, s[10:11]
	v_add_co_u32_e32 v0, vcc, 16, v0
	v_addc_co_u32_e32 v1, vcc, 0, v1, vcc
	v_add_co_u32_e32 v2, vcc, 16, v2
	v_add_u32_e32 v9, 4, v9
	v_addc_co_u32_e32 v3, vcc, 0, v3, vcc
	v_cmp_lt_u32_e32 vcc, 27, v9
	s_or_b64 s[8:9], vcc, s[8:9]
	v_add_u32_e32 v10, 16, v10
	s_andn2_b64 exec, exec, s[8:9]
	s_cbranch_execz .LBB64_21
.LBB64_14:                              ; =>This Inner Loop Header: Depth=1
	s_and_saveexec_b64 s[10:11], s[0:1]
	s_cbranch_execz .LBB64_16
; %bb.15:                               ;   in Loop: Header=BB64_14 Depth=1
	ds_read_b32 v5, v10
	ds_read_b32 v4, v10 offset:1056
.LBB64_16:                              ;   in Loop: Header=BB64_14 Depth=1
	s_or_b64 exec, exec, s[10:11]
	s_waitcnt lgkmcnt(1)
	ds_bpermute_b32 v13, v6, v5
	s_waitcnt lgkmcnt(1)
	ds_bpermute_b32 v12, v6, v4
	s_waitcnt lgkmcnt(0)
	v_pk_add_f32 v[4:5], v[4:5], v[12:13]
	ds_bpermute_b32 v13, v7, v5
	ds_bpermute_b32 v12, v7, v4
	s_waitcnt lgkmcnt(0)
	v_pk_add_f32 v[4:5], v[4:5], v[12:13]
	ds_bpermute_b32 v13, v8, v5
	ds_bpermute_b32 v12, v8, v4
	s_waitcnt lgkmcnt(0)
	v_pk_add_f32 v[4:5], v[4:5], v[12:13]
	s_and_saveexec_b64 s[10:11], s[2:3]
	s_cbranch_execz .LBB64_13
; %bb.17:                               ;   in Loop: Header=BB64_14 Depth=1
	s_and_b64 vcc, exec, s[4:5]
	s_cbranch_vccnz .LBB64_19
; %bb.18:                               ;   in Loop: Header=BB64_14 Depth=1
	global_store_dword v[2:3], v5, off
.LBB64_19:                              ;   in Loop: Header=BB64_14 Depth=1
	s_and_b64 vcc, exec, s[6:7]
	s_cbranch_vccnz .LBB64_13
; %bb.20:                               ;   in Loop: Header=BB64_14 Depth=1
	global_store_dword v[0:1], v4, off
	s_branch .LBB64_13
.LBB64_21:
	s_endpgm
	.section	.rodata,"a",@progbits
	.p2align	6, 0x0
	.amdhsa_kernel _ZN2at6native12_GLOBAL__N_135GammaBetaBackwardCUDAKernelTemplateIffLj32ELj8ELj64ELb0ELb1ELb0EEEvllPKT_S5_PKT0_S8_PS3_S9_
		.amdhsa_group_segment_fixed_size 0
		.amdhsa_private_segment_fixed_size 0
		.amdhsa_kernarg_size 320
		.amdhsa_user_sgpr_count 6
		.amdhsa_user_sgpr_private_segment_buffer 1
		.amdhsa_user_sgpr_dispatch_ptr 0
		.amdhsa_user_sgpr_queue_ptr 0
		.amdhsa_user_sgpr_kernarg_segment_ptr 1
		.amdhsa_user_sgpr_dispatch_id 0
		.amdhsa_user_sgpr_flat_scratch_init 0
		.amdhsa_user_sgpr_kernarg_preload_length 0
		.amdhsa_user_sgpr_kernarg_preload_offset 0
		.amdhsa_user_sgpr_private_segment_size 0
		.amdhsa_uses_dynamic_stack 0
		.amdhsa_system_sgpr_private_segment_wavefront_offset 0
		.amdhsa_system_sgpr_workgroup_id_x 1
		.amdhsa_system_sgpr_workgroup_id_y 1
		.amdhsa_system_sgpr_workgroup_id_z 0
		.amdhsa_system_sgpr_workgroup_info 0
		.amdhsa_system_vgpr_workitem_id 1
		.amdhsa_next_free_vgpr 49
		.amdhsa_next_free_sgpr 32
		.amdhsa_accum_offset 52
		.amdhsa_reserve_vcc 1
		.amdhsa_reserve_flat_scratch 0
		.amdhsa_float_round_mode_32 0
		.amdhsa_float_round_mode_16_64 0
		.amdhsa_float_denorm_mode_32 3
		.amdhsa_float_denorm_mode_16_64 3
		.amdhsa_dx10_clamp 1
		.amdhsa_ieee_mode 1
		.amdhsa_fp16_overflow 0
		.amdhsa_tg_split 0
		.amdhsa_exception_fp_ieee_invalid_op 0
		.amdhsa_exception_fp_denorm_src 0
		.amdhsa_exception_fp_ieee_div_zero 0
		.amdhsa_exception_fp_ieee_overflow 0
		.amdhsa_exception_fp_ieee_underflow 0
		.amdhsa_exception_fp_ieee_inexact 0
		.amdhsa_exception_int_div_zero 0
	.end_amdhsa_kernel
	.section	.text._ZN2at6native12_GLOBAL__N_135GammaBetaBackwardCUDAKernelTemplateIffLj32ELj8ELj64ELb0ELb1ELb0EEEvllPKT_S5_PKT0_S8_PS3_S9_,"axG",@progbits,_ZN2at6native12_GLOBAL__N_135GammaBetaBackwardCUDAKernelTemplateIffLj32ELj8ELj64ELb0ELb1ELb0EEEvllPKT_S5_PKT0_S8_PS3_S9_,comdat
.Lfunc_end64:
	.size	_ZN2at6native12_GLOBAL__N_135GammaBetaBackwardCUDAKernelTemplateIffLj32ELj8ELj64ELb0ELb1ELb0EEEvllPKT_S5_PKT0_S8_PS3_S9_, .Lfunc_end64-_ZN2at6native12_GLOBAL__N_135GammaBetaBackwardCUDAKernelTemplateIffLj32ELj8ELj64ELb0ELb1ELb0EEEvllPKT_S5_PKT0_S8_PS3_S9_
                                        ; -- End function
	.section	.AMDGPU.csdata,"",@progbits
; Kernel info:
; codeLenInByte = 1624
; NumSgprs: 36
; NumVgprs: 49
; NumAgprs: 0
; TotalNumVgprs: 49
; ScratchSize: 0
; MemoryBound: 0
; FloatMode: 240
; IeeeMode: 1
; LDSByteSize: 0 bytes/workgroup (compile time only)
; SGPRBlocks: 4
; VGPRBlocks: 6
; NumSGPRsForWavesPerEU: 36
; NumVGPRsForWavesPerEU: 49
; AccumOffset: 52
; Occupancy: 8
; WaveLimiterHint : 0
; COMPUTE_PGM_RSRC2:SCRATCH_EN: 0
; COMPUTE_PGM_RSRC2:USER_SGPR: 6
; COMPUTE_PGM_RSRC2:TRAP_HANDLER: 0
; COMPUTE_PGM_RSRC2:TGID_X_EN: 1
; COMPUTE_PGM_RSRC2:TGID_Y_EN: 1
; COMPUTE_PGM_RSRC2:TGID_Z_EN: 0
; COMPUTE_PGM_RSRC2:TIDIG_COMP_CNT: 1
; COMPUTE_PGM_RSRC3_GFX90A:ACCUM_OFFSET: 12
; COMPUTE_PGM_RSRC3_GFX90A:TG_SPLIT: 0
	.section	.text._ZN2at6native12_GLOBAL__N_135GammaBetaBackwardCUDAKernelTemplateIffLj32ELj8ELj64ELb0ELb0ELb0EEEvllPKT_S5_PKT0_S8_PS3_S9_,"axG",@progbits,_ZN2at6native12_GLOBAL__N_135GammaBetaBackwardCUDAKernelTemplateIffLj32ELj8ELj64ELb0ELb0ELb0EEEvllPKT_S5_PKT0_S8_PS3_S9_,comdat
	.globl	_ZN2at6native12_GLOBAL__N_135GammaBetaBackwardCUDAKernelTemplateIffLj32ELj8ELj64ELb0ELb0ELb0EEEvllPKT_S5_PKT0_S8_PS3_S9_ ; -- Begin function _ZN2at6native12_GLOBAL__N_135GammaBetaBackwardCUDAKernelTemplateIffLj32ELj8ELj64ELb0ELb0ELb0EEEvllPKT_S5_PKT0_S8_PS3_S9_
	.p2align	8
	.type	_ZN2at6native12_GLOBAL__N_135GammaBetaBackwardCUDAKernelTemplateIffLj32ELj8ELj64ELb0ELb0ELb0EEEvllPKT_S5_PKT0_S8_PS3_S9_,@function
_ZN2at6native12_GLOBAL__N_135GammaBetaBackwardCUDAKernelTemplateIffLj32ELj8ELj64ELb0ELb0ELb0EEEvllPKT_S5_PKT0_S8_PS3_S9_: ; @_ZN2at6native12_GLOBAL__N_135GammaBetaBackwardCUDAKernelTemplateIffLj32ELj8ELj64ELb0ELb0ELb0EEEvllPKT_S5_PKT0_S8_PS3_S9_
; %bb.0:
	s_load_dwordx8 s[12:19], s[4:5], 0x0
	s_load_dwordx4 s[28:31], s[4:5], 0x20
	s_lshl_b32 s33, s6, 5
	s_mov_b32 s20, 0
	s_or_b32 s0, s33, 31
	s_mov_b32 s1, s20
	s_waitcnt lgkmcnt(0)
	v_pk_mov_b32 v[2:3], s[14:15], s[14:15] op_sel:[0,1]
	v_cmp_ge_i64_e32 vcc, s[0:1], v[2:3]
	s_lshl_b32 s10, s7, 6
	s_mov_b32 s11, s20
	v_pk_mov_b32 v[2:3], s[12:13], s[12:13] op_sel:[0,1]
	v_cmp_lt_i64_e64 s[0:1], s[10:11], v[2:3]
	v_cndmask_b32_e64 v1, 0, 1, s[0:1]
	v_cmp_ne_u32_e64 s[0:1], 1, v1
	s_cbranch_vccz .LBB65_48
; %bb.1:
	v_mov_b32_e32 v27, 0
	s_and_b64 vcc, exec, s[0:1]
	v_mov_b32_e32 v26, v27
	s_cbranch_vccnz .LBB65_49
; %bb.2:
	v_and_b32_e32 v61, 0x3ff, v0
	v_bfe_u32 v63, v0, 10, 10
	v_add_u32_e32 v2, s33, v61
	v_mov_b32_e32 v3, 0
	v_lshlrev_b32_e32 v28, 3, v63
	v_cmp_gt_i64_e64 s[2:3], s[14:15], v[2:3]
	v_lshlrev_b64 v[30:31], 2, v[2:3]
	v_mov_b32_e32 v1, s11
	v_add_co_u32_e32 v2, vcc, s10, v28
	v_addc_co_u32_e32 v6, vcc, 0, v1, vcc
	v_add_co_u32_e32 v1, vcc, 7, v2
	v_addc_co_u32_e32 v4, vcc, 0, v6, vcc
	v_mul_lo_u32 v7, s15, v1
	v_mul_lo_u32 v8, s14, v4
	v_mad_u64_u32 v[4:5], s[8:9], s14, v1, 0
	s_load_dword s7, s[4:5], 0x44
	v_add3_u32 v5, v5, v8, v7
	v_lshlrev_b64 v[4:5], 2, v[4:5]
	v_mov_b32_e32 v7, s17
	v_add_co_u32_e32 v32, vcc, s16, v4
	v_addc_co_u32_e32 v1, vcc, v7, v5, vcc
	s_add_u32 s34, s4, 64
	v_mov_b32_e32 v8, s19
	v_add_co_u32_e32 v34, vcc, s18, v4
	s_addc_u32 s35, s5, 0
	s_waitcnt lgkmcnt(0)
	s_lshl_b32 s7, s7, 6
	v_addc_co_u32_e32 v29, vcc, v8, v5, vcc
	s_mul_i32 s8, s15, s7
	s_mul_hi_u32 s9, s14, s7
	v_add_co_u32_e32 v4, vcc, 6, v2
	s_add_i32 s9, s9, s8
	s_mul_i32 s8, s14, s7
	v_addc_co_u32_e32 v5, vcc, 0, v6, vcc
	s_lshl_b64 s[36:37], s[8:9], 2
	v_mul_lo_u32 v9, s15, v4
	v_mul_lo_u32 v10, s14, v5
	v_mad_u64_u32 v[4:5], s[8:9], s14, v4, 0
	v_add3_u32 v5, v5, v10, v9
	v_lshlrev_b64 v[4:5], 2, v[4:5]
	v_add_co_u32_e32 v36, vcc, s16, v4
	v_addc_co_u32_e32 v33, vcc, v7, v5, vcc
	v_add_co_u32_e32 v38, vcc, s18, v4
	v_addc_co_u32_e32 v35, vcc, v8, v5, vcc
	v_add_co_u32_e32 v4, vcc, 5, v2
	v_addc_co_u32_e32 v5, vcc, 0, v6, vcc
	v_mul_lo_u32 v9, s15, v4
	v_mul_lo_u32 v10, s14, v5
	v_mad_u64_u32 v[4:5], s[8:9], s14, v4, 0
	v_add3_u32 v5, v5, v10, v9
	v_lshlrev_b64 v[4:5], 2, v[4:5]
	v_add_co_u32_e32 v40, vcc, s16, v4
	v_addc_co_u32_e32 v37, vcc, v7, v5, vcc
	v_add_co_u32_e32 v42, vcc, s18, v4
	v_addc_co_u32_e32 v39, vcc, v8, v5, vcc
	v_add_co_u32_e32 v4, vcc, 4, v2
	v_addc_co_u32_e32 v5, vcc, 0, v6, vcc
	;; [unrolled: 11-line block ×4, first 2 shown]
	v_mul_lo_u32 v9, s15, v4
	v_mul_lo_u32 v10, s14, v5
	v_mad_u64_u32 v[4:5], s[8:9], s14, v4, 0
	v_add3_u32 v5, v5, v10, v9
	v_lshlrev_b64 v[4:5], 2, v[4:5]
	v_add_co_u32_e32 v52, vcc, s16, v4
	v_addc_co_u32_e32 v49, vcc, v7, v5, vcc
	v_add_co_u32_e32 v54, vcc, s18, v4
	v_addc_co_u32_e32 v51, vcc, v8, v5, vcc
	v_pk_mov_b32 v[4:5], s[14:15], s[14:15] op_sel:[0,1]
	v_mad_u64_u32 v[4:5], s[8:9], s14, v2, v[4:5]
	v_mul_lo_u32 v6, s14, v6
	v_mul_lo_u32 v9, s15, v2
	v_add3_u32 v5, v9, v5, v6
	v_lshlrev_b64 v[4:5], 2, v[4:5]
	v_add_co_u32_e32 v56, vcc, s16, v4
	v_addc_co_u32_e32 v53, vcc, v7, v5, vcc
	v_add_co_u32_e32 v58, vcc, s18, v4
	v_addc_co_u32_e32 v55, vcc, v8, v5, vcc
	v_mad_u64_u32 v[4:5], s[8:9], s14, v2, 0
	v_add3_u32 v5, v5, v6, v9
	v_lshlrev_b64 v[4:5], 2, v[4:5]
	v_add_co_u32_e32 v60, vcc, s16, v4
	v_mbcnt_lo_u32_b32 v2, -1, 0
	v_addc_co_u32_e32 v57, vcc, v7, v5, vcc
	v_mbcnt_hi_u32_b32 v2, -1, v2
	s_add_u32 s38, s10, 63
	v_add_co_u32_e32 v62, vcc, s18, v4
	v_lshlrev_b32_e32 v2, 2, v2
	s_addc_u32 s39, 0, 0
	v_addc_co_u32_e32 v59, vcc, v8, v5, vcc
	v_and_b32_e32 v64, 0x100, v2
	s_mov_b64 s[40:41], s[10:11]
	v_mov_b32_e32 v26, v3
	v_mov_b32_e32 v27, v3
	s_branch .LBB65_5
.LBB65_3:                               ;   in Loop: Header=BB65_5 Depth=1
	s_or_b64 exec, exec, s[8:9]
	s_waitcnt vmcnt(1)
	ds_bpermute_b32 v2, v64, v68
	ds_bpermute_b32 v4, v64, v68 offset:4
	s_waitcnt vmcnt(0)
	ds_bpermute_b32 v5, v64, v67
	ds_bpermute_b32 v6, v64, v67 offset:4
	ds_bpermute_b32 v9, v64, v67 offset:12
	s_waitcnt lgkmcnt(4)
	v_sub_f32_e32 v2, v10, v2
	v_mul_f32_e32 v2, v18, v2
	s_waitcnt lgkmcnt(3)
	v_sub_f32_e32 v7, v11, v4
	s_waitcnt lgkmcnt(2)
	v_mul_f32_e32 v4, v2, v5
	ds_bpermute_b32 v2, v64, v68 offset:8
	v_mul_f32_e32 v5, v19, v7
	s_waitcnt lgkmcnt(2)
	v_mul_f32_e32 v6, v5, v6
	ds_bpermute_b32 v5, v64, v67 offset:8
	ds_bpermute_b32 v7, v64, v68 offset:12
	s_waitcnt lgkmcnt(2)
	v_sub_f32_e32 v2, v12, v2
	v_mul_f32_e32 v2, v20, v2
	v_mov_b32_e32 v11, v21
	s_waitcnt lgkmcnt(1)
	v_mul_f32_e32 v8, v2, v5
	s_waitcnt lgkmcnt(0)
	v_sub_f32_e32 v2, v13, v7
	ds_bpermute_b32 v5, v64, v68 offset:16
	v_mul_f32_e32 v2, v21, v2
	v_mul_f32_e32 v10, v2, v9
	ds_bpermute_b32 v2, v64, v67 offset:16
	ds_bpermute_b32 v7, v64, v68 offset:20
	;; [unrolled: 1-line block ×3, first 2 shown]
	s_waitcnt lgkmcnt(3)
	v_sub_f32_e32 v5, v14, v5
	v_mul_f32_e32 v5, v22, v5
	s_waitcnt lgkmcnt(2)
	v_mul_f32_e32 v12, v5, v2
	s_waitcnt lgkmcnt(1)
	v_sub_f32_e32 v2, v15, v7
	v_mul_f32_e32 v2, v23, v2
	s_waitcnt lgkmcnt(0)
	v_mul_f32_e32 v14, v2, v9
	v_mov_b32_e32 v5, v18
	ds_bpermute_b32 v2, v64, v68 offset:24
	v_pk_add_f32 v[4:5], v[26:27], v[4:5]
	v_mov_b32_e32 v7, v19
	v_pk_add_f32 v[4:5], v[6:7], v[4:5]
	ds_bpermute_b32 v7, v64, v67 offset:24
	v_mov_b32_e32 v9, v20
	v_pk_add_f32 v[4:5], v[8:9], v[4:5]
	v_pk_add_f32 v[4:5], v[10:11], v[4:5]
	v_mov_b32_e32 v13, v22
	s_waitcnt lgkmcnt(1)
	v_sub_f32_e32 v8, v16, v2
	v_pk_add_f32 v[4:5], v[12:13], v[4:5]
	v_mov_b32_e32 v15, v23
	v_mul_f32_e32 v8, v24, v8
	v_pk_add_f32 v[4:5], v[14:15], v[4:5]
	s_waitcnt lgkmcnt(0)
	v_mul_f32_e32 v8, v8, v7
	v_mov_b32_e32 v9, v24
	ds_bpermute_b32 v2, v64, v67 offset:28
	ds_bpermute_b32 v6, v64, v68 offset:28
	v_pk_add_f32 v[4:5], v[8:9], v[4:5]
.LBB65_4:                               ;   in Loop: Header=BB65_5 Depth=1
	s_waitcnt lgkmcnt(0)
	v_sub_f32_e32 v6, v17, v6
	v_mul_f32_e32 v6, v25, v6
	v_mul_f32_e32 v24, v6, v2
	v_mov_b32_e32 v2, s37
	v_add_co_u32_e32 v32, vcc, s36, v32
	v_addc_co_u32_e32 v1, vcc, v1, v2, vcc
	v_add_co_u32_e32 v34, vcc, s36, v34
	v_addc_co_u32_e32 v29, vcc, v29, v2, vcc
	;; [unrolled: 2-line block ×15, first 2 shown]
	s_add_u32 s40, s40, s7
	v_add_co_u32_e32 v62, vcc, s36, v62
	v_pk_add_f32 v[26:27], v[4:5], v[24:25]
	s_addc_u32 s41, s41, 0
	v_addc_co_u32_e32 v59, vcc, v59, v2, vcc
	v_pk_mov_b32 v[4:5], s[12:13], s[12:13] op_sel:[0,1]
	s_add_u32 s38, s38, s7
	v_cmp_lt_i64_e32 vcc, s[40:41], v[4:5]
	s_addc_u32 s39, s39, 0
	s_cbranch_vccz .LBB65_49
.LBB65_5:                               ; =>This Inner Loop Header: Depth=1
	v_pk_mov_b32 v[4:5], s[12:13], s[12:13] op_sel:[0,1]
	v_cmp_ge_i64_e32 vcc, s[38:39], v[4:5]
	v_mov_b32_e32 v2, s39
	v_add_co_u32_e64 v65, s[8:9], s38, v28
	v_addc_co_u32_e64 v66, s[8:9], 0, v2, s[8:9]
	s_cbranch_vccz .LBB65_27
; %bb.6:                                ;   in Loop: Header=BB65_5 Depth=1
	s_load_dword s8, s[34:35], 0xc
	v_mov_b32_e32 v67, 0
	v_mov_b32_e32 v68, 0
	s_waitcnt lgkmcnt(0)
	s_and_b32 s8, s8, 0xffff
	v_mad_u32_u24 v2, v63, s8, v61
	v_and_b32_e32 v2, 63, v2
	v_cmp_gt_u32_e32 vcc, 8, v2
	s_and_saveexec_b64 s[8:9], vcc
	s_cbranch_execz .LBB65_10
; %bb.7:                                ;   in Loop: Header=BB65_5 Depth=1
	v_add_co_u32_e32 v2, vcc, v65, v2
	v_addc_co_u32_e32 v5, vcc, 0, v66, vcc
	v_add_co_u32_e32 v4, vcc, 0xffffffc1, v2
	v_addc_co_u32_e32 v5, vcc, -1, v5, vcc
	v_cmp_gt_i64_e32 vcc, s[12:13], v[4:5]
	v_mov_b32_e32 v68, 0
	v_mov_b32_e32 v67, 0
	s_and_saveexec_b64 s[22:23], vcc
	s_cbranch_execz .LBB65_9
; %bb.8:                                ;   in Loop: Header=BB65_5 Depth=1
	v_lshlrev_b64 v[4:5], 2, v[4:5]
	v_mov_b32_e32 v2, s31
	v_add_co_u32_e32 v6, vcc, s30, v4
	v_addc_co_u32_e32 v7, vcc, v2, v5, vcc
	v_mov_b32_e32 v2, s29
	v_add_co_u32_e32 v4, vcc, s28, v4
	v_addc_co_u32_e32 v5, vcc, v2, v5, vcc
	global_load_dword v68, v[4:5], off
	global_load_dword v67, v[6:7], off
.LBB65_9:                               ;   in Loop: Header=BB65_5 Depth=1
	s_or_b64 exec, exec, s[22:23]
.LBB65_10:                              ;   in Loop: Header=BB65_5 Depth=1
	s_or_b64 exec, exec, s[8:9]
	s_mov_b32 s21, s20
	v_add_co_u32_e32 v4, vcc, 0xffffffc1, v65
	s_mov_b32 s22, s20
	s_mov_b32 s23, s20
	;; [unrolled: 1-line block ×6, first 2 shown]
	v_pk_mov_b32 v[10:11], s[20:21], s[20:21] op_sel:[0,1]
	v_addc_co_u32_e32 v5, vcc, -1, v66, vcc
	v_pk_mov_b32 v[16:17], s[26:27], s[26:27] op_sel:[0,1]
	v_cmp_gt_i64_e32 vcc, s[12:13], v[4:5]
	v_pk_mov_b32 v[12:13], s[22:23], s[22:23] op_sel:[0,1]
	v_pk_mov_b32 v[14:15], s[24:25], s[24:25] op_sel:[0,1]
	;; [unrolled: 1-line block ×3, first 2 shown]
	s_and_b64 s[42:43], s[2:3], vcc
	v_pk_mov_b32 v[22:23], v[14:15], v[14:15] op_sel:[0,1]
	v_pk_mov_b32 v[20:21], v[12:13], v[12:13] op_sel:[0,1]
	;; [unrolled: 1-line block ×3, first 2 shown]
	s_and_saveexec_b64 s[8:9], s[42:43]
	s_cbranch_execz .LBB65_12
; %bb.11:                               ;   in Loop: Header=BB65_5 Depth=1
	v_add_co_u32_e32 v4, vcc, v60, v30
	v_addc_co_u32_e32 v5, vcc, v57, v31, vcc
	global_load_dword v2, v[4:5], off
	v_add_co_u32_e32 v4, vcc, v62, v30
	v_addc_co_u32_e32 v5, vcc, v59, v31, vcc
	global_load_dword v10, v[4:5], off
	v_mov_b32_e32 v8, v3
	v_mov_b32_e32 v9, v3
	;; [unrolled: 1-line block ×6, first 2 shown]
	s_waitcnt vmcnt(1)
	v_pk_mov_b32 v[24:25], v[8:9], v[8:9] op_sel:[0,1]
	v_mov_b32_e32 v11, v3
	v_mov_b32_e32 v12, v3
	;; [unrolled: 1-line block ×7, first 2 shown]
	v_pk_mov_b32 v[22:23], v[6:7], v[6:7] op_sel:[0,1]
	v_pk_mov_b32 v[20:21], v[4:5], v[4:5] op_sel:[0,1]
	;; [unrolled: 1-line block ×3, first 2 shown]
.LBB65_12:                              ;   in Loop: Header=BB65_5 Depth=1
	s_or_b64 exec, exec, s[8:9]
	v_add_co_u32_e32 v4, vcc, 0xffffffc2, v65
	v_addc_co_u32_e32 v5, vcc, -1, v66, vcc
	v_cmp_gt_i64_e32 vcc, s[12:13], v[4:5]
	s_and_b64 s[22:23], s[2:3], vcc
	s_and_saveexec_b64 s[8:9], s[22:23]
	s_cbranch_execz .LBB65_14
; %bb.13:                               ;   in Loop: Header=BB65_5 Depth=1
	v_add_co_u32_e32 v4, vcc, v56, v30
	v_addc_co_u32_e32 v5, vcc, v53, v31, vcc
	global_load_dword v19, v[4:5], off
	v_add_co_u32_e32 v4, vcc, v58, v30
	v_addc_co_u32_e32 v5, vcc, v55, v31, vcc
	global_load_dword v11, v[4:5], off
.LBB65_14:                              ;   in Loop: Header=BB65_5 Depth=1
	s_or_b64 exec, exec, s[8:9]
	v_add_co_u32_e32 v4, vcc, 0xffffffc3, v65
	v_addc_co_u32_e32 v5, vcc, -1, v66, vcc
	v_cmp_gt_i64_e32 vcc, s[12:13], v[4:5]
	s_and_b64 s[22:23], s[2:3], vcc
	s_and_saveexec_b64 s[8:9], s[22:23]
	s_cbranch_execz .LBB65_16
; %bb.15:                               ;   in Loop: Header=BB65_5 Depth=1
	v_add_co_u32_e32 v4, vcc, v52, v30
	v_addc_co_u32_e32 v5, vcc, v49, v31, vcc
	global_load_dword v20, v[4:5], off
	v_add_co_u32_e32 v4, vcc, v54, v30
	v_addc_co_u32_e32 v5, vcc, v51, v31, vcc
	global_load_dword v12, v[4:5], off
.LBB65_16:                              ;   in Loop: Header=BB65_5 Depth=1
	;; [unrolled: 15-line block ×7, first 2 shown]
	s_or_b64 exec, exec, s[8:9]
	s_waitcnt vmcnt(1)
	ds_bpermute_b32 v2, v64, v68
	ds_bpermute_b32 v4, v64, v68 offset:4
	s_waitcnt vmcnt(0)
	ds_bpermute_b32 v5, v64, v67
	ds_bpermute_b32 v6, v64, v67 offset:4
	ds_bpermute_b32 v9, v64, v67 offset:12
	s_waitcnt lgkmcnt(4)
	v_sub_f32_e32 v2, v10, v2
	v_mul_f32_e32 v2, v18, v2
	s_waitcnt lgkmcnt(3)
	v_sub_f32_e32 v7, v11, v4
	s_waitcnt lgkmcnt(2)
	v_mul_f32_e32 v4, v2, v5
	ds_bpermute_b32 v2, v64, v68 offset:8
	v_mul_f32_e32 v5, v19, v7
	s_waitcnt lgkmcnt(2)
	v_mul_f32_e32 v6, v5, v6
	ds_bpermute_b32 v5, v64, v67 offset:8
	ds_bpermute_b32 v7, v64, v68 offset:12
	s_waitcnt lgkmcnt(2)
	v_sub_f32_e32 v2, v12, v2
	v_mul_f32_e32 v2, v20, v2
	v_mov_b32_e32 v11, v21
	s_waitcnt lgkmcnt(1)
	v_mul_f32_e32 v8, v2, v5
	s_waitcnt lgkmcnt(0)
	v_sub_f32_e32 v2, v13, v7
	ds_bpermute_b32 v5, v64, v68 offset:16
	v_mul_f32_e32 v2, v21, v2
	v_mul_f32_e32 v10, v2, v9
	ds_bpermute_b32 v2, v64, v67 offset:16
	ds_bpermute_b32 v7, v64, v68 offset:20
	;; [unrolled: 1-line block ×3, first 2 shown]
	s_waitcnt lgkmcnt(3)
	v_sub_f32_e32 v5, v14, v5
	v_mul_f32_e32 v5, v22, v5
	s_waitcnt lgkmcnt(2)
	v_mul_f32_e32 v12, v5, v2
	s_waitcnt lgkmcnt(1)
	v_sub_f32_e32 v2, v15, v7
	v_mul_f32_e32 v2, v23, v2
	s_waitcnt lgkmcnt(0)
	v_mul_f32_e32 v14, v2, v9
	ds_bpermute_b32 v2, v64, v68 offset:24
	v_mov_b32_e32 v5, v18
	v_pk_add_f32 v[4:5], v[26:27], v[4:5]
	v_mov_b32_e32 v7, v19
	v_pk_add_f32 v[4:5], v[6:7], v[4:5]
	ds_bpermute_b32 v7, v64, v67 offset:24
	v_mov_b32_e32 v9, v20
	s_waitcnt lgkmcnt(1)
	v_sub_f32_e32 v2, v16, v2
	v_pk_add_f32 v[4:5], v[8:9], v[4:5]
	v_mul_f32_e32 v8, v24, v2
	ds_bpermute_b32 v2, v64, v67 offset:28
	ds_bpermute_b32 v6, v64, v68 offset:28
	v_pk_add_f32 v[4:5], v[10:11], v[4:5]
	v_mov_b32_e32 v13, v22
	v_pk_add_f32 v[4:5], v[12:13], v[4:5]
	v_mov_b32_e32 v15, v23
	v_pk_add_f32 v[4:5], v[14:15], v[4:5]
	s_waitcnt lgkmcnt(2)
	v_mul_f32_e32 v8, v8, v7
	v_mov_b32_e32 v9, v24
	v_pk_add_f32 v[4:5], v[8:9], v[4:5]
	s_branch .LBB65_4
.LBB65_27:                              ;   in Loop: Header=BB65_5 Depth=1
                                        ; implicit-def: $vgpr4_vgpr5
                                        ; implicit-def: $vgpr2
                                        ; implicit-def: $vgpr10_vgpr11_vgpr12_vgpr13_vgpr14_vgpr15_vgpr16_vgpr17
                                        ; implicit-def: $vgpr18_vgpr19_vgpr20_vgpr21_vgpr22_vgpr23_vgpr24_vgpr25
                                        ; implicit-def: $vgpr6
	s_cbranch_execz .LBB65_4
; %bb.28:                               ;   in Loop: Header=BB65_5 Depth=1
	s_load_dword s8, s[34:35], 0x0
	v_mov_b32_e32 v67, 0
	v_mov_b32_e32 v68, 0
	s_waitcnt lgkmcnt(0)
	s_cmp_lt_u32 s6, s8
	s_cselect_b32 s8, 12, 18
	s_add_u32 s8, s34, s8
	s_addc_u32 s9, s35, 0
	global_load_ushort v2, v3, s[8:9]
	s_waitcnt vmcnt(0)
	v_mad_u32_u24 v2, v63, v2, v61
	v_and_b32_e32 v2, 63, v2
	v_cmp_gt_u32_e32 vcc, 8, v2
	s_and_saveexec_b64 s[8:9], vcc
	s_cbranch_execz .LBB65_32
; %bb.29:                               ;   in Loop: Header=BB65_5 Depth=1
	v_add_co_u32_e32 v2, vcc, v65, v2
	v_addc_co_u32_e32 v5, vcc, 0, v66, vcc
	v_add_co_u32_e32 v4, vcc, 0xffffffc1, v2
	v_addc_co_u32_e32 v5, vcc, -1, v5, vcc
	v_cmp_gt_i64_e32 vcc, s[12:13], v[4:5]
	v_mov_b32_e32 v68, 0
	v_mov_b32_e32 v67, 0
	s_and_saveexec_b64 s[22:23], vcc
	s_cbranch_execz .LBB65_31
; %bb.30:                               ;   in Loop: Header=BB65_5 Depth=1
	v_lshlrev_b64 v[4:5], 2, v[4:5]
	v_mov_b32_e32 v2, s31
	v_add_co_u32_e32 v6, vcc, s30, v4
	v_addc_co_u32_e32 v7, vcc, v2, v5, vcc
	v_mov_b32_e32 v2, s29
	v_add_co_u32_e32 v4, vcc, s28, v4
	v_addc_co_u32_e32 v5, vcc, v2, v5, vcc
	global_load_dword v68, v[4:5], off
	global_load_dword v67, v[6:7], off
.LBB65_31:                              ;   in Loop: Header=BB65_5 Depth=1
	s_or_b64 exec, exec, s[22:23]
.LBB65_32:                              ;   in Loop: Header=BB65_5 Depth=1
	s_or_b64 exec, exec, s[8:9]
	s_mov_b32 s21, s20
	s_mov_b32 s22, s20
	;; [unrolled: 1-line block ×7, first 2 shown]
	v_pk_mov_b32 v[10:11], s[20:21], s[20:21] op_sel:[0,1]
	v_pk_mov_b32 v[16:17], s[26:27], s[26:27] op_sel:[0,1]
	;; [unrolled: 1-line block ×8, first 2 shown]
	s_and_saveexec_b64 s[8:9], s[2:3]
	s_cbranch_execnz .LBB65_40
; %bb.33:                               ;   in Loop: Header=BB65_5 Depth=1
	s_or_b64 exec, exec, s[8:9]
	s_and_saveexec_b64 s[8:9], s[2:3]
	s_cbranch_execnz .LBB65_41
.LBB65_34:                              ;   in Loop: Header=BB65_5 Depth=1
	s_or_b64 exec, exec, s[8:9]
	s_and_saveexec_b64 s[8:9], s[2:3]
	s_cbranch_execnz .LBB65_42
.LBB65_35:                              ;   in Loop: Header=BB65_5 Depth=1
	s_or_b64 exec, exec, s[8:9]
	s_and_saveexec_b64 s[8:9], s[2:3]
	s_cbranch_execnz .LBB65_43
.LBB65_36:                              ;   in Loop: Header=BB65_5 Depth=1
	s_or_b64 exec, exec, s[8:9]
	s_and_saveexec_b64 s[8:9], s[2:3]
	s_cbranch_execnz .LBB65_44
.LBB65_37:                              ;   in Loop: Header=BB65_5 Depth=1
	s_or_b64 exec, exec, s[8:9]
	s_and_saveexec_b64 s[8:9], s[2:3]
	s_cbranch_execnz .LBB65_45
.LBB65_38:                              ;   in Loop: Header=BB65_5 Depth=1
	s_or_b64 exec, exec, s[8:9]
	s_and_saveexec_b64 s[8:9], s[2:3]
	s_cbranch_execnz .LBB65_46
.LBB65_39:                              ;   in Loop: Header=BB65_5 Depth=1
	s_or_b64 exec, exec, s[8:9]
	s_and_saveexec_b64 s[8:9], s[2:3]
	s_cbranch_execz .LBB65_3
	s_branch .LBB65_47
.LBB65_40:                              ;   in Loop: Header=BB65_5 Depth=1
	v_add_co_u32_e32 v4, vcc, v60, v30
	v_addc_co_u32_e32 v5, vcc, v57, v31, vcc
	global_load_dword v2, v[4:5], off
	v_add_co_u32_e32 v4, vcc, v62, v30
	v_addc_co_u32_e32 v5, vcc, v59, v31, vcc
	global_load_dword v10, v[4:5], off
	v_mov_b32_e32 v8, v3
	v_mov_b32_e32 v9, v3
	;; [unrolled: 1-line block ×6, first 2 shown]
	s_waitcnt vmcnt(1)
	v_pk_mov_b32 v[24:25], v[8:9], v[8:9] op_sel:[0,1]
	v_mov_b32_e32 v11, v3
	v_mov_b32_e32 v12, v3
	;; [unrolled: 1-line block ×7, first 2 shown]
	v_pk_mov_b32 v[22:23], v[6:7], v[6:7] op_sel:[0,1]
	v_pk_mov_b32 v[20:21], v[4:5], v[4:5] op_sel:[0,1]
	;; [unrolled: 1-line block ×3, first 2 shown]
	s_or_b64 exec, exec, s[8:9]
	s_and_saveexec_b64 s[8:9], s[2:3]
	s_cbranch_execz .LBB65_34
.LBB65_41:                              ;   in Loop: Header=BB65_5 Depth=1
	v_add_co_u32_e32 v4, vcc, v56, v30
	v_addc_co_u32_e32 v5, vcc, v53, v31, vcc
	global_load_dword v19, v[4:5], off
	v_add_co_u32_e32 v4, vcc, v58, v30
	v_addc_co_u32_e32 v5, vcc, v55, v31, vcc
	global_load_dword v11, v[4:5], off
	s_or_b64 exec, exec, s[8:9]
	s_and_saveexec_b64 s[8:9], s[2:3]
	s_cbranch_execz .LBB65_35
.LBB65_42:                              ;   in Loop: Header=BB65_5 Depth=1
	v_add_co_u32_e32 v4, vcc, v52, v30
	v_addc_co_u32_e32 v5, vcc, v49, v31, vcc
	global_load_dword v20, v[4:5], off
	v_add_co_u32_e32 v4, vcc, v54, v30
	v_addc_co_u32_e32 v5, vcc, v51, v31, vcc
	global_load_dword v12, v[4:5], off
	s_or_b64 exec, exec, s[8:9]
	s_and_saveexec_b64 s[8:9], s[2:3]
	s_cbranch_execz .LBB65_36
.LBB65_43:                              ;   in Loop: Header=BB65_5 Depth=1
	v_add_co_u32_e32 v4, vcc, v48, v30
	v_addc_co_u32_e32 v5, vcc, v45, v31, vcc
	global_load_dword v21, v[4:5], off
	v_add_co_u32_e32 v4, vcc, v50, v30
	v_addc_co_u32_e32 v5, vcc, v47, v31, vcc
	global_load_dword v13, v[4:5], off
	s_or_b64 exec, exec, s[8:9]
	s_and_saveexec_b64 s[8:9], s[2:3]
	s_cbranch_execz .LBB65_37
.LBB65_44:                              ;   in Loop: Header=BB65_5 Depth=1
	v_add_co_u32_e32 v4, vcc, v44, v30
	v_addc_co_u32_e32 v5, vcc, v41, v31, vcc
	global_load_dword v22, v[4:5], off
	v_add_co_u32_e32 v4, vcc, v46, v30
	v_addc_co_u32_e32 v5, vcc, v43, v31, vcc
	global_load_dword v14, v[4:5], off
	s_or_b64 exec, exec, s[8:9]
	s_and_saveexec_b64 s[8:9], s[2:3]
	s_cbranch_execz .LBB65_38
.LBB65_45:                              ;   in Loop: Header=BB65_5 Depth=1
	v_add_co_u32_e32 v4, vcc, v40, v30
	v_addc_co_u32_e32 v5, vcc, v37, v31, vcc
	global_load_dword v23, v[4:5], off
	v_add_co_u32_e32 v4, vcc, v42, v30
	v_addc_co_u32_e32 v5, vcc, v39, v31, vcc
	global_load_dword v15, v[4:5], off
	s_or_b64 exec, exec, s[8:9]
	s_and_saveexec_b64 s[8:9], s[2:3]
	s_cbranch_execz .LBB65_39
.LBB65_46:                              ;   in Loop: Header=BB65_5 Depth=1
	v_add_co_u32_e32 v4, vcc, v36, v30
	v_addc_co_u32_e32 v5, vcc, v33, v31, vcc
	global_load_dword v24, v[4:5], off
	v_add_co_u32_e32 v4, vcc, v38, v30
	v_addc_co_u32_e32 v5, vcc, v35, v31, vcc
	global_load_dword v16, v[4:5], off
	s_or_b64 exec, exec, s[8:9]
	s_and_saveexec_b64 s[8:9], s[2:3]
	s_cbranch_execz .LBB65_3
.LBB65_47:                              ;   in Loop: Header=BB65_5 Depth=1
	v_add_co_u32_e32 v4, vcc, v32, v30
	v_addc_co_u32_e32 v5, vcc, v1, v31, vcc
	global_load_dword v25, v[4:5], off
	v_add_co_u32_e32 v4, vcc, v34, v30
	v_addc_co_u32_e32 v5, vcc, v29, v31, vcc
	global_load_dword v17, v[4:5], off
	s_branch .LBB65_3
.LBB65_48:
                                        ; implicit-def: $vgpr27
	s_branch .LBB65_50
.LBB65_49:
	s_cbranch_execnz .LBB65_81
.LBB65_50:
	v_mov_b32_e32 v27, 0
	s_mov_b32 s20, 0
	s_and_b64 vcc, exec, s[0:1]
	v_mov_b32_e32 v26, v27
	s_cbranch_vccnz .LBB65_81
; %bb.51:
	s_load_dword s0, s[4:5], 0x44
	s_add_u32 s2, s4, 64
	s_addc_u32 s3, s5, 0
	v_bfe_u32 v81, v0, 10, 10
	v_lshlrev_b32_e32 v1, 5, v81
	s_waitcnt lgkmcnt(0)
	s_lshl_b32 s7, s0, 6
	s_add_u32 s8, s10, 63
	s_addc_u32 s9, 0, 0
	s_lshl_b64 s[0:1], s[10:11], 2
	v_mov_b32_e32 v2, s1
	v_add_co_u32_e32 v1, vcc, s0, v1
	v_addc_co_u32_e32 v4, vcc, 0, v2, vcc
	v_add_co_u32_e32 v6, vcc, 4, v1
	v_addc_co_u32_e32 v5, vcc, 0, v4, vcc
	v_add_co_u32_e32 v9, vcc, 8, v1
	v_mul_lo_u32 v7, s14, v5
	v_addc_co_u32_e32 v5, vcc, 0, v4, vcc
	v_add_co_u32_e32 v12, vcc, 12, v1
	v_mul_lo_u32 v10, s14, v5
	;; [unrolled: 3-line block ×5, first 2 shown]
	v_addc_co_u32_e32 v5, vcc, 0, v4, vcc
	v_add_co_u32_e32 v52, vcc, 28, v1
	v_lshlrev_b32_e32 v20, 3, v81
	v_addc_co_u32_e32 v1, vcc, 0, v4, vcc
	v_mul_lo_u32 v54, s14, v1
	v_mov_b32_e32 v1, s11
	v_add_co_u32_e32 v56, vcc, s10, v20
	v_pk_mov_b32 v[2:3], s[16:17], s[16:17] op_sel:[0,1]
	v_addc_co_u32_e32 v57, vcc, 0, v1, vcc
	v_mad_u64_u32 v[22:23], s[0:1], s14, v6, v[2:3]
	v_mad_u64_u32 v[24:25], s[0:1], s14, v9, v[2:3]
	;; [unrolled: 1-line block ×7, first 2 shown]
	v_mul_lo_u32 v58, s15, v56
	v_mul_lo_u32 v59, s14, v57
	v_mad_u64_u32 v[2:3], s[0:1], s14, v56, 0
	v_add3_u32 v3, v3, v59, v58
	v_lshlrev_b64 v[2:3], 2, v[2:3]
	v_mul_lo_u32 v27, s14, v5
	v_mov_b32_e32 v77, s17
	v_add_co_u32_e32 v38, vcc, s16, v2
	v_pk_mov_b32 v[4:5], s[18:19], s[18:19] op_sel:[0,1]
	v_mul_lo_u32 v17, s15, v15
	v_mul_lo_u32 v55, s15, v52
	v_addc_co_u32_e32 v1, vcc, v77, v3, vcc
	v_mad_u64_u32 v[46:47], s[0:1], s14, v15, v[4:5]
	v_mad_u64_u32 v[52:53], s[0:1], s14, v52, v[4:5]
	v_add3_u32 v31, v17, v31, v16
	v_mul_lo_u32 v21, s15, v18
	v_add3_u32 v37, v55, v37, v54
	v_add3_u32 v47, v17, v47, v16
	v_mad_u64_u32 v[48:49], s[0:1], s14, v18, v[4:5]
	v_add3_u32 v53, v55, v53, v54
	v_mov_b32_e32 v16, s19
	v_add_co_u32_e32 v54, vcc, s18, v2
	v_add3_u32 v33, v21, v33, v19
	v_add3_u32 v49, v21, v49, v19
	v_addc_co_u32_e32 v21, vcc, v16, v3, vcc
	v_add_co_u32_e32 v2, vcc, 7, v56
	v_addc_co_u32_e32 v3, vcc, 0, v57, vcc
	v_mad_u64_u32 v[40:41], s[0:1], s14, v6, v[4:5]
	v_mad_u64_u32 v[42:43], s[0:1], s14, v9, v[4:5]
	;; [unrolled: 1-line block ×4, first 2 shown]
	v_mul_lo_u32 v4, s15, v2
	v_mul_lo_u32 v5, s14, v3
	v_mad_u64_u32 v[2:3], s[0:1], s14, v2, 0
	v_add3_u32 v3, v3, v5, v4
	v_add_co_u32_e32 v4, vcc, 6, v56
	v_mul_lo_u32 v8, s15, v6
	v_addc_co_u32_e32 v5, vcc, 0, v57, vcc
	v_add3_u32 v23, v8, v23, v7
	v_add3_u32 v41, v8, v41, v7
	v_mul_lo_u32 v6, s15, v4
	v_mul_lo_u32 v7, s14, v5
	v_mad_u64_u32 v[4:5], s[0:1], s14, v4, 0
	v_add3_u32 v5, v5, v7, v6
	v_add_co_u32_e32 v6, vcc, 5, v56
	v_addc_co_u32_e32 v7, vcc, 0, v57, vcc
	v_mul_lo_u32 v11, s15, v9
	v_mul_lo_u32 v8, s15, v6
	v_mul_lo_u32 v9, s14, v7
	v_mad_u64_u32 v[6:7], s[0:1], s14, v6, 0
	v_add3_u32 v7, v7, v9, v8
	v_add_co_u32_e32 v8, vcc, 4, v56
	v_addc_co_u32_e32 v9, vcc, 0, v57, vcc
	v_add3_u32 v25, v11, v25, v10
	v_add3_u32 v43, v11, v43, v10
	v_mul_lo_u32 v10, s15, v8
	v_mul_lo_u32 v11, s14, v9
	v_mad_u64_u32 v[8:9], s[0:1], s14, v8, 0
	v_add3_u32 v9, v9, v11, v10
	v_add_co_u32_e32 v10, vcc, 3, v56
	v_mul_lo_u32 v14, s15, v12
	v_addc_co_u32_e32 v11, vcc, 0, v57, vcc
	v_add3_u32 v29, v14, v29, v13
	v_add3_u32 v45, v14, v45, v13
	v_mul_lo_u32 v12, s15, v10
	v_mul_lo_u32 v13, s14, v11
	v_mad_u64_u32 v[10:11], s[0:1], s14, v10, 0
	v_add3_u32 v11, v11, v13, v12
	v_add_co_u32_e32 v12, vcc, 2, v56
	v_addc_co_u32_e32 v13, vcc, 0, v57, vcc
	v_mul_lo_u32 v14, s15, v12
	v_mul_lo_u32 v15, s14, v13
	v_mad_u64_u32 v[12:13], s[0:1], s14, v12, 0
	v_lshlrev_b64 v[2:3], 2, v[2:3]
	v_add3_u32 v13, v13, v15, v14
	v_pk_mov_b32 v[14:15], s[14:15], s[14:15] op_sel:[0,1]
	v_mul_lo_u32 v39, s15, v26
	v_mad_u64_u32 v[14:15], s[0:1], s14, v56, v[14:15]
	v_add_co_u32_e32 v56, vcc, s16, v2
	v_add3_u32 v35, v39, v35, v27
	v_add3_u32 v51, v39, v51, v27
	v_addc_co_u32_e32 v39, vcc, v77, v3, vcc
	v_add3_u32 v15, v58, v15, v59
	v_add_co_u32_e32 v58, vcc, s18, v2
	v_addc_co_u32_e32 v55, vcc, v16, v3, vcc
	v_lshlrev_b64 v[2:3], 2, v[4:5]
	v_add_co_u32_e32 v60, vcc, s16, v2
	v_addc_co_u32_e32 v57, vcc, v77, v3, vcc
	v_add_co_u32_e32 v62, vcc, s18, v2
	v_addc_co_u32_e32 v59, vcc, v16, v3, vcc
	v_lshlrev_b64 v[2:3], 2, v[6:7]
	v_add_co_u32_e32 v64, vcc, s16, v2
	v_addc_co_u32_e32 v61, vcc, v77, v3, vcc
	;; [unrolled: 5-line block ×6, first 2 shown]
	v_mbcnt_lo_u32_b32 v4, -1, 0
	v_add_co_u32_e32 v82, vcc, s18, v2
	v_and_b32_e32 v83, 0x3ff, v0
	s_mul_i32 s0, s15, s7
	s_mul_hi_u32 s1, s14, s7
	v_mbcnt_hi_u32_b32 v4, -1, v4
	v_addc_co_u32_e32 v79, vcc, v16, v3, vcc
	v_add_u32_e32 v2, s33, v83
	v_mov_b32_e32 v3, 0
	s_add_i32 s1, s1, s0
	s_mul_i32 s0, s14, s7
	v_lshlrev_b32_e32 v4, 2, v4
	s_lshl_b64 s[16:17], s[0:1], 2
	v_and_b32_e32 v86, 0x100, v4
	v_mov_b32_e32 v26, v3
	v_mov_b32_e32 v27, v3
	v_lshlrev_b64 v[84:85], 2, v[2:3]
	s_branch .LBB65_55
.LBB65_52:                              ;   in Loop: Header=BB65_55 Depth=1
	s_or_b64 exec, exec, s[18:19]
.LBB65_53:                              ;   in Loop: Header=BB65_55 Depth=1
	s_or_b64 exec, exec, s[0:1]
	v_add_co_u32_e32 v4, vcc, v38, v84
	v_addc_co_u32_e32 v5, vcc, v1, v85, vcc
	v_add_co_u32_e32 v8, vcc, v54, v84
	v_addc_co_u32_e32 v9, vcc, v21, v85, vcc
	global_load_dword v5, v[4:5], off
	s_nop 0
	global_load_dword v4, v[8:9], off
	v_add_co_u32_e32 v8, vcc, v22, v84
	v_addc_co_u32_e32 v9, vcc, v23, v85, vcc
	v_add_co_u32_e32 v10, vcc, v40, v84
	v_addc_co_u32_e32 v11, vcc, v41, v85, vcc
	global_load_dword v9, v[8:9], off
	s_nop 0
	global_load_dword v8, v[10:11], off
	v_add_co_u32_e32 v10, vcc, v24, v84
	v_addc_co_u32_e32 v11, vcc, v25, v85, vcc
	global_load_dword v13, v[10:11], off
	v_add_co_u32_e32 v10, vcc, v42, v84
	v_addc_co_u32_e32 v11, vcc, v43, v85, vcc
	;; [unrolled: 3-line block ×11, first 2 shown]
	v_add_co_u32_e32 v90, vcc, v52, v84
	v_addc_co_u32_e32 v91, vcc, v53, v85, vcc
	global_load_dword v87, v[90:91], off
	global_load_dword v11, v[88:89], off
	s_waitcnt vmcnt(17)
	ds_bpermute_b32 v88, v86, v6
	s_waitcnt vmcnt(16)
	ds_bpermute_b32 v89, v86, v2
	ds_bpermute_b32 v90, v86, v6 offset:4
	s_waitcnt vmcnt(14) lgkmcnt(2)
	v_sub_f32_e32 v4, v4, v88
	ds_bpermute_b32 v88, v86, v2 offset:4
	v_mul_f32_e32 v4, v5, v4
	s_waitcnt lgkmcnt(2)
	v_mul_f32_e32 v4, v4, v89
	ds_bpermute_b32 v89, v86, v6 offset:8
	v_pk_add_f32 v[4:5], v[26:27], v[4:5]
	s_waitcnt vmcnt(12) lgkmcnt(2)
	v_sub_f32_e32 v8, v8, v90
	v_mul_f32_e32 v8, v9, v8
	s_waitcnt lgkmcnt(1)
	v_mul_f32_e32 v8, v8, v88
	ds_bpermute_b32 v88, v86, v2 offset:8
	ds_bpermute_b32 v90, v86, v6 offset:12
	v_pk_add_f32 v[4:5], v[4:5], v[8:9]
	ds_bpermute_b32 v8, v86, v6 offset:24
	ds_bpermute_b32 v9, v86, v2 offset:24
	s_waitcnt vmcnt(10) lgkmcnt(4)
	v_sub_f32_e32 v12, v12, v89
	v_mul_f32_e32 v12, v13, v12
	ds_bpermute_b32 v89, v86, v2 offset:12
	s_waitcnt lgkmcnt(4)
	v_mul_f32_e32 v12, v12, v88
	ds_bpermute_b32 v88, v86, v6 offset:16
	v_pk_add_f32 v[4:5], v[4:5], v[12:13]
	s_waitcnt vmcnt(8) lgkmcnt(4)
	v_sub_f32_e32 v14, v14, v90
	v_mul_f32_e32 v14, v15, v14
	ds_bpermute_b32 v90, v86, v6 offset:20
	s_waitcnt lgkmcnt(2)
	v_mul_f32_e32 v14, v14, v89
	ds_bpermute_b32 v89, v86, v2 offset:16
	v_pk_add_f32 v[4:5], v[4:5], v[14:15]
	s_waitcnt vmcnt(6) lgkmcnt(2)
	v_sub_f32_e32 v16, v16, v88
	ds_bpermute_b32 v88, v86, v2 offset:20
	v_mul_f32_e32 v16, v17, v16
	s_waitcnt lgkmcnt(1)
	v_mul_f32_e32 v16, v16, v89
	ds_bpermute_b32 v2, v86, v2 offset:28
	v_pk_add_f32 v[4:5], v[4:5], v[16:17]
	s_waitcnt vmcnt(4)
	v_sub_f32_e32 v18, v18, v90
	v_mul_f32_e32 v18, v19, v18
	s_waitcnt lgkmcnt(1)
	v_mul_f32_e32 v18, v18, v88
	v_pk_add_f32 v[4:5], v[4:5], v[18:19]
	s_waitcnt vmcnt(2)
	v_sub_f32_e32 v8, v10, v8
	ds_bpermute_b32 v10, v86, v6 offset:28
	v_mul_f32_e32 v6, v7, v8
	v_mul_f32_e32 v6, v6, v9
	v_pk_add_f32 v[4:5], v[4:5], v[6:7]
	s_waitcnt vmcnt(1) lgkmcnt(0)
	v_sub_f32_e32 v6, v87, v10
	s_waitcnt vmcnt(0)
	v_mul_f32_e32 v6, v11, v6
	v_mul_f32_e32 v10, v6, v2
.LBB65_54:                              ;   in Loop: Header=BB65_55 Depth=1
	v_mov_b32_e32 v2, s17
	v_add_co_u32_e32 v22, vcc, s16, v22
	v_addc_co_u32_e32 v23, vcc, v23, v2, vcc
	v_add_co_u32_e32 v24, vcc, s16, v24
	v_addc_co_u32_e32 v25, vcc, v25, v2, vcc
	;; [unrolled: 2-line block ×29, first 2 shown]
	s_add_u32 s10, s10, s7
	v_add_co_u32_e32 v82, vcc, s16, v82
	v_pk_add_f32 v[26:27], v[4:5], v[10:11]
	s_addc_u32 s11, s11, 0
	v_addc_co_u32_e32 v79, vcc, v79, v2, vcc
	v_pk_mov_b32 v[4:5], s[12:13], s[12:13] op_sel:[0,1]
	s_add_u32 s8, s8, s7
	v_cmp_ge_i64_e32 vcc, s[10:11], v[4:5]
	s_addc_u32 s9, s9, 0
	s_cbranch_vccnz .LBB65_81
.LBB65_55:                              ; =>This Inner Loop Header: Depth=1
	v_pk_mov_b32 v[4:5], s[12:13], s[12:13] op_sel:[0,1]
	v_cmp_ge_i64_e32 vcc, s[8:9], v[4:5]
	v_mov_b32_e32 v2, s9
	v_add_co_u32_e64 v87, s[0:1], s8, v20
	v_addc_co_u32_e64 v88, s[0:1], 0, v2, s[0:1]
	s_cbranch_vccz .LBB65_77
; %bb.56:                               ;   in Loop: Header=BB65_55 Depth=1
	s_load_dword s0, s[2:3], 0xc
	v_mov_b32_e32 v89, 0
	v_mov_b32_e32 v90, 0
	s_waitcnt lgkmcnt(0)
	s_and_b32 s0, s0, 0xffff
	v_mad_u32_u24 v2, v81, s0, v83
	v_and_b32_e32 v2, 63, v2
	v_cmp_gt_u32_e32 vcc, 8, v2
	s_and_saveexec_b64 s[0:1], vcc
	s_cbranch_execz .LBB65_60
; %bb.57:                               ;   in Loop: Header=BB65_55 Depth=1
	v_add_co_u32_e32 v2, vcc, v87, v2
	v_addc_co_u32_e32 v5, vcc, 0, v88, vcc
	v_add_co_u32_e32 v4, vcc, 0xffffffc1, v2
	v_addc_co_u32_e32 v5, vcc, -1, v5, vcc
	v_cmp_gt_i64_e32 vcc, s[12:13], v[4:5]
	v_mov_b32_e32 v90, 0
	v_mov_b32_e32 v89, 0
	s_and_saveexec_b64 s[18:19], vcc
	s_cbranch_execz .LBB65_59
; %bb.58:                               ;   in Loop: Header=BB65_55 Depth=1
	v_lshlrev_b64 v[4:5], 2, v[4:5]
	v_mov_b32_e32 v2, s31
	v_add_co_u32_e32 v6, vcc, s30, v4
	v_addc_co_u32_e32 v7, vcc, v2, v5, vcc
	v_mov_b32_e32 v2, s29
	v_add_co_u32_e32 v4, vcc, s28, v4
	v_addc_co_u32_e32 v5, vcc, v2, v5, vcc
	global_load_dword v90, v[4:5], off
	global_load_dword v89, v[6:7], off
.LBB65_59:                              ;   in Loop: Header=BB65_55 Depth=1
	s_or_b64 exec, exec, s[18:19]
.LBB65_60:                              ;   in Loop: Header=BB65_55 Depth=1
	s_or_b64 exec, exec, s[0:1]
	v_add_co_u32_e32 v4, vcc, 0xffffffc1, v87
	s_mov_b32 s21, s20
	v_addc_co_u32_e32 v5, vcc, -1, v88, vcc
	s_mov_b32 s22, s20
	s_mov_b32 s23, s20
	s_mov_b32 s24, s20
	s_mov_b32 s25, s20
	s_mov_b32 s26, s20
	s_mov_b32 s27, s20
	v_pk_mov_b32 v[12:13], s[20:21], s[20:21] op_sel:[0,1]
	v_cmp_gt_i64_e32 vcc, s[12:13], v[4:5]
	v_pk_mov_b32 v[14:15], s[22:23], s[22:23] op_sel:[0,1]
	v_pk_mov_b32 v[16:17], s[24:25], s[24:25] op_sel:[0,1]
	v_pk_mov_b32 v[18:19], s[26:27], s[26:27] op_sel:[0,1]
	v_pk_mov_b32 v[4:5], v[12:13], v[12:13] op_sel:[0,1]
	v_pk_mov_b32 v[6:7], v[14:15], v[14:15] op_sel:[0,1]
	v_pk_mov_b32 v[8:9], v[16:17], v[16:17] op_sel:[0,1]
	v_pk_mov_b32 v[10:11], v[18:19], v[18:19] op_sel:[0,1]
	s_and_saveexec_b64 s[0:1], vcc
	s_cbranch_execz .LBB65_62
; %bb.61:                               ;   in Loop: Header=BB65_55 Depth=1
	v_add_co_u32_e32 v4, vcc, v38, v84
	v_addc_co_u32_e32 v5, vcc, v1, v85, vcc
	global_load_dword v2, v[4:5], off
	v_add_co_u32_e32 v4, vcc, v54, v84
	v_addc_co_u32_e32 v5, vcc, v21, v85, vcc
	global_load_dword v12, v[4:5], off
	v_mov_b32_e32 v4, v3
	v_mov_b32_e32 v5, v3
	;; [unrolled: 1-line block ×6, first 2 shown]
	s_waitcnt vmcnt(1)
	v_pk_mov_b32 v[10:11], v[8:9], v[8:9] op_sel:[0,1]
	v_mov_b32_e32 v13, v3
	v_mov_b32_e32 v14, v3
	;; [unrolled: 1-line block ×7, first 2 shown]
	v_pk_mov_b32 v[8:9], v[6:7], v[6:7] op_sel:[0,1]
	v_pk_mov_b32 v[6:7], v[4:5], v[4:5] op_sel:[0,1]
	;; [unrolled: 1-line block ×3, first 2 shown]
.LBB65_62:                              ;   in Loop: Header=BB65_55 Depth=1
	s_or_b64 exec, exec, s[0:1]
	v_add_co_u32_e32 v92, vcc, 0xffffffc2, v87
	v_addc_co_u32_e32 v93, vcc, -1, v88, vcc
	v_cmp_gt_i64_e32 vcc, s[12:13], v[92:93]
	s_and_saveexec_b64 s[0:1], vcc
	s_cbranch_execz .LBB65_64
; %bb.63:                               ;   in Loop: Header=BB65_55 Depth=1
	v_add_co_u32_e32 v92, vcc, v80, v84
	v_addc_co_u32_e32 v93, vcc, v77, v85, vcc
	global_load_dword v5, v[92:93], off
	v_add_co_u32_e32 v92, vcc, v82, v84
	v_addc_co_u32_e32 v93, vcc, v79, v85, vcc
	global_load_dword v13, v[92:93], off
.LBB65_64:                              ;   in Loop: Header=BB65_55 Depth=1
	s_or_b64 exec, exec, s[0:1]
	v_add_co_u32_e32 v92, vcc, 0xffffffc3, v87
	v_addc_co_u32_e32 v93, vcc, -1, v88, vcc
	v_cmp_gt_i64_e32 vcc, s[12:13], v[92:93]
	s_and_saveexec_b64 s[0:1], vcc
	s_cbranch_execz .LBB65_66
; %bb.65:                               ;   in Loop: Header=BB65_55 Depth=1
	v_add_co_u32_e32 v92, vcc, v76, v84
	v_addc_co_u32_e32 v93, vcc, v73, v85, vcc
	global_load_dword v6, v[92:93], off
	v_add_co_u32_e32 v92, vcc, v78, v84
	v_addc_co_u32_e32 v93, vcc, v75, v85, vcc
	global_load_dword v14, v[92:93], off
.LBB65_66:                              ;   in Loop: Header=BB65_55 Depth=1
	s_or_b64 exec, exec, s[0:1]
	v_add_co_u32_e32 v92, vcc, 0xffffffc4, v87
	v_addc_co_u32_e32 v93, vcc, -1, v88, vcc
	v_cmp_gt_i64_e32 vcc, s[12:13], v[92:93]
	s_and_saveexec_b64 s[0:1], vcc
	s_cbranch_execz .LBB65_68
; %bb.67:                               ;   in Loop: Header=BB65_55 Depth=1
	v_add_co_u32_e32 v92, vcc, v72, v84
	v_addc_co_u32_e32 v93, vcc, v69, v85, vcc
	global_load_dword v7, v[92:93], off
	v_add_co_u32_e32 v92, vcc, v74, v84
	v_addc_co_u32_e32 v93, vcc, v71, v85, vcc
	global_load_dword v15, v[92:93], off
.LBB65_68:                              ;   in Loop: Header=BB65_55 Depth=1
	s_or_b64 exec, exec, s[0:1]
	v_add_co_u32_e32 v92, vcc, 0xffffffc5, v87
	v_addc_co_u32_e32 v93, vcc, -1, v88, vcc
	v_cmp_gt_i64_e32 vcc, s[12:13], v[92:93]
	s_and_saveexec_b64 s[0:1], vcc
	s_cbranch_execz .LBB65_70
; %bb.69:                               ;   in Loop: Header=BB65_55 Depth=1
	v_add_co_u32_e32 v92, vcc, v68, v84
	v_addc_co_u32_e32 v93, vcc, v65, v85, vcc
	global_load_dword v8, v[92:93], off
	v_add_co_u32_e32 v92, vcc, v70, v84
	v_addc_co_u32_e32 v93, vcc, v67, v85, vcc
	global_load_dword v16, v[92:93], off
.LBB65_70:                              ;   in Loop: Header=BB65_55 Depth=1
	s_or_b64 exec, exec, s[0:1]
	v_add_co_u32_e32 v92, vcc, 0xffffffc6, v87
	v_addc_co_u32_e32 v93, vcc, -1, v88, vcc
	v_cmp_gt_i64_e32 vcc, s[12:13], v[92:93]
	s_and_saveexec_b64 s[0:1], vcc
	s_cbranch_execz .LBB65_72
; %bb.71:                               ;   in Loop: Header=BB65_55 Depth=1
	v_add_co_u32_e32 v92, vcc, v64, v84
	v_addc_co_u32_e32 v93, vcc, v61, v85, vcc
	global_load_dword v9, v[92:93], off
	v_add_co_u32_e32 v92, vcc, v66, v84
	v_addc_co_u32_e32 v93, vcc, v63, v85, vcc
	global_load_dword v17, v[92:93], off
.LBB65_72:                              ;   in Loop: Header=BB65_55 Depth=1
	s_or_b64 exec, exec, s[0:1]
	v_add_co_u32_e32 v92, vcc, 0xffffffc7, v87
	v_addc_co_u32_e32 v93, vcc, -1, v88, vcc
	v_cmp_gt_i64_e32 vcc, s[12:13], v[92:93]
	s_and_saveexec_b64 s[0:1], vcc
	s_cbranch_execz .LBB65_74
; %bb.73:                               ;   in Loop: Header=BB65_55 Depth=1
	v_add_co_u32_e32 v92, vcc, v60, v84
	v_addc_co_u32_e32 v93, vcc, v57, v85, vcc
	global_load_dword v10, v[92:93], off
	v_add_co_u32_e32 v92, vcc, v62, v84
	v_addc_co_u32_e32 v93, vcc, v59, v85, vcc
	global_load_dword v18, v[92:93], off
.LBB65_74:                              ;   in Loop: Header=BB65_55 Depth=1
	s_or_b64 exec, exec, s[0:1]
	v_add_co_u32_e32 v92, vcc, 0xffffffc8, v87
	v_addc_co_u32_e32 v93, vcc, -1, v88, vcc
	v_cmp_gt_i64_e32 vcc, s[12:13], v[92:93]
	s_and_saveexec_b64 s[0:1], vcc
	s_cbranch_execz .LBB65_76
; %bb.75:                               ;   in Loop: Header=BB65_55 Depth=1
	v_add_co_u32_e32 v92, vcc, v56, v84
	v_addc_co_u32_e32 v93, vcc, v39, v85, vcc
	global_load_dword v11, v[92:93], off
	v_add_co_u32_e32 v92, vcc, v58, v84
	v_addc_co_u32_e32 v93, vcc, v55, v85, vcc
	global_load_dword v19, v[92:93], off
.LBB65_76:                              ;   in Loop: Header=BB65_55 Depth=1
	s_or_b64 exec, exec, s[0:1]
	s_waitcnt vmcnt(1)
	ds_bpermute_b32 v2, v86, v90
	ds_bpermute_b32 v91, v86, v90 offset:4
	s_waitcnt vmcnt(0)
	ds_bpermute_b32 v92, v86, v89
	ds_bpermute_b32 v93, v86, v89 offset:4
	v_mov_b32_e32 v95, v7
	s_waitcnt lgkmcnt(3)
	v_sub_f32_e32 v2, v12, v2
	v_mul_f32_e32 v2, v4, v2
	s_waitcnt lgkmcnt(2)
	v_sub_f32_e32 v13, v13, v91
	s_waitcnt lgkmcnt(1)
	v_mul_f32_e32 v12, v2, v92
	ds_bpermute_b32 v2, v86, v90 offset:8
	v_mul_f32_e32 v13, v5, v13
	s_waitcnt lgkmcnt(1)
	v_mul_f32_e32 v92, v13, v93
	ds_bpermute_b32 v13, v86, v89 offset:8
	ds_bpermute_b32 v91, v86, v90 offset:12
	;; [unrolled: 1-line block ×3, first 2 shown]
	s_waitcnt lgkmcnt(3)
	v_sub_f32_e32 v2, v14, v2
	v_mul_f32_e32 v2, v6, v2
	s_waitcnt lgkmcnt(2)
	v_mul_f32_e32 v14, v2, v13
	s_waitcnt lgkmcnt(1)
	v_sub_f32_e32 v2, v15, v91
	ds_bpermute_b32 v13, v86, v90 offset:16
	v_mul_f32_e32 v2, v7, v2
	s_waitcnt lgkmcnt(1)
	v_mul_f32_e32 v94, v2, v93
	ds_bpermute_b32 v2, v86, v89 offset:16
	ds_bpermute_b32 v15, v86, v90 offset:20
	;; [unrolled: 1-line block ×3, first 2 shown]
	s_waitcnt lgkmcnt(3)
	v_sub_f32_e32 v13, v16, v13
	v_mul_f32_e32 v13, v8, v13
	s_waitcnt lgkmcnt(2)
	v_mul_f32_e32 v16, v13, v2
	s_waitcnt lgkmcnt(1)
	v_sub_f32_e32 v2, v17, v15
	v_mul_f32_e32 v2, v9, v2
	s_waitcnt lgkmcnt(0)
	v_mul_f32_e32 v96, v2, v91
	ds_bpermute_b32 v2, v86, v90 offset:24
	v_mov_b32_e32 v15, v6
	ds_bpermute_b32 v6, v86, v89 offset:24
	v_mov_b32_e32 v13, v4
	v_pk_add_f32 v[12:13], v[26:27], v[12:13]
	v_mov_b32_e32 v93, v5
	v_pk_add_f32 v[4:5], v[92:93], v[12:13]
	v_mov_b32_e32 v17, v8
	s_waitcnt lgkmcnt(1)
	v_sub_f32_e32 v2, v18, v2
	ds_bpermute_b32 v8, v86, v90 offset:28
	v_pk_add_f32 v[4:5], v[14:15], v[4:5]
	v_mul_f32_e32 v2, v10, v2
	v_pk_add_f32 v[4:5], v[94:95], v[4:5]
	s_waitcnt lgkmcnt(1)
	v_mul_f32_e32 v6, v2, v6
	ds_bpermute_b32 v2, v86, v89 offset:28
	v_pk_add_f32 v[4:5], v[16:17], v[4:5]
	v_mov_b32_e32 v97, v9
	v_pk_add_f32 v[4:5], v[96:97], v[4:5]
	v_mov_b32_e32 v7, v10
	v_pk_add_f32 v[4:5], v[6:7], v[4:5]
	s_waitcnt lgkmcnt(1)
	v_sub_f32_e32 v6, v19, v8
	v_mul_f32_e32 v6, v11, v6
	s_waitcnt lgkmcnt(0)
	v_mul_f32_e32 v10, v6, v2
	s_branch .LBB65_54
.LBB65_77:                              ;   in Loop: Header=BB65_55 Depth=1
                                        ; implicit-def: $vgpr4_vgpr5
                                        ; implicit-def: $vgpr10_vgpr11
	s_cbranch_execz .LBB65_54
; %bb.78:                               ;   in Loop: Header=BB65_55 Depth=1
	s_load_dword s0, s[2:3], 0x0
	v_mov_b32_e32 v2, 0
	v_mov_b32_e32 v6, 0
	s_waitcnt lgkmcnt(0)
	s_cmp_lt_u32 s6, s0
	s_cselect_b32 s0, 12, 18
	s_add_u32 s0, s2, s0
	s_addc_u32 s1, s3, 0
	global_load_ushort v4, v3, s[0:1]
	s_waitcnt vmcnt(0)
	v_mad_u32_u24 v4, v81, v4, v83
	v_and_b32_e32 v4, 63, v4
	v_cmp_gt_u32_e32 vcc, 8, v4
	s_and_saveexec_b64 s[0:1], vcc
	s_cbranch_execz .LBB65_53
; %bb.79:                               ;   in Loop: Header=BB65_55 Depth=1
	v_add_co_u32_e32 v2, vcc, v87, v4
	v_addc_co_u32_e32 v5, vcc, 0, v88, vcc
	v_add_co_u32_e32 v4, vcc, 0xffffffc1, v2
	v_addc_co_u32_e32 v5, vcc, -1, v5, vcc
	v_cmp_gt_i64_e32 vcc, s[12:13], v[4:5]
	v_mov_b32_e32 v6, 0
	v_mov_b32_e32 v2, 0
	s_and_saveexec_b64 s[18:19], vcc
	s_cbranch_execz .LBB65_52
; %bb.80:                               ;   in Loop: Header=BB65_55 Depth=1
	v_lshlrev_b64 v[4:5], 2, v[4:5]
	v_mov_b32_e32 v2, s31
	v_add_co_u32_e32 v8, vcc, s30, v4
	v_addc_co_u32_e32 v9, vcc, v2, v5, vcc
	v_mov_b32_e32 v2, s29
	v_add_co_u32_e32 v4, vcc, s28, v4
	v_addc_co_u32_e32 v5, vcc, v2, v5, vcc
	global_load_dword v6, v[4:5], off
	global_load_dword v2, v[8:9], off
	s_branch .LBB65_52
.LBB65_81:
	v_and_b32_e32 v2, 0x3ff, v0
	v_bfe_u32 v0, v0, 10, 10
	v_mad_u32_u24 v1, v0, 33, v2
	v_lshl_add_u32 v3, v1, 2, 0
	v_sub_u32_e32 v1, v1, v0
	s_movk_i32 s0, 0x800
	s_mov_b32 s7, 0
	v_cmp_gt_u32_e32 vcc, s0, v1
	ds_write_b32 v3, v26
	ds_write_b32 v3, v27 offset:1056
	s_waitcnt lgkmcnt(0)
	s_barrier
	s_and_saveexec_b64 s[0:1], vcc
	s_cbranch_execz .LBB65_91
; %bb.82:
	v_mbcnt_lo_u32_b32 v3, -1, 0
	v_mbcnt_hi_u32_b32 v3, -1, v3
	v_and_b32_e32 v4, 64, v3
	v_add_u32_e32 v4, 64, v4
	v_cmp_eq_u32_e64 s[2:3], 0, v2
	v_xor_b32_e32 v2, 4, v3
	v_cmp_lt_i32_e32 vcc, v2, v4
	s_load_dwordx4 s[8:11], s[4:5], 0x30
	v_cndmask_b32_e32 v2, v3, v2, vcc
	v_lshlrev_b32_e32 v8, 2, v2
	v_xor_b32_e32 v2, 2, v3
	v_cmp_lt_i32_e32 vcc, v2, v4
	v_cndmask_b32_e32 v2, v3, v2, vcc
	s_lshl_b64 s[12:13], s[6:7], 5
	v_lshlrev_b32_e32 v9, 2, v2
	v_xor_b32_e32 v2, 1, v3
	s_waitcnt lgkmcnt(0)
	s_cmp_lg_u64 s[8:9], 0
	v_cmp_lt_i32_e32 vcc, v2, v4
	v_lshrrev_b32_e32 v0, 6, v1
	s_cselect_b64 s[4:5], -1, 0
	s_cmp_lg_u64 s[10:11], 0
	v_cndmask_b32_e32 v2, v3, v2, vcc
	s_cselect_b64 s[18:19], -1, 0
	v_lshlrev_b32_e32 v10, 2, v2
	s_lshl_b64 s[6:7], s[6:7], 7
	v_lshlrev_b32_e32 v2, 2, v0
	v_mov_b32_e32 v3, s7
	v_add_co_u32_e32 v4, vcc, s6, v2
	v_and_b32_e32 v6, 63, v1
	v_addc_co_u32_e32 v5, vcc, 0, v3, vcc
	v_cmp_gt_u32_e64 s[0:1], 8, v6
	v_mov_b32_e32 v3, s11
	v_add_co_u32_e32 v2, vcc, s10, v4
	v_mad_u32_u24 v6, v6, 33, v0
	v_addc_co_u32_e32 v3, vcc, v3, v5, vcc
	v_lshl_add_u32 v11, v6, 2, 0
	v_cndmask_b32_e64 v6, 0, 1, s[4:5]
	v_mov_b32_e32 v7, s9
	v_add_co_u32_e32 v4, vcc, s8, v4
	v_cmp_ne_u32_e64 s[4:5], 1, v6
	v_cndmask_b32_e64 v6, 0, 1, s[18:19]
	v_mov_b32_e32 v1, 0
	s_mov_b64 s[16:17], 0
	v_addc_co_u32_e32 v5, vcc, v7, v5, vcc
	v_mov_b32_e32 v12, s13
	v_cmp_ne_u32_e64 s[6:7], 1, v6
                                        ; implicit-def: $vgpr6
	s_branch .LBB65_84
.LBB65_83:                              ;   in Loop: Header=BB65_84 Depth=1
	s_or_b64 exec, exec, s[8:9]
	v_add_co_u32_e32 v0, vcc, 4, v0
	v_addc_co_u32_e32 v1, vcc, 0, v1, vcc
	v_add_co_u32_e32 v2, vcc, 16, v2
	v_addc_co_u32_e32 v3, vcc, 0, v3, vcc
	v_add_co_u32_e32 v4, vcc, 16, v4
	v_add_u32_e32 v13, -4, v0
	v_addc_co_u32_e32 v5, vcc, 0, v5, vcc
	v_cmp_lt_u32_e32 vcc, 27, v13
	s_or_b64 s[16:17], vcc, s[16:17]
	v_add_u32_e32 v11, 16, v11
	s_andn2_b64 exec, exec, s[16:17]
	s_cbranch_execz .LBB65_91
.LBB65_84:                              ; =>This Inner Loop Header: Depth=1
	s_and_saveexec_b64 s[8:9], s[0:1]
	s_cbranch_execz .LBB65_86
; %bb.85:                               ;   in Loop: Header=BB65_84 Depth=1
	ds_read_b32 v7, v11
	ds_read_b32 v6, v11 offset:1056
.LBB65_86:                              ;   in Loop: Header=BB65_84 Depth=1
	s_or_b64 exec, exec, s[8:9]
	s_waitcnt lgkmcnt(1)
	ds_bpermute_b32 v15, v8, v7
	s_waitcnt lgkmcnt(1)
	ds_bpermute_b32 v14, v8, v6
	v_add_co_u32_e32 v16, vcc, s12, v0
	v_addc_co_u32_e32 v17, vcc, v12, v1, vcc
	s_waitcnt lgkmcnt(0)
	v_pk_add_f32 v[6:7], v[6:7], v[14:15]
	ds_bpermute_b32 v15, v9, v7
	ds_bpermute_b32 v14, v9, v6
	v_cmp_gt_i64_e32 vcc, s[14:15], v[16:17]
	s_and_b64 s[10:11], s[2:3], vcc
	s_waitcnt lgkmcnt(0)
	v_pk_add_f32 v[6:7], v[6:7], v[14:15]
	ds_bpermute_b32 v15, v10, v7
	ds_bpermute_b32 v14, v10, v6
	s_waitcnt lgkmcnt(0)
	v_pk_add_f32 v[6:7], v[6:7], v[14:15]
	s_and_saveexec_b64 s[8:9], s[10:11]
	s_cbranch_execz .LBB65_83
; %bb.87:                               ;   in Loop: Header=BB65_84 Depth=1
	s_and_b64 vcc, exec, s[4:5]
	s_cbranch_vccnz .LBB65_89
; %bb.88:                               ;   in Loop: Header=BB65_84 Depth=1
	global_store_dword v[4:5], v7, off
.LBB65_89:                              ;   in Loop: Header=BB65_84 Depth=1
	s_and_b64 vcc, exec, s[6:7]
	s_cbranch_vccnz .LBB65_83
; %bb.90:                               ;   in Loop: Header=BB65_84 Depth=1
	global_store_dword v[2:3], v6, off
	s_branch .LBB65_83
.LBB65_91:
	s_endpgm
	.section	.rodata,"a",@progbits
	.p2align	6, 0x0
	.amdhsa_kernel _ZN2at6native12_GLOBAL__N_135GammaBetaBackwardCUDAKernelTemplateIffLj32ELj8ELj64ELb0ELb0ELb0EEEvllPKT_S5_PKT0_S8_PS3_S9_
		.amdhsa_group_segment_fixed_size 0
		.amdhsa_private_segment_fixed_size 0
		.amdhsa_kernarg_size 320
		.amdhsa_user_sgpr_count 6
		.amdhsa_user_sgpr_private_segment_buffer 1
		.amdhsa_user_sgpr_dispatch_ptr 0
		.amdhsa_user_sgpr_queue_ptr 0
		.amdhsa_user_sgpr_kernarg_segment_ptr 1
		.amdhsa_user_sgpr_dispatch_id 0
		.amdhsa_user_sgpr_flat_scratch_init 0
		.amdhsa_user_sgpr_kernarg_preload_length 0
		.amdhsa_user_sgpr_kernarg_preload_offset 0
		.amdhsa_user_sgpr_private_segment_size 0
		.amdhsa_uses_dynamic_stack 0
		.amdhsa_system_sgpr_private_segment_wavefront_offset 0
		.amdhsa_system_sgpr_workgroup_id_x 1
		.amdhsa_system_sgpr_workgroup_id_y 1
		.amdhsa_system_sgpr_workgroup_id_z 0
		.amdhsa_system_sgpr_workgroup_info 0
		.amdhsa_system_vgpr_workitem_id 1
		.amdhsa_next_free_vgpr 98
		.amdhsa_next_free_sgpr 44
		.amdhsa_accum_offset 100
		.amdhsa_reserve_vcc 1
		.amdhsa_reserve_flat_scratch 0
		.amdhsa_float_round_mode_32 0
		.amdhsa_float_round_mode_16_64 0
		.amdhsa_float_denorm_mode_32 3
		.amdhsa_float_denorm_mode_16_64 3
		.amdhsa_dx10_clamp 1
		.amdhsa_ieee_mode 1
		.amdhsa_fp16_overflow 0
		.amdhsa_tg_split 0
		.amdhsa_exception_fp_ieee_invalid_op 0
		.amdhsa_exception_fp_denorm_src 0
		.amdhsa_exception_fp_ieee_div_zero 0
		.amdhsa_exception_fp_ieee_overflow 0
		.amdhsa_exception_fp_ieee_underflow 0
		.amdhsa_exception_fp_ieee_inexact 0
		.amdhsa_exception_int_div_zero 0
	.end_amdhsa_kernel
	.section	.text._ZN2at6native12_GLOBAL__N_135GammaBetaBackwardCUDAKernelTemplateIffLj32ELj8ELj64ELb0ELb0ELb0EEEvllPKT_S5_PKT0_S8_PS3_S9_,"axG",@progbits,_ZN2at6native12_GLOBAL__N_135GammaBetaBackwardCUDAKernelTemplateIffLj32ELj8ELj64ELb0ELb0ELb0EEEvllPKT_S5_PKT0_S8_PS3_S9_,comdat
.Lfunc_end65:
	.size	_ZN2at6native12_GLOBAL__N_135GammaBetaBackwardCUDAKernelTemplateIffLj32ELj8ELj64ELb0ELb0ELb0EEEvllPKT_S5_PKT0_S8_PS3_S9_, .Lfunc_end65-_ZN2at6native12_GLOBAL__N_135GammaBetaBackwardCUDAKernelTemplateIffLj32ELj8ELj64ELb0ELb0ELb0EEEvllPKT_S5_PKT0_S8_PS3_S9_
                                        ; -- End function
	.section	.AMDGPU.csdata,"",@progbits
; Kernel info:
; codeLenInByte = 7276
; NumSgprs: 48
; NumVgprs: 98
; NumAgprs: 0
; TotalNumVgprs: 98
; ScratchSize: 0
; MemoryBound: 0
; FloatMode: 240
; IeeeMode: 1
; LDSByteSize: 0 bytes/workgroup (compile time only)
; SGPRBlocks: 5
; VGPRBlocks: 12
; NumSGPRsForWavesPerEU: 48
; NumVGPRsForWavesPerEU: 98
; AccumOffset: 100
; Occupancy: 4
; WaveLimiterHint : 0
; COMPUTE_PGM_RSRC2:SCRATCH_EN: 0
; COMPUTE_PGM_RSRC2:USER_SGPR: 6
; COMPUTE_PGM_RSRC2:TRAP_HANDLER: 0
; COMPUTE_PGM_RSRC2:TGID_X_EN: 1
; COMPUTE_PGM_RSRC2:TGID_Y_EN: 1
; COMPUTE_PGM_RSRC2:TGID_Z_EN: 0
; COMPUTE_PGM_RSRC2:TIDIG_COMP_CNT: 1
; COMPUTE_PGM_RSRC3_GFX90A:ACCUM_OFFSET: 24
; COMPUTE_PGM_RSRC3_GFX90A:TG_SPLIT: 0
	.section	.text._ZN2at6native12_GLOBAL__N_135GammaBetaBackwardCUDAKernelTemplateIffLj32ELj16ELj128ELb0ELb1ELb0EEEvllPKT_S5_PKT0_S8_PS3_S9_,"axG",@progbits,_ZN2at6native12_GLOBAL__N_135GammaBetaBackwardCUDAKernelTemplateIffLj32ELj16ELj128ELb0ELb1ELb0EEEvllPKT_S5_PKT0_S8_PS3_S9_,comdat
	.globl	_ZN2at6native12_GLOBAL__N_135GammaBetaBackwardCUDAKernelTemplateIffLj32ELj16ELj128ELb0ELb1ELb0EEEvllPKT_S5_PKT0_S8_PS3_S9_ ; -- Begin function _ZN2at6native12_GLOBAL__N_135GammaBetaBackwardCUDAKernelTemplateIffLj32ELj16ELj128ELb0ELb1ELb0EEEvllPKT_S5_PKT0_S8_PS3_S9_
	.p2align	8
	.type	_ZN2at6native12_GLOBAL__N_135GammaBetaBackwardCUDAKernelTemplateIffLj32ELj16ELj128ELb0ELb1ELb0EEEvllPKT_S5_PKT0_S8_PS3_S9_,@function
_ZN2at6native12_GLOBAL__N_135GammaBetaBackwardCUDAKernelTemplateIffLj32ELj16ELj128ELb0ELb1ELb0EEEvllPKT_S5_PKT0_S8_PS3_S9_: ; @_ZN2at6native12_GLOBAL__N_135GammaBetaBackwardCUDAKernelTemplateIffLj32ELj16ELj128ELb0ELb1ELb0EEEvllPKT_S5_PKT0_S8_PS3_S9_
; %bb.0:
	s_load_dwordx4 s[20:23], s[4:5], 0x0
	s_lshl_b32 s2, s7, 7
	s_mov_b32 s3, 0
	v_bfe_u32 v12, v0, 10, 10
	s_waitcnt lgkmcnt(0)
	v_pk_mov_b32 v[2:3], s[20:21], s[20:21] op_sel:[0,1]
	v_cmp_lt_i64_e32 vcc, s[2:3], v[2:3]
	s_cbranch_vccnz .LBB66_2
; %bb.1:
	s_mov_b64 s[0:1], 0
	v_bfe_u32 v2, v0, 10, 10
	s_branch .LBB66_3
.LBB66_2:
	s_mov_b64 s[0:1], -1
                                        ; implicit-def: $vgpr2
.LBB66_3:
	s_load_dwordx4 s[16:19], s[4:5], 0x30
	v_and_b32_e32 v10, 0x3ff, v0
	s_andn2_b64 vcc, exec, s[0:1]
	v_mov_b32_e32 v1, s3
	v_mbcnt_lo_u32_b32 v11, -1, 0
	v_mov_b32_e32 v0, s3
	s_cbranch_vccnz .LBB66_11
; %bb.4:
	s_load_dword s0, s[4:5], 0x4c
	s_load_dword s7, s[4:5], 0x44
	s_load_dwordx8 s[8:15], s[4:5], 0x10
	v_mbcnt_hi_u32_b32 v4, -1, v11
	v_lshlrev_b32_e32 v2, 3, v12
	s_waitcnt lgkmcnt(0)
	s_and_b32 s0, s0, 0xffff
	v_lshlrev_b32_e32 v4, 2, v4
	v_mad_u32_u24 v0, v12, s0, v10
	v_and_b32_e32 v13, 0x100, v4
	v_mov_b32_e32 v4, s3
	v_add_co_u32_e32 v6, vcc, s2, v2
	v_and_b32_e32 v3, 63, v0
	v_addc_co_u32_e32 v7, vcc, 0, v4, vcc
	v_add_co_u32_e32 v2, vcc, v6, v3
	v_cmp_gt_u32_e64 s[0:1], 8, v3
	s_lshl_b32 s4, s7, 7
	v_addc_co_u32_e32 v3, vcc, 0, v7, vcc
	v_mul_lo_u32 v8, s23, v6
	v_mul_lo_u32 v9, s22, v7
	v_mad_u64_u32 v[6:7], s[26:27], s22, v6, 0
	v_mov_b32_e32 v1, 0
	v_lshl_add_u32 v0, s6, 5, v10
	v_add3_u32 v7, v7, v9, v8
	s_mul_i32 s7, s23, s4
	s_mul_hi_u32 s26, s22, s4
	s_mov_b32 s5, 0
	v_lshlrev_b64 v[6:7], 2, v[6:7]
	v_lshlrev_b64 v[8:9], 2, v[0:1]
	s_add_i32 s27, s26, s7
	s_mul_i32 s26, s22, s4
	s_lshl_b64 s[24:25], s[4:5], 2
	v_add_co_u32_e32 v6, vcc, v6, v8
	s_lshl_b64 s[26:27], s[26:27], 2
	s_lshl_b64 s[22:23], s[22:23], 2
	v_or_b32_e32 v14, 4, v13
	v_or_b32_e32 v15, 8, v13
	;; [unrolled: 1-line block ×7, first 2 shown]
	v_lshlrev_b64 v[4:5], 2, v[2:3]
	v_addc_co_u32_e32 v7, vcc, v7, v9, vcc
	v_mov_b32_e32 v21, s9
	v_mov_b32_e32 v22, s11
	;; [unrolled: 1-line block ×6, first 2 shown]
	v_pk_mov_b32 v[8:9], s[20:21], s[20:21] op_sel:[0,1]
	v_mov_b32_e32 v0, v1
	s_branch .LBB66_7
.LBB66_5:                               ;   in Loop: Header=BB66_7 Depth=1
	s_or_b64 exec, exec, s[30:31]
.LBB66_6:                               ;   in Loop: Header=BB66_7 Depth=1
	s_or_b64 exec, exec, s[28:29]
	v_add_co_u32_e32 v30, vcc, s8, v6
	v_addc_co_u32_e32 v31, vcc, v21, v7, vcc
	v_add_co_u32_e32 v34, vcc, s10, v6
	v_addc_co_u32_e32 v35, vcc, v22, v7, vcc
	global_load_dword v33, v[30:31], off
	v_add_co_u32_e32 v30, vcc, s22, v30
	v_addc_co_u32_e32 v31, vcc, v31, v23, vcc
	global_load_dword v32, v[34:35], off
	;; [unrolled: 3-line block ×13, first 2 shown]
	global_load_dword v47, v[30:31], off
	v_add_co_u32_e32 v30, vcc, s22, v30
	v_addc_co_u32_e32 v31, vcc, v31, v23, vcc
	v_add_co_u32_e32 v34, vcc, s22, v34
	v_addc_co_u32_e32 v35, vcc, v35, v23, vcc
	global_load_dword v48, v[34:35], off
	global_load_dword v29, v[30:31], off
	s_waitcnt vmcnt(17)
	ds_bpermute_b32 v30, v13, v28
	s_waitcnt vmcnt(16)
	ds_bpermute_b32 v31, v13, v27
	ds_bpermute_b32 v34, v14, v28
	ds_bpermute_b32 v35, v15, v27
	v_add_co_u32_e32 v4, vcc, s24, v4
	v_addc_co_u32_e32 v5, vcc, v5, v24, vcc
	v_add_co_u32_e32 v2, vcc, s4, v2
	v_addc_co_u32_e32 v3, vcc, v3, v25, vcc
	s_add_u32 s2, s2, s4
	v_add_co_u32_e32 v6, vcc, s26, v6
	s_waitcnt vmcnt(14) lgkmcnt(3)
	v_sub_f32_e32 v30, v32, v30
	v_mul_f32_e32 v30, v33, v30
	s_waitcnt lgkmcnt(2)
	v_mul_f32_e32 v32, v30, v31
	ds_bpermute_b32 v30, v14, v27
	ds_bpermute_b32 v31, v15, v28
	v_pk_add_f32 v[0:1], v[0:1], v[32:33]
	s_addc_u32 s3, s3, 0
	v_addc_co_u32_e32 v7, vcc, v7, v26, vcc
	v_cmp_lt_i64_e32 vcc, s[2:3], v[8:9]
	s_waitcnt vmcnt(12) lgkmcnt(3)
	v_sub_f32_e32 v34, v36, v34
	v_mul_f32_e32 v34, v37, v34
	s_waitcnt lgkmcnt(1)
	v_mul_f32_e32 v36, v34, v30
	ds_bpermute_b32 v34, v17, v28
	v_pk_add_f32 v[0:1], v[0:1], v[36:37]
	s_and_b64 vcc, exec, vcc
	s_waitcnt vmcnt(10) lgkmcnt(1)
	v_sub_f32_e32 v30, v38, v31
	ds_bpermute_b32 v31, v16, v28
	v_mul_f32_e32 v30, v39, v30
	v_mul_f32_e32 v38, v30, v35
	ds_bpermute_b32 v30, v16, v27
	ds_bpermute_b32 v35, v17, v27
	v_pk_add_f32 v[0:1], v[0:1], v[38:39]
	s_waitcnt vmcnt(8) lgkmcnt(2)
	v_sub_f32_e32 v31, v40, v31
	v_mul_f32_e32 v31, v41, v31
	s_waitcnt lgkmcnt(1)
	v_mul_f32_e32 v40, v31, v30
	ds_bpermute_b32 v31, v18, v28
	v_pk_add_f32 v[0:1], v[0:1], v[40:41]
	s_waitcnt vmcnt(6)
	v_sub_f32_e32 v30, v42, v34
	v_mul_f32_e32 v30, v43, v30
	s_waitcnt lgkmcnt(1)
	v_mul_f32_e32 v42, v30, v35
	ds_bpermute_b32 v30, v18, v27
	ds_bpermute_b32 v34, v19, v28
	;; [unrolled: 1-line block ×5, first 2 shown]
	v_pk_add_f32 v[0:1], v[0:1], v[42:43]
	s_waitcnt vmcnt(4) lgkmcnt(5)
	v_sub_f32_e32 v31, v44, v31
	v_mul_f32_e32 v31, v45, v31
	s_waitcnt lgkmcnt(4)
	v_mul_f32_e32 v44, v31, v30
	v_pk_add_f32 v[0:1], v[0:1], v[44:45]
	s_waitcnt vmcnt(3) lgkmcnt(3)
	v_sub_f32_e32 v30, v46, v34
	s_waitcnt vmcnt(2)
	v_mul_f32_e32 v30, v47, v30
	s_waitcnt lgkmcnt(1)
	v_mul_f32_e32 v46, v30, v35
	v_pk_add_f32 v[0:1], v[0:1], v[46:47]
	s_waitcnt vmcnt(1)
	v_sub_f32_e32 v28, v48, v28
	s_waitcnt vmcnt(0)
	v_mul_f32_e32 v28, v29, v28
	s_waitcnt lgkmcnt(0)
	v_mul_f32_e32 v28, v28, v27
	v_pk_add_f32 v[0:1], v[0:1], v[28:29]
	s_cbranch_vccz .LBB66_10
.LBB66_7:                               ; =>This Inner Loop Header: Depth=1
	v_mov_b32_e32 v27, 0
	v_mov_b32_e32 v28, 0
	s_and_saveexec_b64 s[28:29], s[0:1]
	s_cbranch_execz .LBB66_6
; %bb.8:                                ;   in Loop: Header=BB66_7 Depth=1
	v_cmp_gt_i64_e32 vcc, s[20:21], v[2:3]
	v_mov_b32_e32 v28, 0
	v_mov_b32_e32 v27, 0
	s_and_saveexec_b64 s[30:31], vcc
	s_cbranch_execz .LBB66_5
; %bb.9:                                ;   in Loop: Header=BB66_7 Depth=1
	v_mov_b32_e32 v27, s15
	v_add_co_u32_e32 v30, vcc, s14, v4
	v_addc_co_u32_e32 v31, vcc, v27, v5, vcc
	v_mov_b32_e32 v27, s13
	v_add_co_u32_e32 v32, vcc, s12, v4
	v_addc_co_u32_e32 v33, vcc, v27, v5, vcc
	global_load_dword v28, v[32:33], off
	global_load_dword v27, v[30:31], off
	s_branch .LBB66_5
.LBB66_10:
	v_mov_b32_e32 v2, v12
.LBB66_11:
	v_mad_u32_u24 v3, v2, 33, v10
	v_lshl_add_u32 v4, v3, 2, 0
	ds_write_b32 v4, v0
	ds_write_b32 v4, v1 offset:2112
	v_sub_u32_e32 v0, v3, v2
	s_movk_i32 s0, 0x800
	s_mov_b32 s7, 0
	v_cmp_gt_u32_e32 vcc, s0, v0
	s_waitcnt lgkmcnt(0)
	s_barrier
	s_and_saveexec_b64 s[0:1], vcc
	s_cbranch_execz .LBB66_21
; %bb.12:
	v_lshrrev_b32_e32 v4, 6, v0
	v_and_b32_e32 v5, 63, v0
	v_mbcnt_hi_u32_b32 v0, -1, v11
	v_and_b32_e32 v1, 64, v0
	v_add_u32_e32 v1, 64, v1
	v_xor_b32_e32 v2, 8, v0
	v_cmp_lt_i32_e32 vcc, v2, v1
	v_cndmask_b32_e32 v2, v0, v2, vcc
	v_lshlrev_b32_e32 v6, 2, v2
	v_xor_b32_e32 v2, 4, v0
	v_cmp_lt_i32_e32 vcc, v2, v1
	v_cndmask_b32_e32 v2, v0, v2, vcc
	v_lshlrev_b32_e32 v7, 2, v2
	;; [unrolled: 4-line block ×3, first 2 shown]
	v_xor_b32_e32 v2, 1, v0
	s_cmp_lg_u64 s[16:17], 0
	v_cmp_lt_i32_e32 vcc, v2, v1
	s_cselect_b64 s[4:5], -1, 0
	s_cmp_lg_u64 s[18:19], 0
	v_cndmask_b32_e32 v0, v0, v2, vcc
	s_cselect_b64 s[10:11], -1, 0
	v_lshlrev_b32_e32 v9, 2, v0
	s_lshl_b64 s[6:7], s[6:7], 7
	v_lshlrev_b32_e32 v0, 2, v4
	v_mov_b32_e32 v1, s7
	v_add_co_u32_e32 v2, vcc, s6, v0
	v_addc_co_u32_e32 v3, vcc, 0, v1, vcc
	v_mov_b32_e32 v1, s19
	v_add_co_u32_e32 v0, vcc, s18, v2
	v_addc_co_u32_e32 v1, vcc, v1, v3, vcc
	v_cmp_eq_u32_e64 s[2:3], 0, v10
	v_add_u32_e32 v10, -8, v4
	v_mov_b32_e32 v11, s17
	v_add_co_u32_e32 v2, vcc, s16, v2
	v_mad_u32_u24 v4, v5, 33, v4
	v_addc_co_u32_e32 v3, vcc, v11, v3, vcc
	v_lshl_add_u32 v11, v4, 2, 0
	v_cndmask_b32_e64 v4, 0, 1, s[4:5]
	v_cmp_ne_u32_e64 s[4:5], 1, v4
	v_cndmask_b32_e64 v4, 0, 1, s[10:11]
	v_cmp_gt_u32_e64 s[0:1], 16, v5
	s_mov_b64 s[8:9], 0
	v_cmp_ne_u32_e64 s[6:7], 1, v4
                                        ; implicit-def: $vgpr4
	s_branch .LBB66_14
.LBB66_13:                              ;   in Loop: Header=BB66_14 Depth=1
	s_or_b64 exec, exec, s[10:11]
	v_add_co_u32_e32 v0, vcc, 32, v0
	v_addc_co_u32_e32 v1, vcc, 0, v1, vcc
	v_add_co_u32_e32 v2, vcc, 32, v2
	v_add_u32_e32 v10, 8, v10
	v_addc_co_u32_e32 v3, vcc, 0, v3, vcc
	v_cmp_lt_u32_e32 vcc, 23, v10
	s_or_b64 s[8:9], vcc, s[8:9]
	v_add_u32_e32 v11, 32, v11
	s_andn2_b64 exec, exec, s[8:9]
	s_cbranch_execz .LBB66_21
.LBB66_14:                              ; =>This Inner Loop Header: Depth=1
	s_and_saveexec_b64 s[10:11], s[0:1]
	s_cbranch_execz .LBB66_16
; %bb.15:                               ;   in Loop: Header=BB66_14 Depth=1
	ds_read_b32 v5, v11
	ds_read_b32 v4, v11 offset:2112
.LBB66_16:                              ;   in Loop: Header=BB66_14 Depth=1
	s_or_b64 exec, exec, s[10:11]
	s_waitcnt lgkmcnt(1)
	ds_bpermute_b32 v13, v6, v5
	s_waitcnt lgkmcnt(1)
	ds_bpermute_b32 v12, v6, v4
	s_waitcnt lgkmcnt(0)
	v_pk_add_f32 v[4:5], v[4:5], v[12:13]
	ds_bpermute_b32 v13, v7, v5
	ds_bpermute_b32 v12, v7, v4
	s_waitcnt lgkmcnt(0)
	v_pk_add_f32 v[4:5], v[4:5], v[12:13]
	ds_bpermute_b32 v13, v8, v5
	;; [unrolled: 4-line block ×3, first 2 shown]
	ds_bpermute_b32 v12, v9, v4
	s_waitcnt lgkmcnt(0)
	v_pk_add_f32 v[4:5], v[4:5], v[12:13]
	s_and_saveexec_b64 s[10:11], s[2:3]
	s_cbranch_execz .LBB66_13
; %bb.17:                               ;   in Loop: Header=BB66_14 Depth=1
	s_and_b64 vcc, exec, s[4:5]
	s_cbranch_vccnz .LBB66_19
; %bb.18:                               ;   in Loop: Header=BB66_14 Depth=1
	global_store_dword v[2:3], v5, off
.LBB66_19:                              ;   in Loop: Header=BB66_14 Depth=1
	s_and_b64 vcc, exec, s[6:7]
	s_cbranch_vccnz .LBB66_13
; %bb.20:                               ;   in Loop: Header=BB66_14 Depth=1
	global_store_dword v[0:1], v4, off
	s_branch .LBB66_13
.LBB66_21:
	s_endpgm
	.section	.rodata,"a",@progbits
	.p2align	6, 0x0
	.amdhsa_kernel _ZN2at6native12_GLOBAL__N_135GammaBetaBackwardCUDAKernelTemplateIffLj32ELj16ELj128ELb0ELb1ELb0EEEvllPKT_S5_PKT0_S8_PS3_S9_
		.amdhsa_group_segment_fixed_size 0
		.amdhsa_private_segment_fixed_size 0
		.amdhsa_kernarg_size 320
		.amdhsa_user_sgpr_count 6
		.amdhsa_user_sgpr_private_segment_buffer 1
		.amdhsa_user_sgpr_dispatch_ptr 0
		.amdhsa_user_sgpr_queue_ptr 0
		.amdhsa_user_sgpr_kernarg_segment_ptr 1
		.amdhsa_user_sgpr_dispatch_id 0
		.amdhsa_user_sgpr_flat_scratch_init 0
		.amdhsa_user_sgpr_kernarg_preload_length 0
		.amdhsa_user_sgpr_kernarg_preload_offset 0
		.amdhsa_user_sgpr_private_segment_size 0
		.amdhsa_uses_dynamic_stack 0
		.amdhsa_system_sgpr_private_segment_wavefront_offset 0
		.amdhsa_system_sgpr_workgroup_id_x 1
		.amdhsa_system_sgpr_workgroup_id_y 1
		.amdhsa_system_sgpr_workgroup_id_z 0
		.amdhsa_system_sgpr_workgroup_info 0
		.amdhsa_system_vgpr_workitem_id 1
		.amdhsa_next_free_vgpr 49
		.amdhsa_next_free_sgpr 32
		.amdhsa_accum_offset 52
		.amdhsa_reserve_vcc 1
		.amdhsa_reserve_flat_scratch 0
		.amdhsa_float_round_mode_32 0
		.amdhsa_float_round_mode_16_64 0
		.amdhsa_float_denorm_mode_32 3
		.amdhsa_float_denorm_mode_16_64 3
		.amdhsa_dx10_clamp 1
		.amdhsa_ieee_mode 1
		.amdhsa_fp16_overflow 0
		.amdhsa_tg_split 0
		.amdhsa_exception_fp_ieee_invalid_op 0
		.amdhsa_exception_fp_denorm_src 0
		.amdhsa_exception_fp_ieee_div_zero 0
		.amdhsa_exception_fp_ieee_overflow 0
		.amdhsa_exception_fp_ieee_underflow 0
		.amdhsa_exception_fp_ieee_inexact 0
		.amdhsa_exception_int_div_zero 0
	.end_amdhsa_kernel
	.section	.text._ZN2at6native12_GLOBAL__N_135GammaBetaBackwardCUDAKernelTemplateIffLj32ELj16ELj128ELb0ELb1ELb0EEEvllPKT_S5_PKT0_S8_PS3_S9_,"axG",@progbits,_ZN2at6native12_GLOBAL__N_135GammaBetaBackwardCUDAKernelTemplateIffLj32ELj16ELj128ELb0ELb1ELb0EEEvllPKT_S5_PKT0_S8_PS3_S9_,comdat
.Lfunc_end66:
	.size	_ZN2at6native12_GLOBAL__N_135GammaBetaBackwardCUDAKernelTemplateIffLj32ELj16ELj128ELb0ELb1ELb0EEEvllPKT_S5_PKT0_S8_PS3_S9_, .Lfunc_end66-_ZN2at6native12_GLOBAL__N_135GammaBetaBackwardCUDAKernelTemplateIffLj32ELj16ELj128ELb0ELb1ELb0EEEvllPKT_S5_PKT0_S8_PS3_S9_
                                        ; -- End function
	.section	.AMDGPU.csdata,"",@progbits
; Kernel info:
; codeLenInByte = 1668
; NumSgprs: 36
; NumVgprs: 49
; NumAgprs: 0
; TotalNumVgprs: 49
; ScratchSize: 0
; MemoryBound: 0
; FloatMode: 240
; IeeeMode: 1
; LDSByteSize: 0 bytes/workgroup (compile time only)
; SGPRBlocks: 4
; VGPRBlocks: 6
; NumSGPRsForWavesPerEU: 36
; NumVGPRsForWavesPerEU: 49
; AccumOffset: 52
; Occupancy: 8
; WaveLimiterHint : 0
; COMPUTE_PGM_RSRC2:SCRATCH_EN: 0
; COMPUTE_PGM_RSRC2:USER_SGPR: 6
; COMPUTE_PGM_RSRC2:TRAP_HANDLER: 0
; COMPUTE_PGM_RSRC2:TGID_X_EN: 1
; COMPUTE_PGM_RSRC2:TGID_Y_EN: 1
; COMPUTE_PGM_RSRC2:TGID_Z_EN: 0
; COMPUTE_PGM_RSRC2:TIDIG_COMP_CNT: 1
; COMPUTE_PGM_RSRC3_GFX90A:ACCUM_OFFSET: 12
; COMPUTE_PGM_RSRC3_GFX90A:TG_SPLIT: 0
	.section	.text._ZN2at6native12_GLOBAL__N_135GammaBetaBackwardCUDAKernelTemplateIffLj32ELj16ELj128ELb0ELb0ELb0EEEvllPKT_S5_PKT0_S8_PS3_S9_,"axG",@progbits,_ZN2at6native12_GLOBAL__N_135GammaBetaBackwardCUDAKernelTemplateIffLj32ELj16ELj128ELb0ELb0ELb0EEEvllPKT_S5_PKT0_S8_PS3_S9_,comdat
	.globl	_ZN2at6native12_GLOBAL__N_135GammaBetaBackwardCUDAKernelTemplateIffLj32ELj16ELj128ELb0ELb0ELb0EEEvllPKT_S5_PKT0_S8_PS3_S9_ ; -- Begin function _ZN2at6native12_GLOBAL__N_135GammaBetaBackwardCUDAKernelTemplateIffLj32ELj16ELj128ELb0ELb0ELb0EEEvllPKT_S5_PKT0_S8_PS3_S9_
	.p2align	8
	.type	_ZN2at6native12_GLOBAL__N_135GammaBetaBackwardCUDAKernelTemplateIffLj32ELj16ELj128ELb0ELb0ELb0EEEvllPKT_S5_PKT0_S8_PS3_S9_,@function
_ZN2at6native12_GLOBAL__N_135GammaBetaBackwardCUDAKernelTemplateIffLj32ELj16ELj128ELb0ELb0ELb0EEEvllPKT_S5_PKT0_S8_PS3_S9_: ; @_ZN2at6native12_GLOBAL__N_135GammaBetaBackwardCUDAKernelTemplateIffLj32ELj16ELj128ELb0ELb0ELb0EEEvllPKT_S5_PKT0_S8_PS3_S9_
; %bb.0:
	s_load_dwordx8 s[12:19], s[4:5], 0x0
	s_load_dwordx4 s[28:31], s[4:5], 0x20
	s_lshl_b32 s33, s6, 5
	s_mov_b32 s20, 0
	s_or_b32 s0, s33, 31
	s_mov_b32 s1, s20
	s_waitcnt lgkmcnt(0)
	v_pk_mov_b32 v[2:3], s[14:15], s[14:15] op_sel:[0,1]
	v_cmp_ge_i64_e32 vcc, s[0:1], v[2:3]
	s_lshl_b32 s10, s7, 7
	s_mov_b32 s11, s20
	v_pk_mov_b32 v[2:3], s[12:13], s[12:13] op_sel:[0,1]
	v_cmp_lt_i64_e64 s[0:1], s[10:11], v[2:3]
	v_cndmask_b32_e64 v1, 0, 1, s[0:1]
	v_cmp_ne_u32_e64 s[0:1], 1, v1
	s_cbranch_vccz .LBB67_48
; %bb.1:
	v_mov_b32_e32 v27, 0
	s_and_b64 vcc, exec, s[0:1]
	v_mov_b32_e32 v26, v27
	s_cbranch_vccnz .LBB67_49
; %bb.2:
	v_and_b32_e32 v61, 0x3ff, v0
	v_bfe_u32 v63, v0, 10, 10
	v_add_u32_e32 v2, s33, v61
	v_mov_b32_e32 v3, 0
	v_lshlrev_b32_e32 v28, 3, v63
	v_cmp_gt_i64_e64 s[2:3], s[14:15], v[2:3]
	v_lshlrev_b64 v[30:31], 2, v[2:3]
	v_mov_b32_e32 v1, s11
	v_add_co_u32_e32 v2, vcc, s10, v28
	v_addc_co_u32_e32 v6, vcc, 0, v1, vcc
	v_add_co_u32_e32 v1, vcc, 7, v2
	v_addc_co_u32_e32 v4, vcc, 0, v6, vcc
	v_mul_lo_u32 v7, s15, v1
	v_mul_lo_u32 v8, s14, v4
	v_mad_u64_u32 v[4:5], s[8:9], s14, v1, 0
	s_load_dword s7, s[4:5], 0x44
	v_add3_u32 v5, v5, v8, v7
	v_lshlrev_b64 v[4:5], 2, v[4:5]
	v_mov_b32_e32 v7, s17
	v_add_co_u32_e32 v32, vcc, s16, v4
	v_addc_co_u32_e32 v1, vcc, v7, v5, vcc
	s_add_u32 s34, s4, 64
	v_mov_b32_e32 v8, s19
	v_add_co_u32_e32 v34, vcc, s18, v4
	s_addc_u32 s35, s5, 0
	s_waitcnt lgkmcnt(0)
	s_lshl_b32 s7, s7, 7
	v_addc_co_u32_e32 v29, vcc, v8, v5, vcc
	s_mul_i32 s8, s15, s7
	s_mul_hi_u32 s9, s14, s7
	v_add_co_u32_e32 v4, vcc, 6, v2
	s_add_i32 s9, s9, s8
	s_mul_i32 s8, s14, s7
	v_addc_co_u32_e32 v5, vcc, 0, v6, vcc
	s_lshl_b64 s[36:37], s[8:9], 2
	v_mul_lo_u32 v9, s15, v4
	v_mul_lo_u32 v10, s14, v5
	v_mad_u64_u32 v[4:5], s[8:9], s14, v4, 0
	v_add3_u32 v5, v5, v10, v9
	v_lshlrev_b64 v[4:5], 2, v[4:5]
	v_add_co_u32_e32 v36, vcc, s16, v4
	v_addc_co_u32_e32 v33, vcc, v7, v5, vcc
	v_add_co_u32_e32 v38, vcc, s18, v4
	v_addc_co_u32_e32 v35, vcc, v8, v5, vcc
	v_add_co_u32_e32 v4, vcc, 5, v2
	v_addc_co_u32_e32 v5, vcc, 0, v6, vcc
	v_mul_lo_u32 v9, s15, v4
	v_mul_lo_u32 v10, s14, v5
	v_mad_u64_u32 v[4:5], s[8:9], s14, v4, 0
	v_add3_u32 v5, v5, v10, v9
	v_lshlrev_b64 v[4:5], 2, v[4:5]
	v_add_co_u32_e32 v40, vcc, s16, v4
	v_addc_co_u32_e32 v37, vcc, v7, v5, vcc
	v_add_co_u32_e32 v42, vcc, s18, v4
	v_addc_co_u32_e32 v39, vcc, v8, v5, vcc
	v_add_co_u32_e32 v4, vcc, 4, v2
	v_addc_co_u32_e32 v5, vcc, 0, v6, vcc
	;; [unrolled: 11-line block ×4, first 2 shown]
	v_mul_lo_u32 v9, s15, v4
	v_mul_lo_u32 v10, s14, v5
	v_mad_u64_u32 v[4:5], s[8:9], s14, v4, 0
	v_add3_u32 v5, v5, v10, v9
	v_lshlrev_b64 v[4:5], 2, v[4:5]
	v_add_co_u32_e32 v52, vcc, s16, v4
	v_addc_co_u32_e32 v49, vcc, v7, v5, vcc
	v_add_co_u32_e32 v54, vcc, s18, v4
	v_addc_co_u32_e32 v51, vcc, v8, v5, vcc
	v_pk_mov_b32 v[4:5], s[14:15], s[14:15] op_sel:[0,1]
	v_mad_u64_u32 v[4:5], s[8:9], s14, v2, v[4:5]
	v_mul_lo_u32 v6, s14, v6
	v_mul_lo_u32 v9, s15, v2
	v_add3_u32 v5, v9, v5, v6
	v_lshlrev_b64 v[4:5], 2, v[4:5]
	v_add_co_u32_e32 v56, vcc, s16, v4
	v_addc_co_u32_e32 v53, vcc, v7, v5, vcc
	v_add_co_u32_e32 v58, vcc, s18, v4
	v_addc_co_u32_e32 v55, vcc, v8, v5, vcc
	v_mad_u64_u32 v[4:5], s[8:9], s14, v2, 0
	v_add3_u32 v5, v5, v6, v9
	v_lshlrev_b64 v[4:5], 2, v[4:5]
	v_add_co_u32_e32 v60, vcc, s16, v4
	v_mbcnt_lo_u32_b32 v2, -1, 0
	v_addc_co_u32_e32 v57, vcc, v7, v5, vcc
	v_mbcnt_hi_u32_b32 v2, -1, v2
	s_add_u32 s38, s10, 0x7f
	v_add_co_u32_e32 v62, vcc, s18, v4
	v_lshlrev_b32_e32 v2, 2, v2
	s_addc_u32 s39, 0, 0
	v_addc_co_u32_e32 v59, vcc, v8, v5, vcc
	v_and_b32_e32 v64, 0x100, v2
	s_mov_b64 s[40:41], s[10:11]
	v_mov_b32_e32 v26, v3
	v_mov_b32_e32 v27, v3
	s_branch .LBB67_5
.LBB67_3:                               ;   in Loop: Header=BB67_5 Depth=1
	s_or_b64 exec, exec, s[8:9]
	s_waitcnt vmcnt(1)
	ds_bpermute_b32 v2, v64, v68
	ds_bpermute_b32 v4, v64, v68 offset:4
	s_waitcnt vmcnt(0)
	ds_bpermute_b32 v5, v64, v67
	ds_bpermute_b32 v6, v64, v67 offset:4
	ds_bpermute_b32 v9, v64, v67 offset:12
	s_waitcnt lgkmcnt(4)
	v_sub_f32_e32 v2, v10, v2
	v_mul_f32_e32 v2, v18, v2
	s_waitcnt lgkmcnt(3)
	v_sub_f32_e32 v7, v11, v4
	s_waitcnt lgkmcnt(2)
	v_mul_f32_e32 v4, v2, v5
	ds_bpermute_b32 v2, v64, v68 offset:8
	v_mul_f32_e32 v5, v19, v7
	s_waitcnt lgkmcnt(2)
	v_mul_f32_e32 v6, v5, v6
	ds_bpermute_b32 v5, v64, v67 offset:8
	ds_bpermute_b32 v7, v64, v68 offset:12
	s_waitcnt lgkmcnt(2)
	v_sub_f32_e32 v2, v12, v2
	v_mul_f32_e32 v2, v20, v2
	v_mov_b32_e32 v11, v21
	s_waitcnt lgkmcnt(1)
	v_mul_f32_e32 v8, v2, v5
	s_waitcnt lgkmcnt(0)
	v_sub_f32_e32 v2, v13, v7
	ds_bpermute_b32 v5, v64, v68 offset:16
	v_mul_f32_e32 v2, v21, v2
	v_mul_f32_e32 v10, v2, v9
	ds_bpermute_b32 v2, v64, v67 offset:16
	ds_bpermute_b32 v7, v64, v68 offset:20
	ds_bpermute_b32 v9, v64, v67 offset:20
	s_waitcnt lgkmcnt(3)
	v_sub_f32_e32 v5, v14, v5
	v_mul_f32_e32 v5, v22, v5
	s_waitcnt lgkmcnt(2)
	v_mul_f32_e32 v12, v5, v2
	s_waitcnt lgkmcnt(1)
	v_sub_f32_e32 v2, v15, v7
	v_mul_f32_e32 v2, v23, v2
	s_waitcnt lgkmcnt(0)
	v_mul_f32_e32 v14, v2, v9
	v_mov_b32_e32 v5, v18
	ds_bpermute_b32 v2, v64, v68 offset:24
	v_pk_add_f32 v[4:5], v[26:27], v[4:5]
	v_mov_b32_e32 v7, v19
	v_pk_add_f32 v[4:5], v[6:7], v[4:5]
	ds_bpermute_b32 v7, v64, v67 offset:24
	v_mov_b32_e32 v9, v20
	v_pk_add_f32 v[4:5], v[8:9], v[4:5]
	v_pk_add_f32 v[4:5], v[10:11], v[4:5]
	v_mov_b32_e32 v13, v22
	s_waitcnt lgkmcnt(1)
	v_sub_f32_e32 v8, v16, v2
	v_pk_add_f32 v[4:5], v[12:13], v[4:5]
	v_mov_b32_e32 v15, v23
	v_mul_f32_e32 v8, v24, v8
	v_pk_add_f32 v[4:5], v[14:15], v[4:5]
	s_waitcnt lgkmcnt(0)
	v_mul_f32_e32 v8, v8, v7
	v_mov_b32_e32 v9, v24
	ds_bpermute_b32 v2, v64, v67 offset:28
	ds_bpermute_b32 v6, v64, v68 offset:28
	v_pk_add_f32 v[4:5], v[8:9], v[4:5]
.LBB67_4:                               ;   in Loop: Header=BB67_5 Depth=1
	s_waitcnt lgkmcnt(0)
	v_sub_f32_e32 v6, v17, v6
	v_mul_f32_e32 v6, v25, v6
	v_mul_f32_e32 v24, v6, v2
	v_mov_b32_e32 v2, s37
	v_add_co_u32_e32 v32, vcc, s36, v32
	v_addc_co_u32_e32 v1, vcc, v1, v2, vcc
	v_add_co_u32_e32 v34, vcc, s36, v34
	v_addc_co_u32_e32 v29, vcc, v29, v2, vcc
	;; [unrolled: 2-line block ×15, first 2 shown]
	s_add_u32 s40, s40, s7
	v_add_co_u32_e32 v62, vcc, s36, v62
	v_pk_add_f32 v[26:27], v[4:5], v[24:25]
	s_addc_u32 s41, s41, 0
	v_addc_co_u32_e32 v59, vcc, v59, v2, vcc
	v_pk_mov_b32 v[4:5], s[12:13], s[12:13] op_sel:[0,1]
	s_add_u32 s38, s38, s7
	v_cmp_lt_i64_e32 vcc, s[40:41], v[4:5]
	s_addc_u32 s39, s39, 0
	s_cbranch_vccz .LBB67_49
.LBB67_5:                               ; =>This Inner Loop Header: Depth=1
	v_pk_mov_b32 v[4:5], s[12:13], s[12:13] op_sel:[0,1]
	v_cmp_ge_i64_e32 vcc, s[38:39], v[4:5]
	v_mov_b32_e32 v2, s39
	v_add_co_u32_e64 v65, s[8:9], s38, v28
	v_addc_co_u32_e64 v66, s[8:9], 0, v2, s[8:9]
	s_cbranch_vccz .LBB67_27
; %bb.6:                                ;   in Loop: Header=BB67_5 Depth=1
	s_load_dword s8, s[34:35], 0xc
	v_mov_b32_e32 v67, 0
	v_mov_b32_e32 v68, 0
	s_waitcnt lgkmcnt(0)
	s_and_b32 s8, s8, 0xffff
	v_mad_u32_u24 v2, v63, s8, v61
	v_and_b32_e32 v2, 63, v2
	v_cmp_gt_u32_e32 vcc, 8, v2
	s_and_saveexec_b64 s[8:9], vcc
	s_cbranch_execz .LBB67_10
; %bb.7:                                ;   in Loop: Header=BB67_5 Depth=1
	v_add_co_u32_e32 v2, vcc, v65, v2
	v_addc_co_u32_e32 v5, vcc, 0, v66, vcc
	v_add_co_u32_e32 v4, vcc, 0xffffff81, v2
	v_addc_co_u32_e32 v5, vcc, -1, v5, vcc
	v_cmp_gt_i64_e32 vcc, s[12:13], v[4:5]
	v_mov_b32_e32 v68, 0
	v_mov_b32_e32 v67, 0
	s_and_saveexec_b64 s[22:23], vcc
	s_cbranch_execz .LBB67_9
; %bb.8:                                ;   in Loop: Header=BB67_5 Depth=1
	v_lshlrev_b64 v[4:5], 2, v[4:5]
	v_mov_b32_e32 v2, s31
	v_add_co_u32_e32 v6, vcc, s30, v4
	v_addc_co_u32_e32 v7, vcc, v2, v5, vcc
	v_mov_b32_e32 v2, s29
	v_add_co_u32_e32 v4, vcc, s28, v4
	v_addc_co_u32_e32 v5, vcc, v2, v5, vcc
	global_load_dword v68, v[4:5], off
	global_load_dword v67, v[6:7], off
.LBB67_9:                               ;   in Loop: Header=BB67_5 Depth=1
	s_or_b64 exec, exec, s[22:23]
.LBB67_10:                              ;   in Loop: Header=BB67_5 Depth=1
	s_or_b64 exec, exec, s[8:9]
	s_mov_b32 s21, s20
	v_add_co_u32_e32 v4, vcc, 0xffffff81, v65
	s_mov_b32 s22, s20
	s_mov_b32 s23, s20
	;; [unrolled: 1-line block ×6, first 2 shown]
	v_pk_mov_b32 v[10:11], s[20:21], s[20:21] op_sel:[0,1]
	v_addc_co_u32_e32 v5, vcc, -1, v66, vcc
	v_pk_mov_b32 v[16:17], s[26:27], s[26:27] op_sel:[0,1]
	v_cmp_gt_i64_e32 vcc, s[12:13], v[4:5]
	v_pk_mov_b32 v[12:13], s[22:23], s[22:23] op_sel:[0,1]
	v_pk_mov_b32 v[14:15], s[24:25], s[24:25] op_sel:[0,1]
	;; [unrolled: 1-line block ×3, first 2 shown]
	s_and_b64 s[42:43], s[2:3], vcc
	v_pk_mov_b32 v[22:23], v[14:15], v[14:15] op_sel:[0,1]
	v_pk_mov_b32 v[20:21], v[12:13], v[12:13] op_sel:[0,1]
	;; [unrolled: 1-line block ×3, first 2 shown]
	s_and_saveexec_b64 s[8:9], s[42:43]
	s_cbranch_execz .LBB67_12
; %bb.11:                               ;   in Loop: Header=BB67_5 Depth=1
	v_add_co_u32_e32 v4, vcc, v60, v30
	v_addc_co_u32_e32 v5, vcc, v57, v31, vcc
	global_load_dword v2, v[4:5], off
	v_add_co_u32_e32 v4, vcc, v62, v30
	v_addc_co_u32_e32 v5, vcc, v59, v31, vcc
	global_load_dword v10, v[4:5], off
	v_mov_b32_e32 v8, v3
	v_mov_b32_e32 v9, v3
	;; [unrolled: 1-line block ×6, first 2 shown]
	s_waitcnt vmcnt(1)
	v_pk_mov_b32 v[24:25], v[8:9], v[8:9] op_sel:[0,1]
	v_mov_b32_e32 v11, v3
	v_mov_b32_e32 v12, v3
	;; [unrolled: 1-line block ×7, first 2 shown]
	v_pk_mov_b32 v[22:23], v[6:7], v[6:7] op_sel:[0,1]
	v_pk_mov_b32 v[20:21], v[4:5], v[4:5] op_sel:[0,1]
	;; [unrolled: 1-line block ×3, first 2 shown]
.LBB67_12:                              ;   in Loop: Header=BB67_5 Depth=1
	s_or_b64 exec, exec, s[8:9]
	v_add_co_u32_e32 v4, vcc, 0xffffff82, v65
	v_addc_co_u32_e32 v5, vcc, -1, v66, vcc
	v_cmp_gt_i64_e32 vcc, s[12:13], v[4:5]
	s_and_b64 s[22:23], s[2:3], vcc
	s_and_saveexec_b64 s[8:9], s[22:23]
	s_cbranch_execz .LBB67_14
; %bb.13:                               ;   in Loop: Header=BB67_5 Depth=1
	v_add_co_u32_e32 v4, vcc, v56, v30
	v_addc_co_u32_e32 v5, vcc, v53, v31, vcc
	global_load_dword v19, v[4:5], off
	v_add_co_u32_e32 v4, vcc, v58, v30
	v_addc_co_u32_e32 v5, vcc, v55, v31, vcc
	global_load_dword v11, v[4:5], off
.LBB67_14:                              ;   in Loop: Header=BB67_5 Depth=1
	s_or_b64 exec, exec, s[8:9]
	v_add_co_u32_e32 v4, vcc, 0xffffff83, v65
	v_addc_co_u32_e32 v5, vcc, -1, v66, vcc
	v_cmp_gt_i64_e32 vcc, s[12:13], v[4:5]
	s_and_b64 s[22:23], s[2:3], vcc
	s_and_saveexec_b64 s[8:9], s[22:23]
	s_cbranch_execz .LBB67_16
; %bb.15:                               ;   in Loop: Header=BB67_5 Depth=1
	v_add_co_u32_e32 v4, vcc, v52, v30
	v_addc_co_u32_e32 v5, vcc, v49, v31, vcc
	global_load_dword v20, v[4:5], off
	v_add_co_u32_e32 v4, vcc, v54, v30
	v_addc_co_u32_e32 v5, vcc, v51, v31, vcc
	global_load_dword v12, v[4:5], off
.LBB67_16:                              ;   in Loop: Header=BB67_5 Depth=1
	;; [unrolled: 15-line block ×7, first 2 shown]
	s_or_b64 exec, exec, s[8:9]
	s_waitcnt vmcnt(1)
	ds_bpermute_b32 v2, v64, v68
	ds_bpermute_b32 v4, v64, v68 offset:4
	s_waitcnt vmcnt(0)
	ds_bpermute_b32 v5, v64, v67
	ds_bpermute_b32 v6, v64, v67 offset:4
	ds_bpermute_b32 v9, v64, v67 offset:12
	s_waitcnt lgkmcnt(4)
	v_sub_f32_e32 v2, v10, v2
	v_mul_f32_e32 v2, v18, v2
	s_waitcnt lgkmcnt(3)
	v_sub_f32_e32 v7, v11, v4
	s_waitcnt lgkmcnt(2)
	v_mul_f32_e32 v4, v2, v5
	ds_bpermute_b32 v2, v64, v68 offset:8
	v_mul_f32_e32 v5, v19, v7
	s_waitcnt lgkmcnt(2)
	v_mul_f32_e32 v6, v5, v6
	ds_bpermute_b32 v5, v64, v67 offset:8
	ds_bpermute_b32 v7, v64, v68 offset:12
	s_waitcnt lgkmcnt(2)
	v_sub_f32_e32 v2, v12, v2
	v_mul_f32_e32 v2, v20, v2
	v_mov_b32_e32 v11, v21
	s_waitcnt lgkmcnt(1)
	v_mul_f32_e32 v8, v2, v5
	s_waitcnt lgkmcnt(0)
	v_sub_f32_e32 v2, v13, v7
	ds_bpermute_b32 v5, v64, v68 offset:16
	v_mul_f32_e32 v2, v21, v2
	v_mul_f32_e32 v10, v2, v9
	ds_bpermute_b32 v2, v64, v67 offset:16
	ds_bpermute_b32 v7, v64, v68 offset:20
	;; [unrolled: 1-line block ×3, first 2 shown]
	s_waitcnt lgkmcnt(3)
	v_sub_f32_e32 v5, v14, v5
	v_mul_f32_e32 v5, v22, v5
	s_waitcnt lgkmcnt(2)
	v_mul_f32_e32 v12, v5, v2
	s_waitcnt lgkmcnt(1)
	v_sub_f32_e32 v2, v15, v7
	v_mul_f32_e32 v2, v23, v2
	s_waitcnt lgkmcnt(0)
	v_mul_f32_e32 v14, v2, v9
	ds_bpermute_b32 v2, v64, v68 offset:24
	v_mov_b32_e32 v5, v18
	v_pk_add_f32 v[4:5], v[26:27], v[4:5]
	v_mov_b32_e32 v7, v19
	v_pk_add_f32 v[4:5], v[6:7], v[4:5]
	ds_bpermute_b32 v7, v64, v67 offset:24
	v_mov_b32_e32 v9, v20
	s_waitcnt lgkmcnt(1)
	v_sub_f32_e32 v2, v16, v2
	v_pk_add_f32 v[4:5], v[8:9], v[4:5]
	v_mul_f32_e32 v8, v24, v2
	ds_bpermute_b32 v2, v64, v67 offset:28
	ds_bpermute_b32 v6, v64, v68 offset:28
	v_pk_add_f32 v[4:5], v[10:11], v[4:5]
	v_mov_b32_e32 v13, v22
	v_pk_add_f32 v[4:5], v[12:13], v[4:5]
	v_mov_b32_e32 v15, v23
	v_pk_add_f32 v[4:5], v[14:15], v[4:5]
	s_waitcnt lgkmcnt(2)
	v_mul_f32_e32 v8, v8, v7
	v_mov_b32_e32 v9, v24
	v_pk_add_f32 v[4:5], v[8:9], v[4:5]
	s_branch .LBB67_4
.LBB67_27:                              ;   in Loop: Header=BB67_5 Depth=1
                                        ; implicit-def: $vgpr4_vgpr5
                                        ; implicit-def: $vgpr2
                                        ; implicit-def: $vgpr10_vgpr11_vgpr12_vgpr13_vgpr14_vgpr15_vgpr16_vgpr17
                                        ; implicit-def: $vgpr18_vgpr19_vgpr20_vgpr21_vgpr22_vgpr23_vgpr24_vgpr25
                                        ; implicit-def: $vgpr6
	s_cbranch_execz .LBB67_4
; %bb.28:                               ;   in Loop: Header=BB67_5 Depth=1
	s_load_dword s8, s[34:35], 0x0
	v_mov_b32_e32 v67, 0
	v_mov_b32_e32 v68, 0
	s_waitcnt lgkmcnt(0)
	s_cmp_lt_u32 s6, s8
	s_cselect_b32 s8, 12, 18
	s_add_u32 s8, s34, s8
	s_addc_u32 s9, s35, 0
	global_load_ushort v2, v3, s[8:9]
	s_waitcnt vmcnt(0)
	v_mad_u32_u24 v2, v63, v2, v61
	v_and_b32_e32 v2, 63, v2
	v_cmp_gt_u32_e32 vcc, 8, v2
	s_and_saveexec_b64 s[8:9], vcc
	s_cbranch_execz .LBB67_32
; %bb.29:                               ;   in Loop: Header=BB67_5 Depth=1
	v_add_co_u32_e32 v2, vcc, v65, v2
	v_addc_co_u32_e32 v5, vcc, 0, v66, vcc
	v_add_co_u32_e32 v4, vcc, 0xffffff81, v2
	v_addc_co_u32_e32 v5, vcc, -1, v5, vcc
	v_cmp_gt_i64_e32 vcc, s[12:13], v[4:5]
	v_mov_b32_e32 v68, 0
	v_mov_b32_e32 v67, 0
	s_and_saveexec_b64 s[22:23], vcc
	s_cbranch_execz .LBB67_31
; %bb.30:                               ;   in Loop: Header=BB67_5 Depth=1
	v_lshlrev_b64 v[4:5], 2, v[4:5]
	v_mov_b32_e32 v2, s31
	v_add_co_u32_e32 v6, vcc, s30, v4
	v_addc_co_u32_e32 v7, vcc, v2, v5, vcc
	v_mov_b32_e32 v2, s29
	v_add_co_u32_e32 v4, vcc, s28, v4
	v_addc_co_u32_e32 v5, vcc, v2, v5, vcc
	global_load_dword v68, v[4:5], off
	global_load_dword v67, v[6:7], off
.LBB67_31:                              ;   in Loop: Header=BB67_5 Depth=1
	s_or_b64 exec, exec, s[22:23]
.LBB67_32:                              ;   in Loop: Header=BB67_5 Depth=1
	s_or_b64 exec, exec, s[8:9]
	s_mov_b32 s21, s20
	s_mov_b32 s22, s20
	;; [unrolled: 1-line block ×7, first 2 shown]
	v_pk_mov_b32 v[10:11], s[20:21], s[20:21] op_sel:[0,1]
	v_pk_mov_b32 v[16:17], s[26:27], s[26:27] op_sel:[0,1]
	;; [unrolled: 1-line block ×8, first 2 shown]
	s_and_saveexec_b64 s[8:9], s[2:3]
	s_cbranch_execnz .LBB67_40
; %bb.33:                               ;   in Loop: Header=BB67_5 Depth=1
	s_or_b64 exec, exec, s[8:9]
	s_and_saveexec_b64 s[8:9], s[2:3]
	s_cbranch_execnz .LBB67_41
.LBB67_34:                              ;   in Loop: Header=BB67_5 Depth=1
	s_or_b64 exec, exec, s[8:9]
	s_and_saveexec_b64 s[8:9], s[2:3]
	s_cbranch_execnz .LBB67_42
.LBB67_35:                              ;   in Loop: Header=BB67_5 Depth=1
	s_or_b64 exec, exec, s[8:9]
	s_and_saveexec_b64 s[8:9], s[2:3]
	s_cbranch_execnz .LBB67_43
.LBB67_36:                              ;   in Loop: Header=BB67_5 Depth=1
	s_or_b64 exec, exec, s[8:9]
	s_and_saveexec_b64 s[8:9], s[2:3]
	s_cbranch_execnz .LBB67_44
.LBB67_37:                              ;   in Loop: Header=BB67_5 Depth=1
	s_or_b64 exec, exec, s[8:9]
	s_and_saveexec_b64 s[8:9], s[2:3]
	s_cbranch_execnz .LBB67_45
.LBB67_38:                              ;   in Loop: Header=BB67_5 Depth=1
	s_or_b64 exec, exec, s[8:9]
	s_and_saveexec_b64 s[8:9], s[2:3]
	s_cbranch_execnz .LBB67_46
.LBB67_39:                              ;   in Loop: Header=BB67_5 Depth=1
	s_or_b64 exec, exec, s[8:9]
	s_and_saveexec_b64 s[8:9], s[2:3]
	s_cbranch_execz .LBB67_3
	s_branch .LBB67_47
.LBB67_40:                              ;   in Loop: Header=BB67_5 Depth=1
	v_add_co_u32_e32 v4, vcc, v60, v30
	v_addc_co_u32_e32 v5, vcc, v57, v31, vcc
	global_load_dword v2, v[4:5], off
	v_add_co_u32_e32 v4, vcc, v62, v30
	v_addc_co_u32_e32 v5, vcc, v59, v31, vcc
	global_load_dword v10, v[4:5], off
	v_mov_b32_e32 v8, v3
	v_mov_b32_e32 v9, v3
	;; [unrolled: 1-line block ×6, first 2 shown]
	s_waitcnt vmcnt(1)
	v_pk_mov_b32 v[24:25], v[8:9], v[8:9] op_sel:[0,1]
	v_mov_b32_e32 v11, v3
	v_mov_b32_e32 v12, v3
	;; [unrolled: 1-line block ×7, first 2 shown]
	v_pk_mov_b32 v[22:23], v[6:7], v[6:7] op_sel:[0,1]
	v_pk_mov_b32 v[20:21], v[4:5], v[4:5] op_sel:[0,1]
	;; [unrolled: 1-line block ×3, first 2 shown]
	s_or_b64 exec, exec, s[8:9]
	s_and_saveexec_b64 s[8:9], s[2:3]
	s_cbranch_execz .LBB67_34
.LBB67_41:                              ;   in Loop: Header=BB67_5 Depth=1
	v_add_co_u32_e32 v4, vcc, v56, v30
	v_addc_co_u32_e32 v5, vcc, v53, v31, vcc
	global_load_dword v19, v[4:5], off
	v_add_co_u32_e32 v4, vcc, v58, v30
	v_addc_co_u32_e32 v5, vcc, v55, v31, vcc
	global_load_dword v11, v[4:5], off
	s_or_b64 exec, exec, s[8:9]
	s_and_saveexec_b64 s[8:9], s[2:3]
	s_cbranch_execz .LBB67_35
.LBB67_42:                              ;   in Loop: Header=BB67_5 Depth=1
	v_add_co_u32_e32 v4, vcc, v52, v30
	v_addc_co_u32_e32 v5, vcc, v49, v31, vcc
	global_load_dword v20, v[4:5], off
	v_add_co_u32_e32 v4, vcc, v54, v30
	v_addc_co_u32_e32 v5, vcc, v51, v31, vcc
	global_load_dword v12, v[4:5], off
	s_or_b64 exec, exec, s[8:9]
	s_and_saveexec_b64 s[8:9], s[2:3]
	s_cbranch_execz .LBB67_36
.LBB67_43:                              ;   in Loop: Header=BB67_5 Depth=1
	v_add_co_u32_e32 v4, vcc, v48, v30
	v_addc_co_u32_e32 v5, vcc, v45, v31, vcc
	global_load_dword v21, v[4:5], off
	v_add_co_u32_e32 v4, vcc, v50, v30
	v_addc_co_u32_e32 v5, vcc, v47, v31, vcc
	global_load_dword v13, v[4:5], off
	s_or_b64 exec, exec, s[8:9]
	s_and_saveexec_b64 s[8:9], s[2:3]
	s_cbranch_execz .LBB67_37
.LBB67_44:                              ;   in Loop: Header=BB67_5 Depth=1
	v_add_co_u32_e32 v4, vcc, v44, v30
	v_addc_co_u32_e32 v5, vcc, v41, v31, vcc
	global_load_dword v22, v[4:5], off
	v_add_co_u32_e32 v4, vcc, v46, v30
	v_addc_co_u32_e32 v5, vcc, v43, v31, vcc
	global_load_dword v14, v[4:5], off
	s_or_b64 exec, exec, s[8:9]
	s_and_saveexec_b64 s[8:9], s[2:3]
	s_cbranch_execz .LBB67_38
.LBB67_45:                              ;   in Loop: Header=BB67_5 Depth=1
	v_add_co_u32_e32 v4, vcc, v40, v30
	v_addc_co_u32_e32 v5, vcc, v37, v31, vcc
	global_load_dword v23, v[4:5], off
	v_add_co_u32_e32 v4, vcc, v42, v30
	v_addc_co_u32_e32 v5, vcc, v39, v31, vcc
	global_load_dword v15, v[4:5], off
	s_or_b64 exec, exec, s[8:9]
	s_and_saveexec_b64 s[8:9], s[2:3]
	s_cbranch_execz .LBB67_39
.LBB67_46:                              ;   in Loop: Header=BB67_5 Depth=1
	v_add_co_u32_e32 v4, vcc, v36, v30
	v_addc_co_u32_e32 v5, vcc, v33, v31, vcc
	global_load_dword v24, v[4:5], off
	v_add_co_u32_e32 v4, vcc, v38, v30
	v_addc_co_u32_e32 v5, vcc, v35, v31, vcc
	global_load_dword v16, v[4:5], off
	s_or_b64 exec, exec, s[8:9]
	s_and_saveexec_b64 s[8:9], s[2:3]
	s_cbranch_execz .LBB67_3
.LBB67_47:                              ;   in Loop: Header=BB67_5 Depth=1
	v_add_co_u32_e32 v4, vcc, v32, v30
	v_addc_co_u32_e32 v5, vcc, v1, v31, vcc
	global_load_dword v25, v[4:5], off
	v_add_co_u32_e32 v4, vcc, v34, v30
	v_addc_co_u32_e32 v5, vcc, v29, v31, vcc
	global_load_dword v17, v[4:5], off
	s_branch .LBB67_3
.LBB67_48:
                                        ; implicit-def: $vgpr27
	s_branch .LBB67_50
.LBB67_49:
	s_cbranch_execnz .LBB67_81
.LBB67_50:
	v_mov_b32_e32 v27, 0
	s_mov_b32 s20, 0
	s_and_b64 vcc, exec, s[0:1]
	v_mov_b32_e32 v26, v27
	s_cbranch_vccnz .LBB67_81
; %bb.51:
	s_load_dword s0, s[4:5], 0x44
	s_add_u32 s2, s4, 64
	s_addc_u32 s3, s5, 0
	v_bfe_u32 v81, v0, 10, 10
	v_lshlrev_b32_e32 v1, 5, v81
	s_waitcnt lgkmcnt(0)
	s_lshl_b32 s7, s0, 7
	s_add_u32 s8, s10, 0x7f
	s_addc_u32 s9, 0, 0
	s_lshl_b64 s[0:1], s[10:11], 2
	v_mov_b32_e32 v2, s1
	v_add_co_u32_e32 v1, vcc, s0, v1
	v_addc_co_u32_e32 v4, vcc, 0, v2, vcc
	v_add_co_u32_e32 v6, vcc, 4, v1
	v_addc_co_u32_e32 v5, vcc, 0, v4, vcc
	v_add_co_u32_e32 v9, vcc, 8, v1
	v_mul_lo_u32 v7, s14, v5
	v_addc_co_u32_e32 v5, vcc, 0, v4, vcc
	v_add_co_u32_e32 v12, vcc, 12, v1
	v_mul_lo_u32 v10, s14, v5
	;; [unrolled: 3-line block ×5, first 2 shown]
	v_addc_co_u32_e32 v5, vcc, 0, v4, vcc
	v_add_co_u32_e32 v52, vcc, 28, v1
	v_lshlrev_b32_e32 v20, 3, v81
	v_addc_co_u32_e32 v1, vcc, 0, v4, vcc
	v_mul_lo_u32 v54, s14, v1
	v_mov_b32_e32 v1, s11
	v_add_co_u32_e32 v56, vcc, s10, v20
	v_pk_mov_b32 v[2:3], s[16:17], s[16:17] op_sel:[0,1]
	v_addc_co_u32_e32 v57, vcc, 0, v1, vcc
	v_mad_u64_u32 v[22:23], s[0:1], s14, v6, v[2:3]
	v_mad_u64_u32 v[24:25], s[0:1], s14, v9, v[2:3]
	;; [unrolled: 1-line block ×7, first 2 shown]
	v_mul_lo_u32 v58, s15, v56
	v_mul_lo_u32 v59, s14, v57
	v_mad_u64_u32 v[2:3], s[0:1], s14, v56, 0
	v_add3_u32 v3, v3, v59, v58
	v_lshlrev_b64 v[2:3], 2, v[2:3]
	v_mul_lo_u32 v27, s14, v5
	v_mov_b32_e32 v77, s17
	v_add_co_u32_e32 v38, vcc, s16, v2
	v_pk_mov_b32 v[4:5], s[18:19], s[18:19] op_sel:[0,1]
	v_mul_lo_u32 v17, s15, v15
	v_mul_lo_u32 v55, s15, v52
	v_addc_co_u32_e32 v1, vcc, v77, v3, vcc
	v_mad_u64_u32 v[46:47], s[0:1], s14, v15, v[4:5]
	v_mad_u64_u32 v[52:53], s[0:1], s14, v52, v[4:5]
	v_add3_u32 v31, v17, v31, v16
	v_mul_lo_u32 v21, s15, v18
	v_add3_u32 v37, v55, v37, v54
	v_add3_u32 v47, v17, v47, v16
	v_mad_u64_u32 v[48:49], s[0:1], s14, v18, v[4:5]
	v_add3_u32 v53, v55, v53, v54
	v_mov_b32_e32 v16, s19
	v_add_co_u32_e32 v54, vcc, s18, v2
	v_add3_u32 v33, v21, v33, v19
	v_add3_u32 v49, v21, v49, v19
	v_addc_co_u32_e32 v21, vcc, v16, v3, vcc
	v_add_co_u32_e32 v2, vcc, 7, v56
	v_addc_co_u32_e32 v3, vcc, 0, v57, vcc
	v_mad_u64_u32 v[40:41], s[0:1], s14, v6, v[4:5]
	v_mad_u64_u32 v[42:43], s[0:1], s14, v9, v[4:5]
	;; [unrolled: 1-line block ×4, first 2 shown]
	v_mul_lo_u32 v4, s15, v2
	v_mul_lo_u32 v5, s14, v3
	v_mad_u64_u32 v[2:3], s[0:1], s14, v2, 0
	v_add3_u32 v3, v3, v5, v4
	v_add_co_u32_e32 v4, vcc, 6, v56
	v_mul_lo_u32 v8, s15, v6
	v_addc_co_u32_e32 v5, vcc, 0, v57, vcc
	v_add3_u32 v23, v8, v23, v7
	v_add3_u32 v41, v8, v41, v7
	v_mul_lo_u32 v6, s15, v4
	v_mul_lo_u32 v7, s14, v5
	v_mad_u64_u32 v[4:5], s[0:1], s14, v4, 0
	v_add3_u32 v5, v5, v7, v6
	v_add_co_u32_e32 v6, vcc, 5, v56
	v_addc_co_u32_e32 v7, vcc, 0, v57, vcc
	v_mul_lo_u32 v11, s15, v9
	v_mul_lo_u32 v8, s15, v6
	;; [unrolled: 1-line block ×3, first 2 shown]
	v_mad_u64_u32 v[6:7], s[0:1], s14, v6, 0
	v_add3_u32 v7, v7, v9, v8
	v_add_co_u32_e32 v8, vcc, 4, v56
	v_addc_co_u32_e32 v9, vcc, 0, v57, vcc
	v_add3_u32 v25, v11, v25, v10
	v_add3_u32 v43, v11, v43, v10
	v_mul_lo_u32 v10, s15, v8
	v_mul_lo_u32 v11, s14, v9
	v_mad_u64_u32 v[8:9], s[0:1], s14, v8, 0
	v_add3_u32 v9, v9, v11, v10
	v_add_co_u32_e32 v10, vcc, 3, v56
	v_mul_lo_u32 v14, s15, v12
	v_addc_co_u32_e32 v11, vcc, 0, v57, vcc
	v_add3_u32 v29, v14, v29, v13
	v_add3_u32 v45, v14, v45, v13
	v_mul_lo_u32 v12, s15, v10
	v_mul_lo_u32 v13, s14, v11
	v_mad_u64_u32 v[10:11], s[0:1], s14, v10, 0
	v_add3_u32 v11, v11, v13, v12
	v_add_co_u32_e32 v12, vcc, 2, v56
	v_addc_co_u32_e32 v13, vcc, 0, v57, vcc
	v_mul_lo_u32 v14, s15, v12
	v_mul_lo_u32 v15, s14, v13
	v_mad_u64_u32 v[12:13], s[0:1], s14, v12, 0
	v_lshlrev_b64 v[2:3], 2, v[2:3]
	v_add3_u32 v13, v13, v15, v14
	v_pk_mov_b32 v[14:15], s[14:15], s[14:15] op_sel:[0,1]
	v_mul_lo_u32 v39, s15, v26
	v_mad_u64_u32 v[14:15], s[0:1], s14, v56, v[14:15]
	v_add_co_u32_e32 v56, vcc, s16, v2
	v_add3_u32 v35, v39, v35, v27
	v_add3_u32 v51, v39, v51, v27
	v_addc_co_u32_e32 v39, vcc, v77, v3, vcc
	v_add3_u32 v15, v58, v15, v59
	v_add_co_u32_e32 v58, vcc, s18, v2
	v_addc_co_u32_e32 v55, vcc, v16, v3, vcc
	v_lshlrev_b64 v[2:3], 2, v[4:5]
	v_add_co_u32_e32 v60, vcc, s16, v2
	v_addc_co_u32_e32 v57, vcc, v77, v3, vcc
	v_add_co_u32_e32 v62, vcc, s18, v2
	v_addc_co_u32_e32 v59, vcc, v16, v3, vcc
	v_lshlrev_b64 v[2:3], 2, v[6:7]
	v_add_co_u32_e32 v64, vcc, s16, v2
	v_addc_co_u32_e32 v61, vcc, v77, v3, vcc
	;; [unrolled: 5-line block ×6, first 2 shown]
	v_mbcnt_lo_u32_b32 v4, -1, 0
	v_add_co_u32_e32 v82, vcc, s18, v2
	v_and_b32_e32 v83, 0x3ff, v0
	s_mul_i32 s0, s15, s7
	s_mul_hi_u32 s1, s14, s7
	v_mbcnt_hi_u32_b32 v4, -1, v4
	v_addc_co_u32_e32 v79, vcc, v16, v3, vcc
	v_add_u32_e32 v2, s33, v83
	v_mov_b32_e32 v3, 0
	s_add_i32 s1, s1, s0
	s_mul_i32 s0, s14, s7
	v_lshlrev_b32_e32 v4, 2, v4
	s_lshl_b64 s[16:17], s[0:1], 2
	v_and_b32_e32 v86, 0x100, v4
	v_mov_b32_e32 v26, v3
	v_mov_b32_e32 v27, v3
	v_lshlrev_b64 v[84:85], 2, v[2:3]
	s_branch .LBB67_55
.LBB67_52:                              ;   in Loop: Header=BB67_55 Depth=1
	s_or_b64 exec, exec, s[18:19]
.LBB67_53:                              ;   in Loop: Header=BB67_55 Depth=1
	s_or_b64 exec, exec, s[0:1]
	v_add_co_u32_e32 v4, vcc, v38, v84
	v_addc_co_u32_e32 v5, vcc, v1, v85, vcc
	v_add_co_u32_e32 v8, vcc, v54, v84
	v_addc_co_u32_e32 v9, vcc, v21, v85, vcc
	global_load_dword v5, v[4:5], off
	s_nop 0
	global_load_dword v4, v[8:9], off
	v_add_co_u32_e32 v8, vcc, v22, v84
	v_addc_co_u32_e32 v9, vcc, v23, v85, vcc
	v_add_co_u32_e32 v10, vcc, v40, v84
	v_addc_co_u32_e32 v11, vcc, v41, v85, vcc
	global_load_dword v9, v[8:9], off
	s_nop 0
	global_load_dword v8, v[10:11], off
	v_add_co_u32_e32 v10, vcc, v24, v84
	v_addc_co_u32_e32 v11, vcc, v25, v85, vcc
	global_load_dword v13, v[10:11], off
	v_add_co_u32_e32 v10, vcc, v42, v84
	v_addc_co_u32_e32 v11, vcc, v43, v85, vcc
	;; [unrolled: 3-line block ×11, first 2 shown]
	v_add_co_u32_e32 v90, vcc, v52, v84
	v_addc_co_u32_e32 v91, vcc, v53, v85, vcc
	global_load_dword v87, v[90:91], off
	global_load_dword v11, v[88:89], off
	s_waitcnt vmcnt(17)
	ds_bpermute_b32 v88, v86, v6
	s_waitcnt vmcnt(16)
	ds_bpermute_b32 v89, v86, v2
	ds_bpermute_b32 v90, v86, v6 offset:4
	s_waitcnt vmcnt(14) lgkmcnt(2)
	v_sub_f32_e32 v4, v4, v88
	ds_bpermute_b32 v88, v86, v2 offset:4
	v_mul_f32_e32 v4, v5, v4
	s_waitcnt lgkmcnt(2)
	v_mul_f32_e32 v4, v4, v89
	ds_bpermute_b32 v89, v86, v6 offset:8
	v_pk_add_f32 v[4:5], v[26:27], v[4:5]
	s_waitcnt vmcnt(12) lgkmcnt(2)
	v_sub_f32_e32 v8, v8, v90
	v_mul_f32_e32 v8, v9, v8
	s_waitcnt lgkmcnt(1)
	v_mul_f32_e32 v8, v8, v88
	ds_bpermute_b32 v88, v86, v2 offset:8
	ds_bpermute_b32 v90, v86, v6 offset:12
	v_pk_add_f32 v[4:5], v[4:5], v[8:9]
	ds_bpermute_b32 v8, v86, v6 offset:24
	ds_bpermute_b32 v9, v86, v2 offset:24
	s_waitcnt vmcnt(10) lgkmcnt(4)
	v_sub_f32_e32 v12, v12, v89
	v_mul_f32_e32 v12, v13, v12
	ds_bpermute_b32 v89, v86, v2 offset:12
	s_waitcnt lgkmcnt(4)
	v_mul_f32_e32 v12, v12, v88
	ds_bpermute_b32 v88, v86, v6 offset:16
	v_pk_add_f32 v[4:5], v[4:5], v[12:13]
	s_waitcnt vmcnt(8) lgkmcnt(4)
	v_sub_f32_e32 v14, v14, v90
	v_mul_f32_e32 v14, v15, v14
	ds_bpermute_b32 v90, v86, v6 offset:20
	s_waitcnt lgkmcnt(2)
	v_mul_f32_e32 v14, v14, v89
	ds_bpermute_b32 v89, v86, v2 offset:16
	v_pk_add_f32 v[4:5], v[4:5], v[14:15]
	s_waitcnt vmcnt(6) lgkmcnt(2)
	v_sub_f32_e32 v16, v16, v88
	ds_bpermute_b32 v88, v86, v2 offset:20
	v_mul_f32_e32 v16, v17, v16
	s_waitcnt lgkmcnt(1)
	v_mul_f32_e32 v16, v16, v89
	ds_bpermute_b32 v2, v86, v2 offset:28
	v_pk_add_f32 v[4:5], v[4:5], v[16:17]
	s_waitcnt vmcnt(4)
	v_sub_f32_e32 v18, v18, v90
	v_mul_f32_e32 v18, v19, v18
	s_waitcnt lgkmcnt(1)
	v_mul_f32_e32 v18, v18, v88
	v_pk_add_f32 v[4:5], v[4:5], v[18:19]
	s_waitcnt vmcnt(2)
	v_sub_f32_e32 v8, v10, v8
	ds_bpermute_b32 v10, v86, v6 offset:28
	v_mul_f32_e32 v6, v7, v8
	v_mul_f32_e32 v6, v6, v9
	v_pk_add_f32 v[4:5], v[4:5], v[6:7]
	s_waitcnt vmcnt(1) lgkmcnt(0)
	v_sub_f32_e32 v6, v87, v10
	s_waitcnt vmcnt(0)
	v_mul_f32_e32 v6, v11, v6
	v_mul_f32_e32 v10, v6, v2
.LBB67_54:                              ;   in Loop: Header=BB67_55 Depth=1
	v_mov_b32_e32 v2, s17
	v_add_co_u32_e32 v22, vcc, s16, v22
	v_addc_co_u32_e32 v23, vcc, v23, v2, vcc
	v_add_co_u32_e32 v24, vcc, s16, v24
	v_addc_co_u32_e32 v25, vcc, v25, v2, vcc
	;; [unrolled: 2-line block ×29, first 2 shown]
	s_add_u32 s10, s10, s7
	v_add_co_u32_e32 v82, vcc, s16, v82
	v_pk_add_f32 v[26:27], v[4:5], v[10:11]
	s_addc_u32 s11, s11, 0
	v_addc_co_u32_e32 v79, vcc, v79, v2, vcc
	v_pk_mov_b32 v[4:5], s[12:13], s[12:13] op_sel:[0,1]
	s_add_u32 s8, s8, s7
	v_cmp_ge_i64_e32 vcc, s[10:11], v[4:5]
	s_addc_u32 s9, s9, 0
	s_cbranch_vccnz .LBB67_81
.LBB67_55:                              ; =>This Inner Loop Header: Depth=1
	v_pk_mov_b32 v[4:5], s[12:13], s[12:13] op_sel:[0,1]
	v_cmp_ge_i64_e32 vcc, s[8:9], v[4:5]
	v_mov_b32_e32 v2, s9
	v_add_co_u32_e64 v87, s[0:1], s8, v20
	v_addc_co_u32_e64 v88, s[0:1], 0, v2, s[0:1]
	s_cbranch_vccz .LBB67_77
; %bb.56:                               ;   in Loop: Header=BB67_55 Depth=1
	s_load_dword s0, s[2:3], 0xc
	v_mov_b32_e32 v89, 0
	v_mov_b32_e32 v90, 0
	s_waitcnt lgkmcnt(0)
	s_and_b32 s0, s0, 0xffff
	v_mad_u32_u24 v2, v81, s0, v83
	v_and_b32_e32 v2, 63, v2
	v_cmp_gt_u32_e32 vcc, 8, v2
	s_and_saveexec_b64 s[0:1], vcc
	s_cbranch_execz .LBB67_60
; %bb.57:                               ;   in Loop: Header=BB67_55 Depth=1
	v_add_co_u32_e32 v2, vcc, v87, v2
	v_addc_co_u32_e32 v5, vcc, 0, v88, vcc
	v_add_co_u32_e32 v4, vcc, 0xffffff81, v2
	v_addc_co_u32_e32 v5, vcc, -1, v5, vcc
	v_cmp_gt_i64_e32 vcc, s[12:13], v[4:5]
	v_mov_b32_e32 v90, 0
	v_mov_b32_e32 v89, 0
	s_and_saveexec_b64 s[18:19], vcc
	s_cbranch_execz .LBB67_59
; %bb.58:                               ;   in Loop: Header=BB67_55 Depth=1
	v_lshlrev_b64 v[4:5], 2, v[4:5]
	v_mov_b32_e32 v2, s31
	v_add_co_u32_e32 v6, vcc, s30, v4
	v_addc_co_u32_e32 v7, vcc, v2, v5, vcc
	v_mov_b32_e32 v2, s29
	v_add_co_u32_e32 v4, vcc, s28, v4
	v_addc_co_u32_e32 v5, vcc, v2, v5, vcc
	global_load_dword v90, v[4:5], off
	global_load_dword v89, v[6:7], off
.LBB67_59:                              ;   in Loop: Header=BB67_55 Depth=1
	s_or_b64 exec, exec, s[18:19]
.LBB67_60:                              ;   in Loop: Header=BB67_55 Depth=1
	s_or_b64 exec, exec, s[0:1]
	v_add_co_u32_e32 v4, vcc, 0xffffff81, v87
	s_mov_b32 s21, s20
	v_addc_co_u32_e32 v5, vcc, -1, v88, vcc
	s_mov_b32 s22, s20
	s_mov_b32 s23, s20
	;; [unrolled: 1-line block ×6, first 2 shown]
	v_pk_mov_b32 v[12:13], s[20:21], s[20:21] op_sel:[0,1]
	v_cmp_gt_i64_e32 vcc, s[12:13], v[4:5]
	v_pk_mov_b32 v[14:15], s[22:23], s[22:23] op_sel:[0,1]
	v_pk_mov_b32 v[16:17], s[24:25], s[24:25] op_sel:[0,1]
	;; [unrolled: 1-line block ×7, first 2 shown]
	s_and_saveexec_b64 s[0:1], vcc
	s_cbranch_execz .LBB67_62
; %bb.61:                               ;   in Loop: Header=BB67_55 Depth=1
	v_add_co_u32_e32 v4, vcc, v38, v84
	v_addc_co_u32_e32 v5, vcc, v1, v85, vcc
	global_load_dword v2, v[4:5], off
	v_add_co_u32_e32 v4, vcc, v54, v84
	v_addc_co_u32_e32 v5, vcc, v21, v85, vcc
	global_load_dword v12, v[4:5], off
	v_mov_b32_e32 v4, v3
	v_mov_b32_e32 v5, v3
	;; [unrolled: 1-line block ×6, first 2 shown]
	s_waitcnt vmcnt(1)
	v_pk_mov_b32 v[10:11], v[8:9], v[8:9] op_sel:[0,1]
	v_mov_b32_e32 v13, v3
	v_mov_b32_e32 v14, v3
	;; [unrolled: 1-line block ×7, first 2 shown]
	v_pk_mov_b32 v[8:9], v[6:7], v[6:7] op_sel:[0,1]
	v_pk_mov_b32 v[6:7], v[4:5], v[4:5] op_sel:[0,1]
	;; [unrolled: 1-line block ×3, first 2 shown]
.LBB67_62:                              ;   in Loop: Header=BB67_55 Depth=1
	s_or_b64 exec, exec, s[0:1]
	v_add_co_u32_e32 v92, vcc, 0xffffff82, v87
	v_addc_co_u32_e32 v93, vcc, -1, v88, vcc
	v_cmp_gt_i64_e32 vcc, s[12:13], v[92:93]
	s_and_saveexec_b64 s[0:1], vcc
	s_cbranch_execz .LBB67_64
; %bb.63:                               ;   in Loop: Header=BB67_55 Depth=1
	v_add_co_u32_e32 v92, vcc, v80, v84
	v_addc_co_u32_e32 v93, vcc, v77, v85, vcc
	global_load_dword v5, v[92:93], off
	v_add_co_u32_e32 v92, vcc, v82, v84
	v_addc_co_u32_e32 v93, vcc, v79, v85, vcc
	global_load_dword v13, v[92:93], off
.LBB67_64:                              ;   in Loop: Header=BB67_55 Depth=1
	s_or_b64 exec, exec, s[0:1]
	v_add_co_u32_e32 v92, vcc, 0xffffff83, v87
	v_addc_co_u32_e32 v93, vcc, -1, v88, vcc
	v_cmp_gt_i64_e32 vcc, s[12:13], v[92:93]
	s_and_saveexec_b64 s[0:1], vcc
	s_cbranch_execz .LBB67_66
; %bb.65:                               ;   in Loop: Header=BB67_55 Depth=1
	v_add_co_u32_e32 v92, vcc, v76, v84
	v_addc_co_u32_e32 v93, vcc, v73, v85, vcc
	global_load_dword v6, v[92:93], off
	v_add_co_u32_e32 v92, vcc, v78, v84
	v_addc_co_u32_e32 v93, vcc, v75, v85, vcc
	global_load_dword v14, v[92:93], off
.LBB67_66:                              ;   in Loop: Header=BB67_55 Depth=1
	;; [unrolled: 14-line block ×7, first 2 shown]
	s_or_b64 exec, exec, s[0:1]
	s_waitcnt vmcnt(1)
	ds_bpermute_b32 v2, v86, v90
	ds_bpermute_b32 v91, v86, v90 offset:4
	s_waitcnt vmcnt(0)
	ds_bpermute_b32 v92, v86, v89
	ds_bpermute_b32 v93, v86, v89 offset:4
	v_mov_b32_e32 v95, v7
	s_waitcnt lgkmcnt(3)
	v_sub_f32_e32 v2, v12, v2
	v_mul_f32_e32 v2, v4, v2
	s_waitcnt lgkmcnt(2)
	v_sub_f32_e32 v13, v13, v91
	s_waitcnt lgkmcnt(1)
	v_mul_f32_e32 v12, v2, v92
	ds_bpermute_b32 v2, v86, v90 offset:8
	v_mul_f32_e32 v13, v5, v13
	s_waitcnt lgkmcnt(1)
	v_mul_f32_e32 v92, v13, v93
	ds_bpermute_b32 v13, v86, v89 offset:8
	ds_bpermute_b32 v91, v86, v90 offset:12
	;; [unrolled: 1-line block ×3, first 2 shown]
	s_waitcnt lgkmcnt(3)
	v_sub_f32_e32 v2, v14, v2
	v_mul_f32_e32 v2, v6, v2
	s_waitcnt lgkmcnt(2)
	v_mul_f32_e32 v14, v2, v13
	s_waitcnt lgkmcnt(1)
	v_sub_f32_e32 v2, v15, v91
	ds_bpermute_b32 v13, v86, v90 offset:16
	v_mul_f32_e32 v2, v7, v2
	s_waitcnt lgkmcnt(1)
	v_mul_f32_e32 v94, v2, v93
	ds_bpermute_b32 v2, v86, v89 offset:16
	ds_bpermute_b32 v15, v86, v90 offset:20
	;; [unrolled: 1-line block ×3, first 2 shown]
	s_waitcnt lgkmcnt(3)
	v_sub_f32_e32 v13, v16, v13
	v_mul_f32_e32 v13, v8, v13
	s_waitcnt lgkmcnt(2)
	v_mul_f32_e32 v16, v13, v2
	s_waitcnt lgkmcnt(1)
	v_sub_f32_e32 v2, v17, v15
	v_mul_f32_e32 v2, v9, v2
	s_waitcnt lgkmcnt(0)
	v_mul_f32_e32 v96, v2, v91
	ds_bpermute_b32 v2, v86, v90 offset:24
	v_mov_b32_e32 v15, v6
	ds_bpermute_b32 v6, v86, v89 offset:24
	v_mov_b32_e32 v13, v4
	v_pk_add_f32 v[12:13], v[26:27], v[12:13]
	v_mov_b32_e32 v93, v5
	v_pk_add_f32 v[4:5], v[92:93], v[12:13]
	v_mov_b32_e32 v17, v8
	s_waitcnt lgkmcnt(1)
	v_sub_f32_e32 v2, v18, v2
	ds_bpermute_b32 v8, v86, v90 offset:28
	v_pk_add_f32 v[4:5], v[14:15], v[4:5]
	v_mul_f32_e32 v2, v10, v2
	v_pk_add_f32 v[4:5], v[94:95], v[4:5]
	s_waitcnt lgkmcnt(1)
	v_mul_f32_e32 v6, v2, v6
	ds_bpermute_b32 v2, v86, v89 offset:28
	v_pk_add_f32 v[4:5], v[16:17], v[4:5]
	v_mov_b32_e32 v97, v9
	v_pk_add_f32 v[4:5], v[96:97], v[4:5]
	v_mov_b32_e32 v7, v10
	v_pk_add_f32 v[4:5], v[6:7], v[4:5]
	s_waitcnt lgkmcnt(1)
	v_sub_f32_e32 v6, v19, v8
	v_mul_f32_e32 v6, v11, v6
	s_waitcnt lgkmcnt(0)
	v_mul_f32_e32 v10, v6, v2
	s_branch .LBB67_54
.LBB67_77:                              ;   in Loop: Header=BB67_55 Depth=1
                                        ; implicit-def: $vgpr4_vgpr5
                                        ; implicit-def: $vgpr10_vgpr11
	s_cbranch_execz .LBB67_54
; %bb.78:                               ;   in Loop: Header=BB67_55 Depth=1
	s_load_dword s0, s[2:3], 0x0
	v_mov_b32_e32 v2, 0
	v_mov_b32_e32 v6, 0
	s_waitcnt lgkmcnt(0)
	s_cmp_lt_u32 s6, s0
	s_cselect_b32 s0, 12, 18
	s_add_u32 s0, s2, s0
	s_addc_u32 s1, s3, 0
	global_load_ushort v4, v3, s[0:1]
	s_waitcnt vmcnt(0)
	v_mad_u32_u24 v4, v81, v4, v83
	v_and_b32_e32 v4, 63, v4
	v_cmp_gt_u32_e32 vcc, 8, v4
	s_and_saveexec_b64 s[0:1], vcc
	s_cbranch_execz .LBB67_53
; %bb.79:                               ;   in Loop: Header=BB67_55 Depth=1
	v_add_co_u32_e32 v2, vcc, v87, v4
	v_addc_co_u32_e32 v5, vcc, 0, v88, vcc
	v_add_co_u32_e32 v4, vcc, 0xffffff81, v2
	v_addc_co_u32_e32 v5, vcc, -1, v5, vcc
	v_cmp_gt_i64_e32 vcc, s[12:13], v[4:5]
	v_mov_b32_e32 v6, 0
	v_mov_b32_e32 v2, 0
	s_and_saveexec_b64 s[18:19], vcc
	s_cbranch_execz .LBB67_52
; %bb.80:                               ;   in Loop: Header=BB67_55 Depth=1
	v_lshlrev_b64 v[4:5], 2, v[4:5]
	v_mov_b32_e32 v2, s31
	v_add_co_u32_e32 v8, vcc, s30, v4
	v_addc_co_u32_e32 v9, vcc, v2, v5, vcc
	v_mov_b32_e32 v2, s29
	v_add_co_u32_e32 v4, vcc, s28, v4
	v_addc_co_u32_e32 v5, vcc, v2, v5, vcc
	global_load_dword v6, v[4:5], off
	global_load_dword v2, v[8:9], off
	s_branch .LBB67_52
.LBB67_81:
	v_and_b32_e32 v2, 0x3ff, v0
	v_bfe_u32 v0, v0, 10, 10
	v_mad_u32_u24 v1, v0, 33, v2
	v_lshl_add_u32 v3, v1, 2, 0
	v_sub_u32_e32 v1, v1, v0
	s_movk_i32 s0, 0x800
	s_mov_b32 s7, 0
	v_cmp_gt_u32_e32 vcc, s0, v1
	ds_write_b32 v3, v26
	ds_write_b32 v3, v27 offset:2112
	s_waitcnt lgkmcnt(0)
	s_barrier
	s_and_saveexec_b64 s[0:1], vcc
	s_cbranch_execz .LBB67_91
; %bb.82:
	v_mbcnt_lo_u32_b32 v3, -1, 0
	v_mbcnt_hi_u32_b32 v3, -1, v3
	v_and_b32_e32 v4, 64, v3
	v_add_u32_e32 v4, 64, v4
	v_cmp_eq_u32_e64 s[2:3], 0, v2
	v_xor_b32_e32 v2, 8, v3
	v_cmp_lt_i32_e32 vcc, v2, v4
	v_cndmask_b32_e32 v2, v3, v2, vcc
	v_lshlrev_b32_e32 v8, 2, v2
	v_xor_b32_e32 v2, 4, v3
	v_cmp_lt_i32_e32 vcc, v2, v4
	s_load_dwordx4 s[8:11], s[4:5], 0x30
	v_cndmask_b32_e32 v2, v3, v2, vcc
	v_lshlrev_b32_e32 v9, 2, v2
	v_xor_b32_e32 v2, 2, v3
	v_cmp_lt_i32_e32 vcc, v2, v4
	v_cndmask_b32_e32 v2, v3, v2, vcc
	s_lshl_b64 s[12:13], s[6:7], 5
	v_lshlrev_b32_e32 v10, 2, v2
	v_xor_b32_e32 v2, 1, v3
	s_waitcnt lgkmcnt(0)
	s_cmp_lg_u64 s[8:9], 0
	v_cmp_lt_i32_e32 vcc, v2, v4
	v_lshrrev_b32_e32 v0, 6, v1
	s_cselect_b64 s[4:5], -1, 0
	s_cmp_lg_u64 s[10:11], 0
	v_cndmask_b32_e32 v2, v3, v2, vcc
	s_cselect_b64 s[18:19], -1, 0
	v_lshlrev_b32_e32 v11, 2, v2
	s_lshl_b64 s[6:7], s[6:7], 7
	v_lshlrev_b32_e32 v2, 2, v0
	v_mov_b32_e32 v3, s7
	v_add_co_u32_e32 v4, vcc, s6, v2
	v_and_b32_e32 v6, 63, v1
	v_addc_co_u32_e32 v5, vcc, 0, v3, vcc
	v_cmp_gt_u32_e64 s[0:1], 16, v6
	v_mov_b32_e32 v3, s11
	v_add_co_u32_e32 v2, vcc, s10, v4
	v_mad_u32_u24 v6, v6, 33, v0
	v_addc_co_u32_e32 v3, vcc, v3, v5, vcc
	v_lshl_add_u32 v12, v6, 2, 0
	v_cndmask_b32_e64 v6, 0, 1, s[4:5]
	v_mov_b32_e32 v7, s9
	v_add_co_u32_e32 v4, vcc, s8, v4
	v_cmp_ne_u32_e64 s[4:5], 1, v6
	v_cndmask_b32_e64 v6, 0, 1, s[18:19]
	v_mov_b32_e32 v1, 0
	s_mov_b64 s[16:17], 0
	v_addc_co_u32_e32 v5, vcc, v7, v5, vcc
	v_mov_b32_e32 v13, s13
	v_cmp_ne_u32_e64 s[6:7], 1, v6
                                        ; implicit-def: $vgpr6
	s_branch .LBB67_84
.LBB67_83:                              ;   in Loop: Header=BB67_84 Depth=1
	s_or_b64 exec, exec, s[8:9]
	v_add_co_u32_e32 v0, vcc, 8, v0
	v_addc_co_u32_e32 v1, vcc, 0, v1, vcc
	v_add_co_u32_e32 v2, vcc, 32, v2
	v_addc_co_u32_e32 v3, vcc, 0, v3, vcc
	v_add_co_u32_e32 v4, vcc, 32, v4
	v_add_u32_e32 v14, -8, v0
	v_addc_co_u32_e32 v5, vcc, 0, v5, vcc
	v_cmp_lt_u32_e32 vcc, 23, v14
	s_or_b64 s[16:17], vcc, s[16:17]
	v_add_u32_e32 v12, 32, v12
	s_andn2_b64 exec, exec, s[16:17]
	s_cbranch_execz .LBB67_91
.LBB67_84:                              ; =>This Inner Loop Header: Depth=1
	s_and_saveexec_b64 s[8:9], s[0:1]
	s_cbranch_execz .LBB67_86
; %bb.85:                               ;   in Loop: Header=BB67_84 Depth=1
	ds_read_b32 v7, v12
	ds_read_b32 v6, v12 offset:2112
.LBB67_86:                              ;   in Loop: Header=BB67_84 Depth=1
	s_or_b64 exec, exec, s[8:9]
	s_waitcnt lgkmcnt(1)
	ds_bpermute_b32 v15, v8, v7
	s_waitcnt lgkmcnt(1)
	ds_bpermute_b32 v14, v8, v6
	v_add_co_u32_e32 v16, vcc, s12, v0
	v_addc_co_u32_e32 v17, vcc, v13, v1, vcc
	s_waitcnt lgkmcnt(0)
	v_pk_add_f32 v[6:7], v[6:7], v[14:15]
	ds_bpermute_b32 v15, v9, v7
	ds_bpermute_b32 v14, v9, v6
	v_cmp_gt_i64_e32 vcc, s[14:15], v[16:17]
	s_and_b64 s[10:11], s[2:3], vcc
	s_waitcnt lgkmcnt(0)
	v_pk_add_f32 v[6:7], v[6:7], v[14:15]
	ds_bpermute_b32 v15, v10, v7
	ds_bpermute_b32 v14, v10, v6
	s_waitcnt lgkmcnt(0)
	v_pk_add_f32 v[6:7], v[6:7], v[14:15]
	ds_bpermute_b32 v15, v11, v7
	ds_bpermute_b32 v14, v11, v6
	s_waitcnt lgkmcnt(0)
	v_pk_add_f32 v[6:7], v[6:7], v[14:15]
	s_and_saveexec_b64 s[8:9], s[10:11]
	s_cbranch_execz .LBB67_83
; %bb.87:                               ;   in Loop: Header=BB67_84 Depth=1
	s_and_b64 vcc, exec, s[4:5]
	s_cbranch_vccnz .LBB67_89
; %bb.88:                               ;   in Loop: Header=BB67_84 Depth=1
	global_store_dword v[4:5], v7, off
.LBB67_89:                              ;   in Loop: Header=BB67_84 Depth=1
	s_and_b64 vcc, exec, s[6:7]
	s_cbranch_vccnz .LBB67_83
; %bb.90:                               ;   in Loop: Header=BB67_84 Depth=1
	global_store_dword v[2:3], v6, off
	s_branch .LBB67_83
.LBB67_91:
	s_endpgm
	.section	.rodata,"a",@progbits
	.p2align	6, 0x0
	.amdhsa_kernel _ZN2at6native12_GLOBAL__N_135GammaBetaBackwardCUDAKernelTemplateIffLj32ELj16ELj128ELb0ELb0ELb0EEEvllPKT_S5_PKT0_S8_PS3_S9_
		.amdhsa_group_segment_fixed_size 0
		.amdhsa_private_segment_fixed_size 0
		.amdhsa_kernarg_size 320
		.amdhsa_user_sgpr_count 6
		.amdhsa_user_sgpr_private_segment_buffer 1
		.amdhsa_user_sgpr_dispatch_ptr 0
		.amdhsa_user_sgpr_queue_ptr 0
		.amdhsa_user_sgpr_kernarg_segment_ptr 1
		.amdhsa_user_sgpr_dispatch_id 0
		.amdhsa_user_sgpr_flat_scratch_init 0
		.amdhsa_user_sgpr_kernarg_preload_length 0
		.amdhsa_user_sgpr_kernarg_preload_offset 0
		.amdhsa_user_sgpr_private_segment_size 0
		.amdhsa_uses_dynamic_stack 0
		.amdhsa_system_sgpr_private_segment_wavefront_offset 0
		.amdhsa_system_sgpr_workgroup_id_x 1
		.amdhsa_system_sgpr_workgroup_id_y 1
		.amdhsa_system_sgpr_workgroup_id_z 0
		.amdhsa_system_sgpr_workgroup_info 0
		.amdhsa_system_vgpr_workitem_id 1
		.amdhsa_next_free_vgpr 98
		.amdhsa_next_free_sgpr 44
		.amdhsa_accum_offset 100
		.amdhsa_reserve_vcc 1
		.amdhsa_reserve_flat_scratch 0
		.amdhsa_float_round_mode_32 0
		.amdhsa_float_round_mode_16_64 0
		.amdhsa_float_denorm_mode_32 3
		.amdhsa_float_denorm_mode_16_64 3
		.amdhsa_dx10_clamp 1
		.amdhsa_ieee_mode 1
		.amdhsa_fp16_overflow 0
		.amdhsa_tg_split 0
		.amdhsa_exception_fp_ieee_invalid_op 0
		.amdhsa_exception_fp_denorm_src 0
		.amdhsa_exception_fp_ieee_div_zero 0
		.amdhsa_exception_fp_ieee_overflow 0
		.amdhsa_exception_fp_ieee_underflow 0
		.amdhsa_exception_fp_ieee_inexact 0
		.amdhsa_exception_int_div_zero 0
	.end_amdhsa_kernel
	.section	.text._ZN2at6native12_GLOBAL__N_135GammaBetaBackwardCUDAKernelTemplateIffLj32ELj16ELj128ELb0ELb0ELb0EEEvllPKT_S5_PKT0_S8_PS3_S9_,"axG",@progbits,_ZN2at6native12_GLOBAL__N_135GammaBetaBackwardCUDAKernelTemplateIffLj32ELj16ELj128ELb0ELb0ELb0EEEvllPKT_S5_PKT0_S8_PS3_S9_,comdat
.Lfunc_end67:
	.size	_ZN2at6native12_GLOBAL__N_135GammaBetaBackwardCUDAKernelTemplateIffLj32ELj16ELj128ELb0ELb0ELb0EEEvllPKT_S5_PKT0_S8_PS3_S9_, .Lfunc_end67-_ZN2at6native12_GLOBAL__N_135GammaBetaBackwardCUDAKernelTemplateIffLj32ELj16ELj128ELb0ELb0ELb0EEEvllPKT_S5_PKT0_S8_PS3_S9_
                                        ; -- End function
	.section	.AMDGPU.csdata,"",@progbits
; Kernel info:
; codeLenInByte = 7328
; NumSgprs: 48
; NumVgprs: 98
; NumAgprs: 0
; TotalNumVgprs: 98
; ScratchSize: 0
; MemoryBound: 0
; FloatMode: 240
; IeeeMode: 1
; LDSByteSize: 0 bytes/workgroup (compile time only)
; SGPRBlocks: 5
; VGPRBlocks: 12
; NumSGPRsForWavesPerEU: 48
; NumVGPRsForWavesPerEU: 98
; AccumOffset: 100
; Occupancy: 4
; WaveLimiterHint : 0
; COMPUTE_PGM_RSRC2:SCRATCH_EN: 0
; COMPUTE_PGM_RSRC2:USER_SGPR: 6
; COMPUTE_PGM_RSRC2:TRAP_HANDLER: 0
; COMPUTE_PGM_RSRC2:TGID_X_EN: 1
; COMPUTE_PGM_RSRC2:TGID_Y_EN: 1
; COMPUTE_PGM_RSRC2:TGID_Z_EN: 0
; COMPUTE_PGM_RSRC2:TIDIG_COMP_CNT: 1
; COMPUTE_PGM_RSRC3_GFX90A:ACCUM_OFFSET: 24
; COMPUTE_PGM_RSRC3_GFX90A:TG_SPLIT: 0
	.section	.text._ZN2at6native12_GLOBAL__N_135GammaBetaBackwardCUDAKernelTemplateIffLj32ELj32ELj256ELb0ELb1ELb0EEEvllPKT_S5_PKT0_S8_PS3_S9_,"axG",@progbits,_ZN2at6native12_GLOBAL__N_135GammaBetaBackwardCUDAKernelTemplateIffLj32ELj32ELj256ELb0ELb1ELb0EEEvllPKT_S5_PKT0_S8_PS3_S9_,comdat
	.globl	_ZN2at6native12_GLOBAL__N_135GammaBetaBackwardCUDAKernelTemplateIffLj32ELj32ELj256ELb0ELb1ELb0EEEvllPKT_S5_PKT0_S8_PS3_S9_ ; -- Begin function _ZN2at6native12_GLOBAL__N_135GammaBetaBackwardCUDAKernelTemplateIffLj32ELj32ELj256ELb0ELb1ELb0EEEvllPKT_S5_PKT0_S8_PS3_S9_
	.p2align	8
	.type	_ZN2at6native12_GLOBAL__N_135GammaBetaBackwardCUDAKernelTemplateIffLj32ELj32ELj256ELb0ELb1ELb0EEEvllPKT_S5_PKT0_S8_PS3_S9_,@function
_ZN2at6native12_GLOBAL__N_135GammaBetaBackwardCUDAKernelTemplateIffLj32ELj32ELj256ELb0ELb1ELb0EEEvllPKT_S5_PKT0_S8_PS3_S9_: ; @_ZN2at6native12_GLOBAL__N_135GammaBetaBackwardCUDAKernelTemplateIffLj32ELj32ELj256ELb0ELb1ELb0EEEvllPKT_S5_PKT0_S8_PS3_S9_
; %bb.0:
	s_load_dwordx4 s[20:23], s[4:5], 0x0
	s_lshl_b32 s2, s7, 8
	s_mov_b32 s3, 0
	v_bfe_u32 v16, v0, 10, 10
	s_waitcnt lgkmcnt(0)
	v_pk_mov_b32 v[2:3], s[20:21], s[20:21] op_sel:[0,1]
	v_cmp_lt_i64_e32 vcc, s[2:3], v[2:3]
	s_cbranch_vccnz .LBB68_2
; %bb.1:
	s_mov_b64 s[0:1], 0
	v_bfe_u32 v2, v0, 10, 10
	s_branch .LBB68_3
.LBB68_2:
	s_mov_b64 s[0:1], -1
                                        ; implicit-def: $vgpr2
.LBB68_3:
	s_load_dwordx4 s[16:19], s[4:5], 0x30
	v_and_b32_e32 v14, 0x3ff, v0
	s_andn2_b64 vcc, exec, s[0:1]
	v_mov_b32_e32 v1, s3
	v_mbcnt_lo_u32_b32 v15, -1, 0
	v_mov_b32_e32 v0, s3
	s_cbranch_vccnz .LBB68_11
; %bb.4:
	s_load_dword s0, s[4:5], 0x4c
	s_load_dword s7, s[4:5], 0x44
	s_load_dwordx8 s[8:15], s[4:5], 0x10
	v_mbcnt_hi_u32_b32 v4, -1, v15
	v_lshlrev_b32_e32 v2, 3, v16
	s_waitcnt lgkmcnt(0)
	s_and_b32 s0, s0, 0xffff
	v_lshlrev_b32_e32 v4, 2, v4
	v_mad_u32_u24 v0, v16, s0, v14
	v_and_b32_e32 v17, 0x100, v4
	v_mov_b32_e32 v4, s3
	v_add_co_u32_e32 v6, vcc, s2, v2
	v_and_b32_e32 v3, 63, v0
	v_addc_co_u32_e32 v7, vcc, 0, v4, vcc
	v_add_co_u32_e32 v2, vcc, v6, v3
	v_cmp_gt_u32_e64 s[0:1], 8, v3
	s_lshl_b32 s4, s7, 8
	v_addc_co_u32_e32 v3, vcc, 0, v7, vcc
	v_mul_lo_u32 v8, s23, v6
	v_mul_lo_u32 v9, s22, v7
	v_mad_u64_u32 v[6:7], s[26:27], s22, v6, 0
	v_mov_b32_e32 v1, 0
	v_lshl_add_u32 v0, s6, 5, v14
	v_add3_u32 v7, v7, v9, v8
	s_mul_i32 s7, s23, s4
	s_mul_hi_u32 s26, s22, s4
	s_mov_b32 s5, 0
	v_lshlrev_b64 v[6:7], 2, v[6:7]
	v_lshlrev_b64 v[8:9], 2, v[0:1]
	s_add_i32 s27, s26, s7
	s_mul_i32 s26, s22, s4
	s_lshl_b64 s[24:25], s[4:5], 2
	v_add_co_u32_e32 v6, vcc, v6, v8
	s_lshl_b64 s[26:27], s[26:27], 2
	s_lshl_b64 s[22:23], s[22:23], 2
	v_or_b32_e32 v18, 4, v17
	v_or_b32_e32 v19, 8, v17
	;; [unrolled: 1-line block ×7, first 2 shown]
	v_lshlrev_b64 v[4:5], 2, v[2:3]
	v_addc_co_u32_e32 v7, vcc, v7, v9, vcc
	v_mov_b32_e32 v25, s9
	v_mov_b32_e32 v26, s11
	;; [unrolled: 1-line block ×6, first 2 shown]
	v_pk_mov_b32 v[8:9], s[20:21], s[20:21] op_sel:[0,1]
	v_mov_b32_e32 v0, v1
	s_branch .LBB68_7
.LBB68_5:                               ;   in Loop: Header=BB68_7 Depth=1
	s_or_b64 exec, exec, s[30:31]
.LBB68_6:                               ;   in Loop: Header=BB68_7 Depth=1
	s_or_b64 exec, exec, s[28:29]
	v_add_co_u32_e32 v12, vcc, s8, v6
	v_addc_co_u32_e32 v13, vcc, v25, v7, vcc
	v_add_co_u32_e32 v34, vcc, s10, v6
	v_addc_co_u32_e32 v35, vcc, v26, v7, vcc
	;; [unrolled: 2-line block ×3, first 2 shown]
	global_load_dword v10, v[34:35], off
	v_add_co_u32_e32 v34, vcc, s22, v34
	v_addc_co_u32_e32 v35, vcc, v35, v27, vcc
	global_load_dword v11, v[12:13], off
	s_add_u32 s2, s2, s4
	global_load_dword v13, v[36:37], off
	v_add_co_u32_e32 v36, vcc, s22, v36
	v_addc_co_u32_e32 v37, vcc, v37, v27, vcc
	global_load_dword v12, v[34:35], off
	v_add_co_u32_e32 v34, vcc, s22, v34
	v_addc_co_u32_e32 v35, vcc, v35, v27, vcc
	;; [unrolled: 3-line block ×10, first 2 shown]
	global_load_dword v46, v[34:35], off
	global_load_dword v47, v[36:37], off
	v_add_co_u32_e32 v36, vcc, s22, v36
	v_addc_co_u32_e32 v37, vcc, v37, v27, vcc
	v_add_co_u32_e32 v34, vcc, s22, v34
	v_addc_co_u32_e32 v35, vcc, v35, v27, vcc
	global_load_dword v48, v[34:35], off
	global_load_dword v33, v[36:37], off
	s_waitcnt vmcnt(17)
	ds_bpermute_b32 v34, v17, v32
	s_waitcnt vmcnt(16)
	ds_bpermute_b32 v35, v17, v31
	ds_bpermute_b32 v36, v19, v32
	;; [unrolled: 1-line block ×3, first 2 shown]
	v_add_co_u32_e32 v4, vcc, s24, v4
	v_addc_co_u32_e32 v5, vcc, v5, v28, vcc
	v_add_co_u32_e32 v2, vcc, s4, v2
	v_addc_co_u32_e32 v3, vcc, v3, v29, vcc
	v_add_co_u32_e32 v6, vcc, s26, v6
	s_waitcnt vmcnt(15) lgkmcnt(3)
	v_sub_f32_e32 v10, v10, v34
	ds_bpermute_b32 v34, v18, v32
	s_addc_u32 s3, s3, 0
	v_addc_co_u32_e32 v7, vcc, v7, v30, vcc
	s_waitcnt vmcnt(14)
	v_mul_f32_e32 v10, v11, v10
	s_waitcnt lgkmcnt(3)
	v_mul_f32_e32 v10, v10, v35
	ds_bpermute_b32 v35, v18, v31
	v_pk_add_f32 v[0:1], v[0:1], v[10:11]
	ds_bpermute_b32 v10, v24, v32
	ds_bpermute_b32 v11, v24, v31
	s_waitcnt vmcnt(12) lgkmcnt(3)
	v_sub_f32_e32 v12, v12, v34
	ds_bpermute_b32 v34, v19, v31
	v_mul_f32_e32 v12, v13, v12
	s_waitcnt lgkmcnt(3)
	v_mul_f32_e32 v12, v12, v35
	v_pk_add_f32 v[0:1], v[0:1], v[12:13]
	v_cmp_lt_i64_e32 vcc, s[2:3], v[8:9]
	s_and_b64 vcc, exec, vcc
	s_waitcnt vmcnt(10)
	v_sub_f32_e32 v35, v38, v36
	ds_bpermute_b32 v36, v20, v32
	v_mul_f32_e32 v35, v39, v35
	s_waitcnt lgkmcnt(1)
	v_mul_f32_e32 v38, v35, v34
	ds_bpermute_b32 v34, v20, v31
	ds_bpermute_b32 v35, v21, v32
	v_pk_add_f32 v[0:1], v[0:1], v[38:39]
	s_waitcnt vmcnt(8) lgkmcnt(2)
	v_sub_f32_e32 v36, v40, v36
	v_mul_f32_e32 v36, v41, v36
	s_waitcnt lgkmcnt(1)
	v_mul_f32_e32 v40, v36, v34
	ds_bpermute_b32 v36, v23, v32
	v_pk_add_f32 v[0:1], v[0:1], v[40:41]
	s_waitcnt vmcnt(6) lgkmcnt(1)
	v_sub_f32_e32 v34, v42, v35
	ds_bpermute_b32 v35, v22, v32
	v_mul_f32_e32 v34, v43, v34
	v_mul_f32_e32 v42, v34, v37
	ds_bpermute_b32 v34, v22, v31
	ds_bpermute_b32 v37, v23, v31
	v_pk_add_f32 v[0:1], v[0:1], v[42:43]
	s_waitcnt vmcnt(4) lgkmcnt(2)
	v_sub_f32_e32 v35, v44, v35
	v_mul_f32_e32 v35, v45, v35
	s_waitcnt lgkmcnt(1)
	v_mul_f32_e32 v44, v35, v34
	v_pk_add_f32 v[0:1], v[0:1], v[44:45]
	s_waitcnt vmcnt(3)
	v_sub_f32_e32 v34, v46, v36
	s_waitcnt vmcnt(2)
	v_mul_f32_e32 v34, v47, v34
	s_waitcnt lgkmcnt(0)
	v_mul_f32_e32 v46, v34, v37
	v_pk_add_f32 v[0:1], v[0:1], v[46:47]
	s_waitcnt vmcnt(1)
	v_sub_f32_e32 v10, v48, v10
	s_waitcnt vmcnt(0)
	v_mul_f32_e32 v10, v33, v10
	v_mul_f32_e32 v32, v10, v11
	v_pk_add_f32 v[0:1], v[0:1], v[32:33]
	s_cbranch_vccz .LBB68_10
.LBB68_7:                               ; =>This Inner Loop Header: Depth=1
	v_mov_b32_e32 v31, 0
	v_mov_b32_e32 v32, 0
	s_and_saveexec_b64 s[28:29], s[0:1]
	s_cbranch_execz .LBB68_6
; %bb.8:                                ;   in Loop: Header=BB68_7 Depth=1
	v_cmp_gt_i64_e32 vcc, s[20:21], v[2:3]
	v_mov_b32_e32 v32, 0
	v_mov_b32_e32 v31, 0
	s_and_saveexec_b64 s[30:31], vcc
	s_cbranch_execz .LBB68_5
; %bb.9:                                ;   in Loop: Header=BB68_7 Depth=1
	v_mov_b32_e32 v11, s15
	v_add_co_u32_e32 v10, vcc, s14, v4
	v_addc_co_u32_e32 v11, vcc, v11, v5, vcc
	v_mov_b32_e32 v13, s13
	v_add_co_u32_e32 v12, vcc, s12, v4
	v_addc_co_u32_e32 v13, vcc, v13, v5, vcc
	global_load_dword v32, v[12:13], off
	global_load_dword v31, v[10:11], off
	s_branch .LBB68_5
.LBB68_10:
	v_mov_b32_e32 v2, v16
.LBB68_11:
	v_mad_u32_u24 v3, v2, 33, v14
	v_lshl_add_u32 v4, v3, 2, 0
	ds_write_b32 v4, v0
	ds_write_b32 v4, v1 offset:4224
	v_sub_u32_e32 v0, v3, v2
	s_movk_i32 s0, 0x800
	s_mov_b32 s7, 0
	v_cmp_gt_u32_e32 vcc, s0, v0
	s_waitcnt lgkmcnt(0)
	s_barrier
	s_and_saveexec_b64 s[0:1], vcc
	s_cbranch_execz .LBB68_21
; %bb.12:
	v_lshrrev_b32_e32 v4, 6, v0
	v_and_b32_e32 v5, 63, v0
	v_mbcnt_hi_u32_b32 v0, -1, v15
	v_and_b32_e32 v1, 64, v0
	v_add_u32_e32 v1, 64, v1
	v_xor_b32_e32 v2, 16, v0
	v_cmp_lt_i32_e32 vcc, v2, v1
	v_cndmask_b32_e32 v2, v0, v2, vcc
	v_lshlrev_b32_e32 v6, 2, v2
	v_xor_b32_e32 v2, 8, v0
	v_cmp_lt_i32_e32 vcc, v2, v1
	v_cndmask_b32_e32 v2, v0, v2, vcc
	v_lshlrev_b32_e32 v7, 2, v2
	;; [unrolled: 4-line block ×4, first 2 shown]
	v_xor_b32_e32 v2, 1, v0
	s_cmp_lg_u64 s[16:17], 0
	v_cmp_lt_i32_e32 vcc, v2, v1
	s_cselect_b64 s[4:5], -1, 0
	s_cmp_lg_u64 s[18:19], 0
	v_cndmask_b32_e32 v0, v0, v2, vcc
	s_cselect_b64 s[10:11], -1, 0
	v_lshlrev_b32_e32 v10, 2, v0
	s_lshl_b64 s[6:7], s[6:7], 7
	v_lshlrev_b32_e32 v0, 2, v4
	v_mov_b32_e32 v1, s7
	v_add_co_u32_e32 v2, vcc, s6, v0
	v_addc_co_u32_e32 v3, vcc, 0, v1, vcc
	v_mov_b32_e32 v1, s19
	v_add_co_u32_e32 v0, vcc, s18, v2
	v_addc_co_u32_e32 v1, vcc, v1, v3, vcc
	v_add_u32_e32 v11, -16, v4
	v_mov_b32_e32 v12, s17
	v_add_co_u32_e32 v2, vcc, s16, v2
	v_mad_u32_u24 v4, v5, 33, v4
	v_addc_co_u32_e32 v3, vcc, v12, v3, vcc
	v_lshl_add_u32 v12, v4, 2, 0
	v_cndmask_b32_e64 v4, 0, 1, s[4:5]
	v_cmp_ne_u32_e64 s[4:5], 1, v4
	v_cndmask_b32_e64 v4, 0, 1, s[10:11]
	v_cmp_gt_u32_e64 s[0:1], 32, v5
	v_cmp_eq_u32_e64 s[2:3], 0, v14
	s_mov_b64 s[8:9], 0
	v_cmp_ne_u32_e64 s[6:7], 1, v4
                                        ; implicit-def: $vgpr4
	s_branch .LBB68_14
.LBB68_13:                              ;   in Loop: Header=BB68_14 Depth=1
	s_or_b64 exec, exec, s[10:11]
	v_add_co_u32_e32 v11, vcc, 16, v11
	s_xor_b64 s[10:11], vcc, -1
	v_add_co_u32_e32 v0, vcc, 64, v0
	v_addc_co_u32_e32 v1, vcc, 0, v1, vcc
	v_add_co_u32_e32 v2, vcc, 64, v2
	s_and_b64 s[10:11], exec, s[10:11]
	v_addc_co_u32_e32 v3, vcc, 0, v3, vcc
	s_or_b64 s[8:9], s[10:11], s[8:9]
	v_add_u32_e32 v12, 64, v12
	s_andn2_b64 exec, exec, s[8:9]
	s_cbranch_execz .LBB68_21
.LBB68_14:                              ; =>This Inner Loop Header: Depth=1
	s_and_saveexec_b64 s[10:11], s[0:1]
	s_cbranch_execz .LBB68_16
; %bb.15:                               ;   in Loop: Header=BB68_14 Depth=1
	ds_read_b32 v5, v12
	ds_read_b32 v4, v12 offset:4224
.LBB68_16:                              ;   in Loop: Header=BB68_14 Depth=1
	s_or_b64 exec, exec, s[10:11]
	s_waitcnt lgkmcnt(1)
	ds_bpermute_b32 v15, v6, v5
	s_waitcnt lgkmcnt(1)
	ds_bpermute_b32 v14, v6, v4
	s_waitcnt lgkmcnt(0)
	v_pk_add_f32 v[4:5], v[4:5], v[14:15]
	ds_bpermute_b32 v15, v7, v5
	ds_bpermute_b32 v14, v7, v4
	s_waitcnt lgkmcnt(0)
	v_pk_add_f32 v[4:5], v[4:5], v[14:15]
	ds_bpermute_b32 v15, v8, v5
	;; [unrolled: 4-line block ×4, first 2 shown]
	ds_bpermute_b32 v14, v10, v4
	s_waitcnt lgkmcnt(0)
	v_pk_add_f32 v[4:5], v[4:5], v[14:15]
	s_and_saveexec_b64 s[10:11], s[2:3]
	s_cbranch_execz .LBB68_13
; %bb.17:                               ;   in Loop: Header=BB68_14 Depth=1
	s_and_b64 vcc, exec, s[4:5]
	s_cbranch_vccnz .LBB68_19
; %bb.18:                               ;   in Loop: Header=BB68_14 Depth=1
	global_store_dword v[2:3], v5, off
.LBB68_19:                              ;   in Loop: Header=BB68_14 Depth=1
	s_and_b64 vcc, exec, s[6:7]
	s_cbranch_vccnz .LBB68_13
; %bb.20:                               ;   in Loop: Header=BB68_14 Depth=1
	global_store_dword v[0:1], v4, off
	s_branch .LBB68_13
.LBB68_21:
	s_endpgm
	.section	.rodata,"a",@progbits
	.p2align	6, 0x0
	.amdhsa_kernel _ZN2at6native12_GLOBAL__N_135GammaBetaBackwardCUDAKernelTemplateIffLj32ELj32ELj256ELb0ELb1ELb0EEEvllPKT_S5_PKT0_S8_PS3_S9_
		.amdhsa_group_segment_fixed_size 0
		.amdhsa_private_segment_fixed_size 0
		.amdhsa_kernarg_size 320
		.amdhsa_user_sgpr_count 6
		.amdhsa_user_sgpr_private_segment_buffer 1
		.amdhsa_user_sgpr_dispatch_ptr 0
		.amdhsa_user_sgpr_queue_ptr 0
		.amdhsa_user_sgpr_kernarg_segment_ptr 1
		.amdhsa_user_sgpr_dispatch_id 0
		.amdhsa_user_sgpr_flat_scratch_init 0
		.amdhsa_user_sgpr_kernarg_preload_length 0
		.amdhsa_user_sgpr_kernarg_preload_offset 0
		.amdhsa_user_sgpr_private_segment_size 0
		.amdhsa_uses_dynamic_stack 0
		.amdhsa_system_sgpr_private_segment_wavefront_offset 0
		.amdhsa_system_sgpr_workgroup_id_x 1
		.amdhsa_system_sgpr_workgroup_id_y 1
		.amdhsa_system_sgpr_workgroup_id_z 0
		.amdhsa_system_sgpr_workgroup_info 0
		.amdhsa_system_vgpr_workitem_id 1
		.amdhsa_next_free_vgpr 49
		.amdhsa_next_free_sgpr 32
		.amdhsa_accum_offset 52
		.amdhsa_reserve_vcc 1
		.amdhsa_reserve_flat_scratch 0
		.amdhsa_float_round_mode_32 0
		.amdhsa_float_round_mode_16_64 0
		.amdhsa_float_denorm_mode_32 3
		.amdhsa_float_denorm_mode_16_64 3
		.amdhsa_dx10_clamp 1
		.amdhsa_ieee_mode 1
		.amdhsa_fp16_overflow 0
		.amdhsa_tg_split 0
		.amdhsa_exception_fp_ieee_invalid_op 0
		.amdhsa_exception_fp_denorm_src 0
		.amdhsa_exception_fp_ieee_div_zero 0
		.amdhsa_exception_fp_ieee_overflow 0
		.amdhsa_exception_fp_ieee_underflow 0
		.amdhsa_exception_fp_ieee_inexact 0
		.amdhsa_exception_int_div_zero 0
	.end_amdhsa_kernel
	.section	.text._ZN2at6native12_GLOBAL__N_135GammaBetaBackwardCUDAKernelTemplateIffLj32ELj32ELj256ELb0ELb1ELb0EEEvllPKT_S5_PKT0_S8_PS3_S9_,"axG",@progbits,_ZN2at6native12_GLOBAL__N_135GammaBetaBackwardCUDAKernelTemplateIffLj32ELj32ELj256ELb0ELb1ELb0EEEvllPKT_S5_PKT0_S8_PS3_S9_,comdat
.Lfunc_end68:
	.size	_ZN2at6native12_GLOBAL__N_135GammaBetaBackwardCUDAKernelTemplateIffLj32ELj32ELj256ELb0ELb1ELb0EEEvllPKT_S5_PKT0_S8_PS3_S9_, .Lfunc_end68-_ZN2at6native12_GLOBAL__N_135GammaBetaBackwardCUDAKernelTemplateIffLj32ELj32ELj256ELb0ELb1ELb0EEEvllPKT_S5_PKT0_S8_PS3_S9_
                                        ; -- End function
	.section	.AMDGPU.csdata,"",@progbits
; Kernel info:
; codeLenInByte = 1716
; NumSgprs: 36
; NumVgprs: 49
; NumAgprs: 0
; TotalNumVgprs: 49
; ScratchSize: 0
; MemoryBound: 0
; FloatMode: 240
; IeeeMode: 1
; LDSByteSize: 0 bytes/workgroup (compile time only)
; SGPRBlocks: 4
; VGPRBlocks: 6
; NumSGPRsForWavesPerEU: 36
; NumVGPRsForWavesPerEU: 49
; AccumOffset: 52
; Occupancy: 8
; WaveLimiterHint : 0
; COMPUTE_PGM_RSRC2:SCRATCH_EN: 0
; COMPUTE_PGM_RSRC2:USER_SGPR: 6
; COMPUTE_PGM_RSRC2:TRAP_HANDLER: 0
; COMPUTE_PGM_RSRC2:TGID_X_EN: 1
; COMPUTE_PGM_RSRC2:TGID_Y_EN: 1
; COMPUTE_PGM_RSRC2:TGID_Z_EN: 0
; COMPUTE_PGM_RSRC2:TIDIG_COMP_CNT: 1
; COMPUTE_PGM_RSRC3_GFX90A:ACCUM_OFFSET: 12
; COMPUTE_PGM_RSRC3_GFX90A:TG_SPLIT: 0
	.section	.text._ZN2at6native12_GLOBAL__N_135GammaBetaBackwardCUDAKernelTemplateIffLj32ELj32ELj256ELb0ELb0ELb0EEEvllPKT_S5_PKT0_S8_PS3_S9_,"axG",@progbits,_ZN2at6native12_GLOBAL__N_135GammaBetaBackwardCUDAKernelTemplateIffLj32ELj32ELj256ELb0ELb0ELb0EEEvllPKT_S5_PKT0_S8_PS3_S9_,comdat
	.globl	_ZN2at6native12_GLOBAL__N_135GammaBetaBackwardCUDAKernelTemplateIffLj32ELj32ELj256ELb0ELb0ELb0EEEvllPKT_S5_PKT0_S8_PS3_S9_ ; -- Begin function _ZN2at6native12_GLOBAL__N_135GammaBetaBackwardCUDAKernelTemplateIffLj32ELj32ELj256ELb0ELb0ELb0EEEvllPKT_S5_PKT0_S8_PS3_S9_
	.p2align	8
	.type	_ZN2at6native12_GLOBAL__N_135GammaBetaBackwardCUDAKernelTemplateIffLj32ELj32ELj256ELb0ELb0ELb0EEEvllPKT_S5_PKT0_S8_PS3_S9_,@function
_ZN2at6native12_GLOBAL__N_135GammaBetaBackwardCUDAKernelTemplateIffLj32ELj32ELj256ELb0ELb0ELb0EEEvllPKT_S5_PKT0_S8_PS3_S9_: ; @_ZN2at6native12_GLOBAL__N_135GammaBetaBackwardCUDAKernelTemplateIffLj32ELj32ELj256ELb0ELb0ELb0EEEvllPKT_S5_PKT0_S8_PS3_S9_
; %bb.0:
	s_load_dwordx8 s[12:19], s[4:5], 0x0
	s_load_dwordx4 s[28:31], s[4:5], 0x20
	s_lshl_b32 s33, s6, 5
	s_mov_b32 s20, 0
	s_or_b32 s0, s33, 31
	s_mov_b32 s1, s20
	s_waitcnt lgkmcnt(0)
	v_pk_mov_b32 v[2:3], s[14:15], s[14:15] op_sel:[0,1]
	v_cmp_ge_i64_e32 vcc, s[0:1], v[2:3]
	s_lshl_b32 s10, s7, 8
	s_mov_b32 s11, s20
	v_pk_mov_b32 v[2:3], s[12:13], s[12:13] op_sel:[0,1]
	v_cmp_lt_i64_e64 s[0:1], s[10:11], v[2:3]
	v_cndmask_b32_e64 v1, 0, 1, s[0:1]
	v_cmp_ne_u32_e64 s[0:1], 1, v1
	s_cbranch_vccz .LBB69_48
; %bb.1:
	v_mov_b32_e32 v27, 0
	s_and_b64 vcc, exec, s[0:1]
	v_mov_b32_e32 v26, v27
	s_cbranch_vccnz .LBB69_49
; %bb.2:
	v_and_b32_e32 v61, 0x3ff, v0
	v_bfe_u32 v63, v0, 10, 10
	v_add_u32_e32 v2, s33, v61
	v_mov_b32_e32 v3, 0
	v_lshlrev_b32_e32 v28, 3, v63
	v_cmp_gt_i64_e64 s[2:3], s[14:15], v[2:3]
	v_lshlrev_b64 v[30:31], 2, v[2:3]
	v_mov_b32_e32 v1, s11
	v_add_co_u32_e32 v2, vcc, s10, v28
	v_addc_co_u32_e32 v6, vcc, 0, v1, vcc
	v_add_co_u32_e32 v1, vcc, 7, v2
	v_addc_co_u32_e32 v4, vcc, 0, v6, vcc
	v_mul_lo_u32 v7, s15, v1
	v_mul_lo_u32 v8, s14, v4
	v_mad_u64_u32 v[4:5], s[8:9], s14, v1, 0
	s_load_dword s7, s[4:5], 0x44
	v_add3_u32 v5, v5, v8, v7
	v_lshlrev_b64 v[4:5], 2, v[4:5]
	v_mov_b32_e32 v7, s17
	v_add_co_u32_e32 v32, vcc, s16, v4
	v_addc_co_u32_e32 v1, vcc, v7, v5, vcc
	s_add_u32 s34, s4, 64
	v_mov_b32_e32 v8, s19
	v_add_co_u32_e32 v34, vcc, s18, v4
	s_addc_u32 s35, s5, 0
	s_waitcnt lgkmcnt(0)
	s_lshl_b32 s7, s7, 8
	v_addc_co_u32_e32 v29, vcc, v8, v5, vcc
	s_mul_i32 s8, s15, s7
	s_mul_hi_u32 s9, s14, s7
	v_add_co_u32_e32 v4, vcc, 6, v2
	s_add_i32 s9, s9, s8
	s_mul_i32 s8, s14, s7
	v_addc_co_u32_e32 v5, vcc, 0, v6, vcc
	s_lshl_b64 s[36:37], s[8:9], 2
	v_mul_lo_u32 v9, s15, v4
	v_mul_lo_u32 v10, s14, v5
	v_mad_u64_u32 v[4:5], s[8:9], s14, v4, 0
	v_add3_u32 v5, v5, v10, v9
	v_lshlrev_b64 v[4:5], 2, v[4:5]
	v_add_co_u32_e32 v36, vcc, s16, v4
	v_addc_co_u32_e32 v33, vcc, v7, v5, vcc
	v_add_co_u32_e32 v38, vcc, s18, v4
	v_addc_co_u32_e32 v35, vcc, v8, v5, vcc
	v_add_co_u32_e32 v4, vcc, 5, v2
	v_addc_co_u32_e32 v5, vcc, 0, v6, vcc
	v_mul_lo_u32 v9, s15, v4
	v_mul_lo_u32 v10, s14, v5
	v_mad_u64_u32 v[4:5], s[8:9], s14, v4, 0
	v_add3_u32 v5, v5, v10, v9
	v_lshlrev_b64 v[4:5], 2, v[4:5]
	v_add_co_u32_e32 v40, vcc, s16, v4
	v_addc_co_u32_e32 v37, vcc, v7, v5, vcc
	v_add_co_u32_e32 v42, vcc, s18, v4
	v_addc_co_u32_e32 v39, vcc, v8, v5, vcc
	v_add_co_u32_e32 v4, vcc, 4, v2
	v_addc_co_u32_e32 v5, vcc, 0, v6, vcc
	;; [unrolled: 11-line block ×4, first 2 shown]
	v_mul_lo_u32 v9, s15, v4
	v_mul_lo_u32 v10, s14, v5
	v_mad_u64_u32 v[4:5], s[8:9], s14, v4, 0
	v_add3_u32 v5, v5, v10, v9
	v_lshlrev_b64 v[4:5], 2, v[4:5]
	v_add_co_u32_e32 v52, vcc, s16, v4
	v_addc_co_u32_e32 v49, vcc, v7, v5, vcc
	v_add_co_u32_e32 v54, vcc, s18, v4
	v_addc_co_u32_e32 v51, vcc, v8, v5, vcc
	v_pk_mov_b32 v[4:5], s[14:15], s[14:15] op_sel:[0,1]
	v_mad_u64_u32 v[4:5], s[8:9], s14, v2, v[4:5]
	v_mul_lo_u32 v6, s14, v6
	v_mul_lo_u32 v9, s15, v2
	v_add3_u32 v5, v9, v5, v6
	v_lshlrev_b64 v[4:5], 2, v[4:5]
	v_add_co_u32_e32 v56, vcc, s16, v4
	v_addc_co_u32_e32 v53, vcc, v7, v5, vcc
	v_add_co_u32_e32 v58, vcc, s18, v4
	v_addc_co_u32_e32 v55, vcc, v8, v5, vcc
	v_mad_u64_u32 v[4:5], s[8:9], s14, v2, 0
	v_add3_u32 v5, v5, v6, v9
	v_lshlrev_b64 v[4:5], 2, v[4:5]
	v_add_co_u32_e32 v60, vcc, s16, v4
	v_mbcnt_lo_u32_b32 v2, -1, 0
	v_addc_co_u32_e32 v57, vcc, v7, v5, vcc
	v_mbcnt_hi_u32_b32 v2, -1, v2
	s_add_u32 s38, s10, 0xff
	v_add_co_u32_e32 v62, vcc, s18, v4
	v_lshlrev_b32_e32 v2, 2, v2
	s_addc_u32 s39, 0, 0
	v_addc_co_u32_e32 v59, vcc, v8, v5, vcc
	v_and_b32_e32 v64, 0x100, v2
	s_mov_b64 s[40:41], s[10:11]
	v_mov_b32_e32 v26, v3
	v_mov_b32_e32 v27, v3
	s_branch .LBB69_5
.LBB69_3:                               ;   in Loop: Header=BB69_5 Depth=1
	s_or_b64 exec, exec, s[8:9]
	s_waitcnt vmcnt(1)
	ds_bpermute_b32 v2, v64, v68
	ds_bpermute_b32 v4, v64, v68 offset:4
	s_waitcnt vmcnt(0)
	ds_bpermute_b32 v5, v64, v67
	ds_bpermute_b32 v6, v64, v67 offset:4
	ds_bpermute_b32 v9, v64, v67 offset:12
	s_waitcnt lgkmcnt(4)
	v_sub_f32_e32 v2, v10, v2
	v_mul_f32_e32 v2, v18, v2
	s_waitcnt lgkmcnt(3)
	v_sub_f32_e32 v7, v11, v4
	s_waitcnt lgkmcnt(2)
	v_mul_f32_e32 v4, v2, v5
	ds_bpermute_b32 v2, v64, v68 offset:8
	v_mul_f32_e32 v5, v19, v7
	s_waitcnt lgkmcnt(2)
	v_mul_f32_e32 v6, v5, v6
	ds_bpermute_b32 v5, v64, v67 offset:8
	ds_bpermute_b32 v7, v64, v68 offset:12
	s_waitcnt lgkmcnt(2)
	v_sub_f32_e32 v2, v12, v2
	v_mul_f32_e32 v2, v20, v2
	v_mov_b32_e32 v11, v21
	s_waitcnt lgkmcnt(1)
	v_mul_f32_e32 v8, v2, v5
	s_waitcnt lgkmcnt(0)
	v_sub_f32_e32 v2, v13, v7
	ds_bpermute_b32 v5, v64, v68 offset:16
	v_mul_f32_e32 v2, v21, v2
	v_mul_f32_e32 v10, v2, v9
	ds_bpermute_b32 v2, v64, v67 offset:16
	ds_bpermute_b32 v7, v64, v68 offset:20
	;; [unrolled: 1-line block ×3, first 2 shown]
	s_waitcnt lgkmcnt(3)
	v_sub_f32_e32 v5, v14, v5
	v_mul_f32_e32 v5, v22, v5
	s_waitcnt lgkmcnt(2)
	v_mul_f32_e32 v12, v5, v2
	s_waitcnt lgkmcnt(1)
	v_sub_f32_e32 v2, v15, v7
	v_mul_f32_e32 v2, v23, v2
	s_waitcnt lgkmcnt(0)
	v_mul_f32_e32 v14, v2, v9
	v_mov_b32_e32 v5, v18
	ds_bpermute_b32 v2, v64, v68 offset:24
	v_pk_add_f32 v[4:5], v[26:27], v[4:5]
	v_mov_b32_e32 v7, v19
	v_pk_add_f32 v[4:5], v[6:7], v[4:5]
	ds_bpermute_b32 v7, v64, v67 offset:24
	v_mov_b32_e32 v9, v20
	v_pk_add_f32 v[4:5], v[8:9], v[4:5]
	v_pk_add_f32 v[4:5], v[10:11], v[4:5]
	v_mov_b32_e32 v13, v22
	s_waitcnt lgkmcnt(1)
	v_sub_f32_e32 v8, v16, v2
	v_pk_add_f32 v[4:5], v[12:13], v[4:5]
	v_mov_b32_e32 v15, v23
	v_mul_f32_e32 v8, v24, v8
	v_pk_add_f32 v[4:5], v[14:15], v[4:5]
	s_waitcnt lgkmcnt(0)
	v_mul_f32_e32 v8, v8, v7
	v_mov_b32_e32 v9, v24
	ds_bpermute_b32 v2, v64, v67 offset:28
	ds_bpermute_b32 v6, v64, v68 offset:28
	v_pk_add_f32 v[4:5], v[8:9], v[4:5]
.LBB69_4:                               ;   in Loop: Header=BB69_5 Depth=1
	s_waitcnt lgkmcnt(0)
	v_sub_f32_e32 v6, v17, v6
	v_mul_f32_e32 v6, v25, v6
	v_mul_f32_e32 v24, v6, v2
	v_mov_b32_e32 v2, s37
	v_add_co_u32_e32 v32, vcc, s36, v32
	v_addc_co_u32_e32 v1, vcc, v1, v2, vcc
	v_add_co_u32_e32 v34, vcc, s36, v34
	v_addc_co_u32_e32 v29, vcc, v29, v2, vcc
	;; [unrolled: 2-line block ×15, first 2 shown]
	s_add_u32 s40, s40, s7
	v_add_co_u32_e32 v62, vcc, s36, v62
	v_pk_add_f32 v[26:27], v[4:5], v[24:25]
	s_addc_u32 s41, s41, 0
	v_addc_co_u32_e32 v59, vcc, v59, v2, vcc
	v_pk_mov_b32 v[4:5], s[12:13], s[12:13] op_sel:[0,1]
	s_add_u32 s38, s38, s7
	v_cmp_lt_i64_e32 vcc, s[40:41], v[4:5]
	s_addc_u32 s39, s39, 0
	s_cbranch_vccz .LBB69_49
.LBB69_5:                               ; =>This Inner Loop Header: Depth=1
	v_pk_mov_b32 v[4:5], s[12:13], s[12:13] op_sel:[0,1]
	v_cmp_ge_i64_e32 vcc, s[38:39], v[4:5]
	v_mov_b32_e32 v2, s39
	v_add_co_u32_e64 v65, s[8:9], s38, v28
	v_addc_co_u32_e64 v66, s[8:9], 0, v2, s[8:9]
	s_cbranch_vccz .LBB69_27
; %bb.6:                                ;   in Loop: Header=BB69_5 Depth=1
	s_load_dword s8, s[34:35], 0xc
	v_mov_b32_e32 v67, 0
	v_mov_b32_e32 v68, 0
	s_waitcnt lgkmcnt(0)
	s_and_b32 s8, s8, 0xffff
	v_mad_u32_u24 v2, v63, s8, v61
	v_and_b32_e32 v2, 63, v2
	v_cmp_gt_u32_e32 vcc, 8, v2
	s_and_saveexec_b64 s[8:9], vcc
	s_cbranch_execz .LBB69_10
; %bb.7:                                ;   in Loop: Header=BB69_5 Depth=1
	v_add_co_u32_e32 v2, vcc, v65, v2
	v_addc_co_u32_e32 v5, vcc, 0, v66, vcc
	v_add_co_u32_e32 v4, vcc, 0xffffff01, v2
	v_addc_co_u32_e32 v5, vcc, -1, v5, vcc
	v_cmp_gt_i64_e32 vcc, s[12:13], v[4:5]
	v_mov_b32_e32 v68, 0
	v_mov_b32_e32 v67, 0
	s_and_saveexec_b64 s[22:23], vcc
	s_cbranch_execz .LBB69_9
; %bb.8:                                ;   in Loop: Header=BB69_5 Depth=1
	v_lshlrev_b64 v[4:5], 2, v[4:5]
	v_mov_b32_e32 v2, s31
	v_add_co_u32_e32 v6, vcc, s30, v4
	v_addc_co_u32_e32 v7, vcc, v2, v5, vcc
	v_mov_b32_e32 v2, s29
	v_add_co_u32_e32 v4, vcc, s28, v4
	v_addc_co_u32_e32 v5, vcc, v2, v5, vcc
	global_load_dword v68, v[4:5], off
	global_load_dword v67, v[6:7], off
.LBB69_9:                               ;   in Loop: Header=BB69_5 Depth=1
	s_or_b64 exec, exec, s[22:23]
.LBB69_10:                              ;   in Loop: Header=BB69_5 Depth=1
	s_or_b64 exec, exec, s[8:9]
	s_mov_b32 s21, s20
	v_add_co_u32_e32 v4, vcc, 0xffffff01, v65
	s_mov_b32 s22, s20
	s_mov_b32 s23, s20
	;; [unrolled: 1-line block ×6, first 2 shown]
	v_pk_mov_b32 v[10:11], s[20:21], s[20:21] op_sel:[0,1]
	v_addc_co_u32_e32 v5, vcc, -1, v66, vcc
	v_pk_mov_b32 v[16:17], s[26:27], s[26:27] op_sel:[0,1]
	v_cmp_gt_i64_e32 vcc, s[12:13], v[4:5]
	v_pk_mov_b32 v[12:13], s[22:23], s[22:23] op_sel:[0,1]
	v_pk_mov_b32 v[14:15], s[24:25], s[24:25] op_sel:[0,1]
	;; [unrolled: 1-line block ×3, first 2 shown]
	s_and_b64 s[42:43], s[2:3], vcc
	v_pk_mov_b32 v[22:23], v[14:15], v[14:15] op_sel:[0,1]
	v_pk_mov_b32 v[20:21], v[12:13], v[12:13] op_sel:[0,1]
	;; [unrolled: 1-line block ×3, first 2 shown]
	s_and_saveexec_b64 s[8:9], s[42:43]
	s_cbranch_execz .LBB69_12
; %bb.11:                               ;   in Loop: Header=BB69_5 Depth=1
	v_add_co_u32_e32 v4, vcc, v60, v30
	v_addc_co_u32_e32 v5, vcc, v57, v31, vcc
	global_load_dword v2, v[4:5], off
	v_add_co_u32_e32 v4, vcc, v62, v30
	v_addc_co_u32_e32 v5, vcc, v59, v31, vcc
	global_load_dword v10, v[4:5], off
	v_mov_b32_e32 v8, v3
	v_mov_b32_e32 v9, v3
	;; [unrolled: 1-line block ×6, first 2 shown]
	s_waitcnt vmcnt(1)
	v_pk_mov_b32 v[24:25], v[8:9], v[8:9] op_sel:[0,1]
	v_mov_b32_e32 v11, v3
	v_mov_b32_e32 v12, v3
	;; [unrolled: 1-line block ×7, first 2 shown]
	v_pk_mov_b32 v[22:23], v[6:7], v[6:7] op_sel:[0,1]
	v_pk_mov_b32 v[20:21], v[4:5], v[4:5] op_sel:[0,1]
	;; [unrolled: 1-line block ×3, first 2 shown]
.LBB69_12:                              ;   in Loop: Header=BB69_5 Depth=1
	s_or_b64 exec, exec, s[8:9]
	v_add_co_u32_e32 v4, vcc, 0xffffff02, v65
	v_addc_co_u32_e32 v5, vcc, -1, v66, vcc
	v_cmp_gt_i64_e32 vcc, s[12:13], v[4:5]
	s_and_b64 s[22:23], s[2:3], vcc
	s_and_saveexec_b64 s[8:9], s[22:23]
	s_cbranch_execz .LBB69_14
; %bb.13:                               ;   in Loop: Header=BB69_5 Depth=1
	v_add_co_u32_e32 v4, vcc, v56, v30
	v_addc_co_u32_e32 v5, vcc, v53, v31, vcc
	global_load_dword v19, v[4:5], off
	v_add_co_u32_e32 v4, vcc, v58, v30
	v_addc_co_u32_e32 v5, vcc, v55, v31, vcc
	global_load_dword v11, v[4:5], off
.LBB69_14:                              ;   in Loop: Header=BB69_5 Depth=1
	s_or_b64 exec, exec, s[8:9]
	v_add_co_u32_e32 v4, vcc, 0xffffff03, v65
	v_addc_co_u32_e32 v5, vcc, -1, v66, vcc
	v_cmp_gt_i64_e32 vcc, s[12:13], v[4:5]
	s_and_b64 s[22:23], s[2:3], vcc
	s_and_saveexec_b64 s[8:9], s[22:23]
	s_cbranch_execz .LBB69_16
; %bb.15:                               ;   in Loop: Header=BB69_5 Depth=1
	v_add_co_u32_e32 v4, vcc, v52, v30
	v_addc_co_u32_e32 v5, vcc, v49, v31, vcc
	global_load_dword v20, v[4:5], off
	v_add_co_u32_e32 v4, vcc, v54, v30
	v_addc_co_u32_e32 v5, vcc, v51, v31, vcc
	global_load_dword v12, v[4:5], off
.LBB69_16:                              ;   in Loop: Header=BB69_5 Depth=1
	;; [unrolled: 15-line block ×7, first 2 shown]
	s_or_b64 exec, exec, s[8:9]
	s_waitcnt vmcnt(1)
	ds_bpermute_b32 v2, v64, v68
	ds_bpermute_b32 v4, v64, v68 offset:4
	s_waitcnt vmcnt(0)
	ds_bpermute_b32 v5, v64, v67
	ds_bpermute_b32 v6, v64, v67 offset:4
	ds_bpermute_b32 v9, v64, v67 offset:12
	s_waitcnt lgkmcnt(4)
	v_sub_f32_e32 v2, v10, v2
	v_mul_f32_e32 v2, v18, v2
	s_waitcnt lgkmcnt(3)
	v_sub_f32_e32 v7, v11, v4
	s_waitcnt lgkmcnt(2)
	v_mul_f32_e32 v4, v2, v5
	ds_bpermute_b32 v2, v64, v68 offset:8
	v_mul_f32_e32 v5, v19, v7
	s_waitcnt lgkmcnt(2)
	v_mul_f32_e32 v6, v5, v6
	ds_bpermute_b32 v5, v64, v67 offset:8
	ds_bpermute_b32 v7, v64, v68 offset:12
	s_waitcnt lgkmcnt(2)
	v_sub_f32_e32 v2, v12, v2
	v_mul_f32_e32 v2, v20, v2
	v_mov_b32_e32 v11, v21
	s_waitcnt lgkmcnt(1)
	v_mul_f32_e32 v8, v2, v5
	s_waitcnt lgkmcnt(0)
	v_sub_f32_e32 v2, v13, v7
	ds_bpermute_b32 v5, v64, v68 offset:16
	v_mul_f32_e32 v2, v21, v2
	v_mul_f32_e32 v10, v2, v9
	ds_bpermute_b32 v2, v64, v67 offset:16
	ds_bpermute_b32 v7, v64, v68 offset:20
	;; [unrolled: 1-line block ×3, first 2 shown]
	s_waitcnt lgkmcnt(3)
	v_sub_f32_e32 v5, v14, v5
	v_mul_f32_e32 v5, v22, v5
	s_waitcnt lgkmcnt(2)
	v_mul_f32_e32 v12, v5, v2
	s_waitcnt lgkmcnt(1)
	v_sub_f32_e32 v2, v15, v7
	v_mul_f32_e32 v2, v23, v2
	s_waitcnt lgkmcnt(0)
	v_mul_f32_e32 v14, v2, v9
	ds_bpermute_b32 v2, v64, v68 offset:24
	v_mov_b32_e32 v5, v18
	v_pk_add_f32 v[4:5], v[26:27], v[4:5]
	v_mov_b32_e32 v7, v19
	v_pk_add_f32 v[4:5], v[6:7], v[4:5]
	ds_bpermute_b32 v7, v64, v67 offset:24
	v_mov_b32_e32 v9, v20
	s_waitcnt lgkmcnt(1)
	v_sub_f32_e32 v2, v16, v2
	v_pk_add_f32 v[4:5], v[8:9], v[4:5]
	v_mul_f32_e32 v8, v24, v2
	ds_bpermute_b32 v2, v64, v67 offset:28
	ds_bpermute_b32 v6, v64, v68 offset:28
	v_pk_add_f32 v[4:5], v[10:11], v[4:5]
	v_mov_b32_e32 v13, v22
	v_pk_add_f32 v[4:5], v[12:13], v[4:5]
	v_mov_b32_e32 v15, v23
	v_pk_add_f32 v[4:5], v[14:15], v[4:5]
	s_waitcnt lgkmcnt(2)
	v_mul_f32_e32 v8, v8, v7
	v_mov_b32_e32 v9, v24
	v_pk_add_f32 v[4:5], v[8:9], v[4:5]
	s_branch .LBB69_4
.LBB69_27:                              ;   in Loop: Header=BB69_5 Depth=1
                                        ; implicit-def: $vgpr4_vgpr5
                                        ; implicit-def: $vgpr2
                                        ; implicit-def: $vgpr10_vgpr11_vgpr12_vgpr13_vgpr14_vgpr15_vgpr16_vgpr17
                                        ; implicit-def: $vgpr18_vgpr19_vgpr20_vgpr21_vgpr22_vgpr23_vgpr24_vgpr25
                                        ; implicit-def: $vgpr6
	s_cbranch_execz .LBB69_4
; %bb.28:                               ;   in Loop: Header=BB69_5 Depth=1
	s_load_dword s8, s[34:35], 0x0
	v_mov_b32_e32 v67, 0
	v_mov_b32_e32 v68, 0
	s_waitcnt lgkmcnt(0)
	s_cmp_lt_u32 s6, s8
	s_cselect_b32 s8, 12, 18
	s_add_u32 s8, s34, s8
	s_addc_u32 s9, s35, 0
	global_load_ushort v2, v3, s[8:9]
	s_waitcnt vmcnt(0)
	v_mad_u32_u24 v2, v63, v2, v61
	v_and_b32_e32 v2, 63, v2
	v_cmp_gt_u32_e32 vcc, 8, v2
	s_and_saveexec_b64 s[8:9], vcc
	s_cbranch_execz .LBB69_32
; %bb.29:                               ;   in Loop: Header=BB69_5 Depth=1
	v_add_co_u32_e32 v2, vcc, v65, v2
	v_addc_co_u32_e32 v5, vcc, 0, v66, vcc
	v_add_co_u32_e32 v4, vcc, 0xffffff01, v2
	v_addc_co_u32_e32 v5, vcc, -1, v5, vcc
	v_cmp_gt_i64_e32 vcc, s[12:13], v[4:5]
	v_mov_b32_e32 v68, 0
	v_mov_b32_e32 v67, 0
	s_and_saveexec_b64 s[22:23], vcc
	s_cbranch_execz .LBB69_31
; %bb.30:                               ;   in Loop: Header=BB69_5 Depth=1
	v_lshlrev_b64 v[4:5], 2, v[4:5]
	v_mov_b32_e32 v2, s31
	v_add_co_u32_e32 v6, vcc, s30, v4
	v_addc_co_u32_e32 v7, vcc, v2, v5, vcc
	v_mov_b32_e32 v2, s29
	v_add_co_u32_e32 v4, vcc, s28, v4
	v_addc_co_u32_e32 v5, vcc, v2, v5, vcc
	global_load_dword v68, v[4:5], off
	global_load_dword v67, v[6:7], off
.LBB69_31:                              ;   in Loop: Header=BB69_5 Depth=1
	s_or_b64 exec, exec, s[22:23]
.LBB69_32:                              ;   in Loop: Header=BB69_5 Depth=1
	s_or_b64 exec, exec, s[8:9]
	s_mov_b32 s21, s20
	s_mov_b32 s22, s20
	;; [unrolled: 1-line block ×7, first 2 shown]
	v_pk_mov_b32 v[10:11], s[20:21], s[20:21] op_sel:[0,1]
	v_pk_mov_b32 v[16:17], s[26:27], s[26:27] op_sel:[0,1]
	;; [unrolled: 1-line block ×8, first 2 shown]
	s_and_saveexec_b64 s[8:9], s[2:3]
	s_cbranch_execnz .LBB69_40
; %bb.33:                               ;   in Loop: Header=BB69_5 Depth=1
	s_or_b64 exec, exec, s[8:9]
	s_and_saveexec_b64 s[8:9], s[2:3]
	s_cbranch_execnz .LBB69_41
.LBB69_34:                              ;   in Loop: Header=BB69_5 Depth=1
	s_or_b64 exec, exec, s[8:9]
	s_and_saveexec_b64 s[8:9], s[2:3]
	s_cbranch_execnz .LBB69_42
.LBB69_35:                              ;   in Loop: Header=BB69_5 Depth=1
	s_or_b64 exec, exec, s[8:9]
	s_and_saveexec_b64 s[8:9], s[2:3]
	s_cbranch_execnz .LBB69_43
.LBB69_36:                              ;   in Loop: Header=BB69_5 Depth=1
	s_or_b64 exec, exec, s[8:9]
	s_and_saveexec_b64 s[8:9], s[2:3]
	s_cbranch_execnz .LBB69_44
.LBB69_37:                              ;   in Loop: Header=BB69_5 Depth=1
	s_or_b64 exec, exec, s[8:9]
	s_and_saveexec_b64 s[8:9], s[2:3]
	s_cbranch_execnz .LBB69_45
.LBB69_38:                              ;   in Loop: Header=BB69_5 Depth=1
	s_or_b64 exec, exec, s[8:9]
	s_and_saveexec_b64 s[8:9], s[2:3]
	s_cbranch_execnz .LBB69_46
.LBB69_39:                              ;   in Loop: Header=BB69_5 Depth=1
	s_or_b64 exec, exec, s[8:9]
	s_and_saveexec_b64 s[8:9], s[2:3]
	s_cbranch_execz .LBB69_3
	s_branch .LBB69_47
.LBB69_40:                              ;   in Loop: Header=BB69_5 Depth=1
	v_add_co_u32_e32 v4, vcc, v60, v30
	v_addc_co_u32_e32 v5, vcc, v57, v31, vcc
	global_load_dword v2, v[4:5], off
	v_add_co_u32_e32 v4, vcc, v62, v30
	v_addc_co_u32_e32 v5, vcc, v59, v31, vcc
	global_load_dword v10, v[4:5], off
	v_mov_b32_e32 v8, v3
	v_mov_b32_e32 v9, v3
	;; [unrolled: 1-line block ×6, first 2 shown]
	s_waitcnt vmcnt(1)
	v_pk_mov_b32 v[24:25], v[8:9], v[8:9] op_sel:[0,1]
	v_mov_b32_e32 v11, v3
	v_mov_b32_e32 v12, v3
	;; [unrolled: 1-line block ×7, first 2 shown]
	v_pk_mov_b32 v[22:23], v[6:7], v[6:7] op_sel:[0,1]
	v_pk_mov_b32 v[20:21], v[4:5], v[4:5] op_sel:[0,1]
	v_pk_mov_b32 v[18:19], v[2:3], v[2:3] op_sel:[0,1]
	s_or_b64 exec, exec, s[8:9]
	s_and_saveexec_b64 s[8:9], s[2:3]
	s_cbranch_execz .LBB69_34
.LBB69_41:                              ;   in Loop: Header=BB69_5 Depth=1
	v_add_co_u32_e32 v4, vcc, v56, v30
	v_addc_co_u32_e32 v5, vcc, v53, v31, vcc
	global_load_dword v19, v[4:5], off
	v_add_co_u32_e32 v4, vcc, v58, v30
	v_addc_co_u32_e32 v5, vcc, v55, v31, vcc
	global_load_dword v11, v[4:5], off
	s_or_b64 exec, exec, s[8:9]
	s_and_saveexec_b64 s[8:9], s[2:3]
	s_cbranch_execz .LBB69_35
.LBB69_42:                              ;   in Loop: Header=BB69_5 Depth=1
	v_add_co_u32_e32 v4, vcc, v52, v30
	v_addc_co_u32_e32 v5, vcc, v49, v31, vcc
	global_load_dword v20, v[4:5], off
	v_add_co_u32_e32 v4, vcc, v54, v30
	v_addc_co_u32_e32 v5, vcc, v51, v31, vcc
	global_load_dword v12, v[4:5], off
	s_or_b64 exec, exec, s[8:9]
	s_and_saveexec_b64 s[8:9], s[2:3]
	s_cbranch_execz .LBB69_36
.LBB69_43:                              ;   in Loop: Header=BB69_5 Depth=1
	v_add_co_u32_e32 v4, vcc, v48, v30
	v_addc_co_u32_e32 v5, vcc, v45, v31, vcc
	global_load_dword v21, v[4:5], off
	v_add_co_u32_e32 v4, vcc, v50, v30
	v_addc_co_u32_e32 v5, vcc, v47, v31, vcc
	global_load_dword v13, v[4:5], off
	s_or_b64 exec, exec, s[8:9]
	s_and_saveexec_b64 s[8:9], s[2:3]
	s_cbranch_execz .LBB69_37
.LBB69_44:                              ;   in Loop: Header=BB69_5 Depth=1
	v_add_co_u32_e32 v4, vcc, v44, v30
	v_addc_co_u32_e32 v5, vcc, v41, v31, vcc
	global_load_dword v22, v[4:5], off
	v_add_co_u32_e32 v4, vcc, v46, v30
	v_addc_co_u32_e32 v5, vcc, v43, v31, vcc
	global_load_dword v14, v[4:5], off
	s_or_b64 exec, exec, s[8:9]
	s_and_saveexec_b64 s[8:9], s[2:3]
	s_cbranch_execz .LBB69_38
.LBB69_45:                              ;   in Loop: Header=BB69_5 Depth=1
	v_add_co_u32_e32 v4, vcc, v40, v30
	v_addc_co_u32_e32 v5, vcc, v37, v31, vcc
	global_load_dword v23, v[4:5], off
	v_add_co_u32_e32 v4, vcc, v42, v30
	v_addc_co_u32_e32 v5, vcc, v39, v31, vcc
	global_load_dword v15, v[4:5], off
	s_or_b64 exec, exec, s[8:9]
	s_and_saveexec_b64 s[8:9], s[2:3]
	s_cbranch_execz .LBB69_39
.LBB69_46:                              ;   in Loop: Header=BB69_5 Depth=1
	v_add_co_u32_e32 v4, vcc, v36, v30
	v_addc_co_u32_e32 v5, vcc, v33, v31, vcc
	global_load_dword v24, v[4:5], off
	v_add_co_u32_e32 v4, vcc, v38, v30
	v_addc_co_u32_e32 v5, vcc, v35, v31, vcc
	global_load_dword v16, v[4:5], off
	s_or_b64 exec, exec, s[8:9]
	s_and_saveexec_b64 s[8:9], s[2:3]
	s_cbranch_execz .LBB69_3
.LBB69_47:                              ;   in Loop: Header=BB69_5 Depth=1
	v_add_co_u32_e32 v4, vcc, v32, v30
	v_addc_co_u32_e32 v5, vcc, v1, v31, vcc
	global_load_dword v25, v[4:5], off
	v_add_co_u32_e32 v4, vcc, v34, v30
	v_addc_co_u32_e32 v5, vcc, v29, v31, vcc
	global_load_dword v17, v[4:5], off
	s_branch .LBB69_3
.LBB69_48:
                                        ; implicit-def: $vgpr27
	s_branch .LBB69_50
.LBB69_49:
	s_cbranch_execnz .LBB69_81
.LBB69_50:
	v_mov_b32_e32 v27, 0
	s_mov_b32 s20, 0
	s_and_b64 vcc, exec, s[0:1]
	v_mov_b32_e32 v26, v27
	s_cbranch_vccnz .LBB69_81
; %bb.51:
	s_load_dword s0, s[4:5], 0x44
	s_add_u32 s2, s4, 64
	s_addc_u32 s3, s5, 0
	v_bfe_u32 v81, v0, 10, 10
	v_lshlrev_b32_e32 v1, 5, v81
	s_waitcnt lgkmcnt(0)
	s_lshl_b32 s7, s0, 8
	s_add_u32 s8, s10, 0xff
	s_addc_u32 s9, 0, 0
	s_lshl_b64 s[0:1], s[10:11], 2
	v_mov_b32_e32 v2, s1
	v_add_co_u32_e32 v1, vcc, s0, v1
	v_addc_co_u32_e32 v4, vcc, 0, v2, vcc
	v_add_co_u32_e32 v6, vcc, 4, v1
	v_addc_co_u32_e32 v5, vcc, 0, v4, vcc
	v_add_co_u32_e32 v9, vcc, 8, v1
	v_mul_lo_u32 v7, s14, v5
	v_addc_co_u32_e32 v5, vcc, 0, v4, vcc
	v_add_co_u32_e32 v12, vcc, 12, v1
	v_mul_lo_u32 v10, s14, v5
	;; [unrolled: 3-line block ×5, first 2 shown]
	v_addc_co_u32_e32 v5, vcc, 0, v4, vcc
	v_add_co_u32_e32 v52, vcc, 28, v1
	v_lshlrev_b32_e32 v20, 3, v81
	v_addc_co_u32_e32 v1, vcc, 0, v4, vcc
	v_mul_lo_u32 v54, s14, v1
	v_mov_b32_e32 v1, s11
	v_add_co_u32_e32 v56, vcc, s10, v20
	v_pk_mov_b32 v[2:3], s[16:17], s[16:17] op_sel:[0,1]
	v_addc_co_u32_e32 v57, vcc, 0, v1, vcc
	v_mad_u64_u32 v[22:23], s[0:1], s14, v6, v[2:3]
	v_mad_u64_u32 v[24:25], s[0:1], s14, v9, v[2:3]
	;; [unrolled: 1-line block ×7, first 2 shown]
	v_mul_lo_u32 v58, s15, v56
	v_mul_lo_u32 v59, s14, v57
	v_mad_u64_u32 v[2:3], s[0:1], s14, v56, 0
	v_add3_u32 v3, v3, v59, v58
	v_lshlrev_b64 v[2:3], 2, v[2:3]
	v_mul_lo_u32 v27, s14, v5
	v_mov_b32_e32 v77, s17
	v_add_co_u32_e32 v38, vcc, s16, v2
	v_pk_mov_b32 v[4:5], s[18:19], s[18:19] op_sel:[0,1]
	v_mul_lo_u32 v17, s15, v15
	v_mul_lo_u32 v55, s15, v52
	v_addc_co_u32_e32 v1, vcc, v77, v3, vcc
	v_mad_u64_u32 v[46:47], s[0:1], s14, v15, v[4:5]
	v_mad_u64_u32 v[52:53], s[0:1], s14, v52, v[4:5]
	v_add3_u32 v31, v17, v31, v16
	v_mul_lo_u32 v21, s15, v18
	v_add3_u32 v37, v55, v37, v54
	v_add3_u32 v47, v17, v47, v16
	v_mad_u64_u32 v[48:49], s[0:1], s14, v18, v[4:5]
	v_add3_u32 v53, v55, v53, v54
	v_mov_b32_e32 v16, s19
	v_add_co_u32_e32 v54, vcc, s18, v2
	v_add3_u32 v33, v21, v33, v19
	v_add3_u32 v49, v21, v49, v19
	v_addc_co_u32_e32 v21, vcc, v16, v3, vcc
	v_add_co_u32_e32 v2, vcc, 7, v56
	v_addc_co_u32_e32 v3, vcc, 0, v57, vcc
	v_mad_u64_u32 v[40:41], s[0:1], s14, v6, v[4:5]
	v_mad_u64_u32 v[42:43], s[0:1], s14, v9, v[4:5]
	;; [unrolled: 1-line block ×4, first 2 shown]
	v_mul_lo_u32 v4, s15, v2
	v_mul_lo_u32 v5, s14, v3
	v_mad_u64_u32 v[2:3], s[0:1], s14, v2, 0
	v_add3_u32 v3, v3, v5, v4
	v_add_co_u32_e32 v4, vcc, 6, v56
	v_mul_lo_u32 v8, s15, v6
	v_addc_co_u32_e32 v5, vcc, 0, v57, vcc
	v_add3_u32 v23, v8, v23, v7
	v_add3_u32 v41, v8, v41, v7
	v_mul_lo_u32 v6, s15, v4
	v_mul_lo_u32 v7, s14, v5
	v_mad_u64_u32 v[4:5], s[0:1], s14, v4, 0
	v_add3_u32 v5, v5, v7, v6
	v_add_co_u32_e32 v6, vcc, 5, v56
	v_addc_co_u32_e32 v7, vcc, 0, v57, vcc
	v_mul_lo_u32 v11, s15, v9
	v_mul_lo_u32 v8, s15, v6
	;; [unrolled: 1-line block ×3, first 2 shown]
	v_mad_u64_u32 v[6:7], s[0:1], s14, v6, 0
	v_add3_u32 v7, v7, v9, v8
	v_add_co_u32_e32 v8, vcc, 4, v56
	v_addc_co_u32_e32 v9, vcc, 0, v57, vcc
	v_add3_u32 v25, v11, v25, v10
	v_add3_u32 v43, v11, v43, v10
	v_mul_lo_u32 v10, s15, v8
	v_mul_lo_u32 v11, s14, v9
	v_mad_u64_u32 v[8:9], s[0:1], s14, v8, 0
	v_add3_u32 v9, v9, v11, v10
	v_add_co_u32_e32 v10, vcc, 3, v56
	v_mul_lo_u32 v14, s15, v12
	v_addc_co_u32_e32 v11, vcc, 0, v57, vcc
	v_add3_u32 v29, v14, v29, v13
	v_add3_u32 v45, v14, v45, v13
	v_mul_lo_u32 v12, s15, v10
	v_mul_lo_u32 v13, s14, v11
	v_mad_u64_u32 v[10:11], s[0:1], s14, v10, 0
	v_add3_u32 v11, v11, v13, v12
	v_add_co_u32_e32 v12, vcc, 2, v56
	v_addc_co_u32_e32 v13, vcc, 0, v57, vcc
	v_mul_lo_u32 v14, s15, v12
	v_mul_lo_u32 v15, s14, v13
	v_mad_u64_u32 v[12:13], s[0:1], s14, v12, 0
	v_lshlrev_b64 v[2:3], 2, v[2:3]
	v_add3_u32 v13, v13, v15, v14
	v_pk_mov_b32 v[14:15], s[14:15], s[14:15] op_sel:[0,1]
	v_mul_lo_u32 v39, s15, v26
	v_mad_u64_u32 v[14:15], s[0:1], s14, v56, v[14:15]
	v_add_co_u32_e32 v56, vcc, s16, v2
	v_add3_u32 v35, v39, v35, v27
	v_add3_u32 v51, v39, v51, v27
	v_addc_co_u32_e32 v39, vcc, v77, v3, vcc
	v_add3_u32 v15, v58, v15, v59
	v_add_co_u32_e32 v58, vcc, s18, v2
	v_addc_co_u32_e32 v55, vcc, v16, v3, vcc
	v_lshlrev_b64 v[2:3], 2, v[4:5]
	v_add_co_u32_e32 v60, vcc, s16, v2
	v_addc_co_u32_e32 v57, vcc, v77, v3, vcc
	v_add_co_u32_e32 v62, vcc, s18, v2
	v_addc_co_u32_e32 v59, vcc, v16, v3, vcc
	v_lshlrev_b64 v[2:3], 2, v[6:7]
	v_add_co_u32_e32 v64, vcc, s16, v2
	v_addc_co_u32_e32 v61, vcc, v77, v3, vcc
	;; [unrolled: 5-line block ×6, first 2 shown]
	v_mbcnt_lo_u32_b32 v4, -1, 0
	v_add_co_u32_e32 v82, vcc, s18, v2
	v_and_b32_e32 v83, 0x3ff, v0
	s_mul_i32 s0, s15, s7
	s_mul_hi_u32 s1, s14, s7
	v_mbcnt_hi_u32_b32 v4, -1, v4
	v_addc_co_u32_e32 v79, vcc, v16, v3, vcc
	v_add_u32_e32 v2, s33, v83
	v_mov_b32_e32 v3, 0
	s_add_i32 s1, s1, s0
	s_mul_i32 s0, s14, s7
	v_lshlrev_b32_e32 v4, 2, v4
	s_lshl_b64 s[16:17], s[0:1], 2
	v_and_b32_e32 v86, 0x100, v4
	v_mov_b32_e32 v26, v3
	v_mov_b32_e32 v27, v3
	v_lshlrev_b64 v[84:85], 2, v[2:3]
	s_branch .LBB69_55
.LBB69_52:                              ;   in Loop: Header=BB69_55 Depth=1
	s_or_b64 exec, exec, s[18:19]
.LBB69_53:                              ;   in Loop: Header=BB69_55 Depth=1
	s_or_b64 exec, exec, s[0:1]
	v_add_co_u32_e32 v4, vcc, v38, v84
	v_addc_co_u32_e32 v5, vcc, v1, v85, vcc
	v_add_co_u32_e32 v8, vcc, v54, v84
	v_addc_co_u32_e32 v9, vcc, v21, v85, vcc
	global_load_dword v5, v[4:5], off
	s_waitcnt vmcnt(2)
	ds_bpermute_b32 v90, v86, v6 offset:4
	global_load_dword v4, v[8:9], off
	v_add_co_u32_e32 v8, vcc, v22, v84
	v_addc_co_u32_e32 v9, vcc, v23, v85, vcc
	v_add_co_u32_e32 v10, vcc, v40, v84
	v_addc_co_u32_e32 v11, vcc, v41, v85, vcc
	global_load_dword v9, v[8:9], off
	s_nop 0
	global_load_dword v8, v[10:11], off
	v_add_co_u32_e32 v10, vcc, v24, v84
	v_addc_co_u32_e32 v11, vcc, v25, v85, vcc
	global_load_dword v13, v[10:11], off
	v_add_co_u32_e32 v10, vcc, v42, v84
	v_addc_co_u32_e32 v11, vcc, v43, v85, vcc
	;; [unrolled: 3-line block ×11, first 2 shown]
	v_add_co_u32_e32 v88, vcc, v52, v84
	v_addc_co_u32_e32 v89, vcc, v53, v85, vcc
	global_load_dword v88, v[88:89], off
	s_nop 0
	global_load_dword v11, v[10:11], off
	ds_bpermute_b32 v10, v86, v6
	s_waitcnt vmcnt(16)
	ds_bpermute_b32 v89, v86, v2
	s_waitcnt vmcnt(14) lgkmcnt(1)
	v_sub_f32_e32 v4, v4, v10
	ds_bpermute_b32 v10, v86, v2 offset:4
	v_mul_f32_e32 v4, v5, v4
	s_waitcnt lgkmcnt(1)
	v_mul_f32_e32 v4, v4, v89
	ds_bpermute_b32 v89, v86, v6 offset:8
	v_pk_add_f32 v[4:5], v[26:27], v[4:5]
	s_waitcnt vmcnt(12)
	v_sub_f32_e32 v8, v8, v90
	v_mul_f32_e32 v8, v9, v8
	s_waitcnt lgkmcnt(1)
	v_mul_f32_e32 v8, v8, v10
	ds_bpermute_b32 v10, v86, v2 offset:8
	ds_bpermute_b32 v90, v86, v6 offset:12
	v_pk_add_f32 v[4:5], v[4:5], v[8:9]
	ds_bpermute_b32 v8, v86, v6 offset:24
	ds_bpermute_b32 v9, v86, v2 offset:24
	s_waitcnt vmcnt(10) lgkmcnt(4)
	v_sub_f32_e32 v12, v12, v89
	ds_bpermute_b32 v89, v86, v2 offset:12
	v_mul_f32_e32 v12, v13, v12
	s_waitcnt lgkmcnt(4)
	v_mul_f32_e32 v12, v12, v10
	v_pk_add_f32 v[4:5], v[4:5], v[12:13]
	s_waitcnt vmcnt(8) lgkmcnt(3)
	v_sub_f32_e32 v10, v14, v90
	ds_bpermute_b32 v90, v86, v6 offset:16
	v_mul_f32_e32 v10, v15, v10
	s_waitcnt lgkmcnt(1)
	v_mul_f32_e32 v14, v10, v89
	ds_bpermute_b32 v10, v86, v2 offset:16
	ds_bpermute_b32 v89, v86, v6 offset:20
	v_pk_add_f32 v[4:5], v[4:5], v[14:15]
	s_waitcnt vmcnt(6) lgkmcnt(2)
	v_sub_f32_e32 v16, v16, v90
	ds_bpermute_b32 v90, v86, v2 offset:20
	v_mul_f32_e32 v16, v17, v16
	s_waitcnt lgkmcnt(2)
	v_mul_f32_e32 v16, v16, v10
	ds_bpermute_b32 v2, v86, v2 offset:28
	v_pk_add_f32 v[4:5], v[4:5], v[16:17]
	s_waitcnt vmcnt(4) lgkmcnt(2)
	v_sub_f32_e32 v10, v18, v89
	v_mul_f32_e32 v10, v19, v10
	s_waitcnt lgkmcnt(1)
	v_mul_f32_e32 v18, v10, v90
	ds_bpermute_b32 v10, v86, v6 offset:28
	v_pk_add_f32 v[4:5], v[4:5], v[18:19]
	s_waitcnt vmcnt(2)
	v_sub_f32_e32 v8, v87, v8
	v_mul_f32_e32 v6, v7, v8
	v_mul_f32_e32 v6, v6, v9
	v_pk_add_f32 v[4:5], v[4:5], v[6:7]
	s_waitcnt vmcnt(1) lgkmcnt(0)
	v_sub_f32_e32 v6, v88, v10
	s_waitcnt vmcnt(0)
	v_mul_f32_e32 v6, v11, v6
	v_mul_f32_e32 v10, v6, v2
.LBB69_54:                              ;   in Loop: Header=BB69_55 Depth=1
	v_mov_b32_e32 v2, s17
	v_add_co_u32_e32 v22, vcc, s16, v22
	v_addc_co_u32_e32 v23, vcc, v23, v2, vcc
	v_add_co_u32_e32 v24, vcc, s16, v24
	v_addc_co_u32_e32 v25, vcc, v25, v2, vcc
	;; [unrolled: 2-line block ×29, first 2 shown]
	s_add_u32 s10, s10, s7
	v_add_co_u32_e32 v82, vcc, s16, v82
	v_pk_add_f32 v[26:27], v[4:5], v[10:11]
	s_addc_u32 s11, s11, 0
	v_addc_co_u32_e32 v79, vcc, v79, v2, vcc
	v_pk_mov_b32 v[4:5], s[12:13], s[12:13] op_sel:[0,1]
	s_add_u32 s8, s8, s7
	v_cmp_ge_i64_e32 vcc, s[10:11], v[4:5]
	s_addc_u32 s9, s9, 0
	s_cbranch_vccnz .LBB69_81
.LBB69_55:                              ; =>This Inner Loop Header: Depth=1
	v_pk_mov_b32 v[4:5], s[12:13], s[12:13] op_sel:[0,1]
	v_cmp_ge_i64_e32 vcc, s[8:9], v[4:5]
	v_mov_b32_e32 v2, s9
	v_add_co_u32_e64 v87, s[0:1], s8, v20
	v_addc_co_u32_e64 v88, s[0:1], 0, v2, s[0:1]
	s_cbranch_vccz .LBB69_77
; %bb.56:                               ;   in Loop: Header=BB69_55 Depth=1
	s_load_dword s0, s[2:3], 0xc
	v_mov_b32_e32 v89, 0
	v_mov_b32_e32 v90, 0
	s_waitcnt lgkmcnt(0)
	s_and_b32 s0, s0, 0xffff
	v_mad_u32_u24 v2, v81, s0, v83
	v_and_b32_e32 v2, 63, v2
	v_cmp_gt_u32_e32 vcc, 8, v2
	s_and_saveexec_b64 s[0:1], vcc
	s_cbranch_execz .LBB69_60
; %bb.57:                               ;   in Loop: Header=BB69_55 Depth=1
	v_add_co_u32_e32 v2, vcc, v87, v2
	v_addc_co_u32_e32 v5, vcc, 0, v88, vcc
	v_add_co_u32_e32 v4, vcc, 0xffffff01, v2
	v_addc_co_u32_e32 v5, vcc, -1, v5, vcc
	v_cmp_gt_i64_e32 vcc, s[12:13], v[4:5]
	v_mov_b32_e32 v90, 0
	v_mov_b32_e32 v89, 0
	s_and_saveexec_b64 s[18:19], vcc
	s_cbranch_execz .LBB69_59
; %bb.58:                               ;   in Loop: Header=BB69_55 Depth=1
	v_lshlrev_b64 v[4:5], 2, v[4:5]
	v_mov_b32_e32 v2, s31
	v_add_co_u32_e32 v6, vcc, s30, v4
	v_addc_co_u32_e32 v7, vcc, v2, v5, vcc
	v_mov_b32_e32 v2, s29
	v_add_co_u32_e32 v4, vcc, s28, v4
	v_addc_co_u32_e32 v5, vcc, v2, v5, vcc
	global_load_dword v90, v[4:5], off
	global_load_dword v89, v[6:7], off
.LBB69_59:                              ;   in Loop: Header=BB69_55 Depth=1
	s_or_b64 exec, exec, s[18:19]
.LBB69_60:                              ;   in Loop: Header=BB69_55 Depth=1
	s_or_b64 exec, exec, s[0:1]
	v_add_co_u32_e32 v4, vcc, 0xffffff01, v87
	s_mov_b32 s21, s20
	v_addc_co_u32_e32 v5, vcc, -1, v88, vcc
	s_mov_b32 s22, s20
	s_mov_b32 s23, s20
	;; [unrolled: 1-line block ×6, first 2 shown]
	v_pk_mov_b32 v[12:13], s[20:21], s[20:21] op_sel:[0,1]
	v_cmp_gt_i64_e32 vcc, s[12:13], v[4:5]
	v_pk_mov_b32 v[14:15], s[22:23], s[22:23] op_sel:[0,1]
	v_pk_mov_b32 v[16:17], s[24:25], s[24:25] op_sel:[0,1]
	;; [unrolled: 1-line block ×7, first 2 shown]
	s_and_saveexec_b64 s[0:1], vcc
	s_cbranch_execz .LBB69_62
; %bb.61:                               ;   in Loop: Header=BB69_55 Depth=1
	v_add_co_u32_e32 v4, vcc, v38, v84
	v_addc_co_u32_e32 v5, vcc, v1, v85, vcc
	global_load_dword v2, v[4:5], off
	v_add_co_u32_e32 v4, vcc, v54, v84
	v_addc_co_u32_e32 v5, vcc, v21, v85, vcc
	global_load_dword v12, v[4:5], off
	v_mov_b32_e32 v4, v3
	v_mov_b32_e32 v5, v3
	v_mov_b32_e32 v6, v3
	v_mov_b32_e32 v7, v3
	v_mov_b32_e32 v8, v3
	v_mov_b32_e32 v9, v3
	s_waitcnt vmcnt(1)
	v_pk_mov_b32 v[10:11], v[8:9], v[8:9] op_sel:[0,1]
	v_mov_b32_e32 v13, v3
	v_mov_b32_e32 v14, v3
	;; [unrolled: 1-line block ×7, first 2 shown]
	v_pk_mov_b32 v[8:9], v[6:7], v[6:7] op_sel:[0,1]
	v_pk_mov_b32 v[6:7], v[4:5], v[4:5] op_sel:[0,1]
	;; [unrolled: 1-line block ×3, first 2 shown]
.LBB69_62:                              ;   in Loop: Header=BB69_55 Depth=1
	s_or_b64 exec, exec, s[0:1]
	v_add_co_u32_e32 v92, vcc, 0xffffff02, v87
	v_addc_co_u32_e32 v93, vcc, -1, v88, vcc
	v_cmp_gt_i64_e32 vcc, s[12:13], v[92:93]
	s_and_saveexec_b64 s[0:1], vcc
	s_cbranch_execz .LBB69_64
; %bb.63:                               ;   in Loop: Header=BB69_55 Depth=1
	v_add_co_u32_e32 v92, vcc, v80, v84
	v_addc_co_u32_e32 v93, vcc, v77, v85, vcc
	global_load_dword v5, v[92:93], off
	v_add_co_u32_e32 v92, vcc, v82, v84
	v_addc_co_u32_e32 v93, vcc, v79, v85, vcc
	global_load_dword v13, v[92:93], off
.LBB69_64:                              ;   in Loop: Header=BB69_55 Depth=1
	s_or_b64 exec, exec, s[0:1]
	v_add_co_u32_e32 v92, vcc, 0xffffff03, v87
	v_addc_co_u32_e32 v93, vcc, -1, v88, vcc
	v_cmp_gt_i64_e32 vcc, s[12:13], v[92:93]
	s_and_saveexec_b64 s[0:1], vcc
	s_cbranch_execz .LBB69_66
; %bb.65:                               ;   in Loop: Header=BB69_55 Depth=1
	v_add_co_u32_e32 v92, vcc, v76, v84
	v_addc_co_u32_e32 v93, vcc, v73, v85, vcc
	global_load_dword v6, v[92:93], off
	v_add_co_u32_e32 v92, vcc, v78, v84
	v_addc_co_u32_e32 v93, vcc, v75, v85, vcc
	global_load_dword v14, v[92:93], off
.LBB69_66:                              ;   in Loop: Header=BB69_55 Depth=1
	;; [unrolled: 14-line block ×7, first 2 shown]
	s_or_b64 exec, exec, s[0:1]
	s_waitcnt vmcnt(1)
	ds_bpermute_b32 v2, v86, v90
	ds_bpermute_b32 v91, v86, v90 offset:4
	s_waitcnt vmcnt(0)
	ds_bpermute_b32 v92, v86, v89
	ds_bpermute_b32 v93, v86, v89 offset:4
	v_mov_b32_e32 v95, v7
	s_waitcnt lgkmcnt(3)
	v_sub_f32_e32 v2, v12, v2
	v_mul_f32_e32 v2, v4, v2
	s_waitcnt lgkmcnt(2)
	v_sub_f32_e32 v13, v13, v91
	s_waitcnt lgkmcnt(1)
	v_mul_f32_e32 v12, v2, v92
	ds_bpermute_b32 v2, v86, v90 offset:8
	v_mul_f32_e32 v13, v5, v13
	s_waitcnt lgkmcnt(1)
	v_mul_f32_e32 v92, v13, v93
	ds_bpermute_b32 v13, v86, v89 offset:8
	ds_bpermute_b32 v91, v86, v90 offset:12
	;; [unrolled: 1-line block ×3, first 2 shown]
	s_waitcnt lgkmcnt(3)
	v_sub_f32_e32 v2, v14, v2
	v_mul_f32_e32 v2, v6, v2
	s_waitcnt lgkmcnt(2)
	v_mul_f32_e32 v14, v2, v13
	s_waitcnt lgkmcnt(1)
	v_sub_f32_e32 v2, v15, v91
	ds_bpermute_b32 v13, v86, v90 offset:16
	v_mul_f32_e32 v2, v7, v2
	s_waitcnt lgkmcnt(1)
	v_mul_f32_e32 v94, v2, v93
	ds_bpermute_b32 v2, v86, v89 offset:16
	ds_bpermute_b32 v15, v86, v90 offset:20
	;; [unrolled: 1-line block ×3, first 2 shown]
	s_waitcnt lgkmcnt(3)
	v_sub_f32_e32 v13, v16, v13
	v_mul_f32_e32 v13, v8, v13
	s_waitcnt lgkmcnt(2)
	v_mul_f32_e32 v16, v13, v2
	s_waitcnt lgkmcnt(1)
	v_sub_f32_e32 v2, v17, v15
	v_mul_f32_e32 v2, v9, v2
	s_waitcnt lgkmcnt(0)
	v_mul_f32_e32 v96, v2, v91
	ds_bpermute_b32 v2, v86, v90 offset:24
	v_mov_b32_e32 v15, v6
	ds_bpermute_b32 v6, v86, v89 offset:24
	v_mov_b32_e32 v13, v4
	v_pk_add_f32 v[12:13], v[26:27], v[12:13]
	v_mov_b32_e32 v93, v5
	v_pk_add_f32 v[4:5], v[92:93], v[12:13]
	v_mov_b32_e32 v17, v8
	s_waitcnt lgkmcnt(1)
	v_sub_f32_e32 v2, v18, v2
	ds_bpermute_b32 v8, v86, v90 offset:28
	v_pk_add_f32 v[4:5], v[14:15], v[4:5]
	v_mul_f32_e32 v2, v10, v2
	v_pk_add_f32 v[4:5], v[94:95], v[4:5]
	s_waitcnt lgkmcnt(1)
	v_mul_f32_e32 v6, v2, v6
	ds_bpermute_b32 v2, v86, v89 offset:28
	v_pk_add_f32 v[4:5], v[16:17], v[4:5]
	v_mov_b32_e32 v97, v9
	v_pk_add_f32 v[4:5], v[96:97], v[4:5]
	v_mov_b32_e32 v7, v10
	v_pk_add_f32 v[4:5], v[6:7], v[4:5]
	s_waitcnt lgkmcnt(1)
	v_sub_f32_e32 v6, v19, v8
	v_mul_f32_e32 v6, v11, v6
	s_waitcnt lgkmcnt(0)
	v_mul_f32_e32 v10, v6, v2
	s_branch .LBB69_54
.LBB69_77:                              ;   in Loop: Header=BB69_55 Depth=1
                                        ; implicit-def: $vgpr4_vgpr5
                                        ; implicit-def: $vgpr10_vgpr11
	s_cbranch_execz .LBB69_54
; %bb.78:                               ;   in Loop: Header=BB69_55 Depth=1
	s_load_dword s0, s[2:3], 0x0
	v_mov_b32_e32 v2, 0
	v_mov_b32_e32 v6, 0
	s_waitcnt lgkmcnt(0)
	s_cmp_lt_u32 s6, s0
	s_cselect_b32 s0, 12, 18
	s_add_u32 s0, s2, s0
	s_addc_u32 s1, s3, 0
	global_load_ushort v4, v3, s[0:1]
	s_waitcnt vmcnt(0)
	v_mad_u32_u24 v4, v81, v4, v83
	v_and_b32_e32 v4, 63, v4
	v_cmp_gt_u32_e32 vcc, 8, v4
	s_and_saveexec_b64 s[0:1], vcc
	s_cbranch_execz .LBB69_53
; %bb.79:                               ;   in Loop: Header=BB69_55 Depth=1
	v_add_co_u32_e32 v2, vcc, v87, v4
	v_addc_co_u32_e32 v5, vcc, 0, v88, vcc
	v_add_co_u32_e32 v4, vcc, 0xffffff01, v2
	v_addc_co_u32_e32 v5, vcc, -1, v5, vcc
	v_cmp_gt_i64_e32 vcc, s[12:13], v[4:5]
	v_mov_b32_e32 v6, 0
	v_mov_b32_e32 v2, 0
	s_and_saveexec_b64 s[18:19], vcc
	s_cbranch_execz .LBB69_52
; %bb.80:                               ;   in Loop: Header=BB69_55 Depth=1
	v_lshlrev_b64 v[4:5], 2, v[4:5]
	v_mov_b32_e32 v2, s31
	v_add_co_u32_e32 v8, vcc, s30, v4
	v_addc_co_u32_e32 v9, vcc, v2, v5, vcc
	v_mov_b32_e32 v2, s29
	v_add_co_u32_e32 v4, vcc, s28, v4
	v_addc_co_u32_e32 v5, vcc, v2, v5, vcc
	global_load_dword v6, v[4:5], off
	global_load_dword v2, v[8:9], off
	s_branch .LBB69_52
.LBB69_81:
	v_and_b32_e32 v2, 0x3ff, v0
	v_bfe_u32 v0, v0, 10, 10
	v_mad_u32_u24 v1, v0, 33, v2
	v_lshl_add_u32 v3, v1, 2, 0
	v_sub_u32_e32 v1, v1, v0
	s_movk_i32 s0, 0x800
	s_mov_b32 s7, 0
	v_cmp_gt_u32_e32 vcc, s0, v1
	ds_write_b32 v3, v26
	ds_write_b32 v3, v27 offset:4224
	s_waitcnt lgkmcnt(0)
	s_barrier
	s_and_saveexec_b64 s[0:1], vcc
	s_cbranch_execz .LBB69_91
; %bb.82:
	v_mbcnt_lo_u32_b32 v3, -1, 0
	v_mbcnt_hi_u32_b32 v3, -1, v3
	v_and_b32_e32 v4, 64, v3
	v_add_u32_e32 v4, 64, v4
	v_cmp_eq_u32_e64 s[2:3], 0, v2
	v_xor_b32_e32 v2, 16, v3
	v_cmp_lt_i32_e32 vcc, v2, v4
	v_cndmask_b32_e32 v2, v3, v2, vcc
	v_lshlrev_b32_e32 v8, 2, v2
	v_xor_b32_e32 v2, 8, v3
	v_cmp_lt_i32_e32 vcc, v2, v4
	v_cndmask_b32_e32 v2, v3, v2, vcc
	v_lshlrev_b32_e32 v9, 2, v2
	v_xor_b32_e32 v2, 4, v3
	v_cmp_lt_i32_e32 vcc, v2, v4
	s_load_dwordx4 s[8:11], s[4:5], 0x30
	v_cndmask_b32_e32 v2, v3, v2, vcc
	v_lshlrev_b32_e32 v10, 2, v2
	v_xor_b32_e32 v2, 2, v3
	v_cmp_lt_i32_e32 vcc, v2, v4
	v_cndmask_b32_e32 v2, v3, v2, vcc
	s_lshl_b64 s[4:5], s[6:7], 5
	v_lshlrev_b32_e32 v11, 2, v2
	v_xor_b32_e32 v2, 1, v3
	s_waitcnt lgkmcnt(0)
	s_cmp_lg_u64 s[8:9], 0
	v_cmp_lt_i32_e32 vcc, v2, v4
	v_lshrrev_b32_e32 v0, 6, v1
	s_cselect_b64 s[16:17], -1, 0
	s_cmp_lg_u64 s[10:11], 0
	v_cndmask_b32_e32 v2, v3, v2, vcc
	s_cselect_b64 s[18:19], -1, 0
	v_lshlrev_b32_e32 v12, 2, v2
	s_lshl_b64 s[6:7], s[6:7], 7
	v_lshlrev_b32_e32 v2, 2, v0
	v_mov_b32_e32 v3, s7
	v_add_co_u32_e32 v4, vcc, s6, v2
	v_addc_co_u32_e32 v5, vcc, 0, v3, vcc
	v_mov_b32_e32 v3, s11
	v_add_co_u32_e32 v2, vcc, s10, v4
	v_and_b32_e32 v6, 63, v1
	v_addc_co_u32_e32 v3, vcc, v3, v5, vcc
	v_cmp_gt_u32_e64 s[0:1], 32, v6
	v_mov_b32_e32 v7, s9
	v_add_co_u32_e32 v4, vcc, s8, v4
	v_mad_u32_u24 v6, v6, 33, v0
	v_mov_b32_e32 v1, 0
	s_mov_b64 s[12:13], 0
	v_addc_co_u32_e32 v5, vcc, v7, v5, vcc
	v_lshl_add_u32 v13, v6, 2, 0
	v_mov_b32_e32 v14, s5
                                        ; implicit-def: $vgpr6
	s_branch .LBB69_84
.LBB69_83:                              ;   in Loop: Header=BB69_84 Depth=1
	s_or_b64 exec, exec, s[6:7]
	v_add_co_u32_e32 v0, vcc, 16, v0
	v_addc_co_u32_e32 v1, vcc, 0, v1, vcc
	v_add_co_u32_e32 v2, vcc, 64, v2
	v_addc_co_u32_e32 v3, vcc, 0, v3, vcc
	v_add_co_u32_e32 v4, vcc, 64, v4
	v_add_u32_e32 v15, -16, v0
	v_addc_co_u32_e32 v5, vcc, 0, v5, vcc
	v_cmp_lt_u32_e32 vcc, 15, v15
	s_or_b64 s[12:13], vcc, s[12:13]
	v_add_u32_e32 v13, 64, v13
	s_andn2_b64 exec, exec, s[12:13]
	s_cbranch_execz .LBB69_91
.LBB69_84:                              ; =>This Inner Loop Header: Depth=1
	s_and_saveexec_b64 s[6:7], s[0:1]
	s_cbranch_execz .LBB69_86
; %bb.85:                               ;   in Loop: Header=BB69_84 Depth=1
	ds_read_b32 v7, v13
	ds_read_b32 v6, v13 offset:4224
.LBB69_86:                              ;   in Loop: Header=BB69_84 Depth=1
	s_or_b64 exec, exec, s[6:7]
	s_waitcnt lgkmcnt(1)
	ds_bpermute_b32 v17, v8, v7
	s_waitcnt lgkmcnt(1)
	ds_bpermute_b32 v16, v8, v6
	v_add_co_u32_e32 v18, vcc, s4, v0
	v_addc_co_u32_e32 v19, vcc, v14, v1, vcc
	s_waitcnt lgkmcnt(0)
	v_pk_add_f32 v[6:7], v[6:7], v[16:17]
	ds_bpermute_b32 v17, v9, v7
	ds_bpermute_b32 v16, v9, v6
	v_cmp_gt_i64_e32 vcc, s[14:15], v[18:19]
	s_and_b64 s[8:9], s[2:3], vcc
	s_waitcnt lgkmcnt(0)
	v_pk_add_f32 v[6:7], v[6:7], v[16:17]
	ds_bpermute_b32 v17, v10, v7
	ds_bpermute_b32 v16, v10, v6
	s_waitcnt lgkmcnt(0)
	v_pk_add_f32 v[6:7], v[6:7], v[16:17]
	ds_bpermute_b32 v17, v11, v7
	ds_bpermute_b32 v16, v11, v6
	;; [unrolled: 4-line block ×3, first 2 shown]
	s_waitcnt lgkmcnt(0)
	v_pk_add_f32 v[6:7], v[6:7], v[16:17]
	s_and_saveexec_b64 s[6:7], s[8:9]
	s_cbranch_execz .LBB69_83
; %bb.87:                               ;   in Loop: Header=BB69_84 Depth=1
	s_andn2_b64 vcc, exec, s[16:17]
	s_cbranch_vccnz .LBB69_89
; %bb.88:                               ;   in Loop: Header=BB69_84 Depth=1
	global_store_dword v[4:5], v7, off
.LBB69_89:                              ;   in Loop: Header=BB69_84 Depth=1
	s_andn2_b64 vcc, exec, s[18:19]
	s_cbranch_vccnz .LBB69_83
; %bb.90:                               ;   in Loop: Header=BB69_84 Depth=1
	global_store_dword v[2:3], v6, off
	s_branch .LBB69_83
.LBB69_91:
	s_endpgm
	.section	.rodata,"a",@progbits
	.p2align	6, 0x0
	.amdhsa_kernel _ZN2at6native12_GLOBAL__N_135GammaBetaBackwardCUDAKernelTemplateIffLj32ELj32ELj256ELb0ELb0ELb0EEEvllPKT_S5_PKT0_S8_PS3_S9_
		.amdhsa_group_segment_fixed_size 0
		.amdhsa_private_segment_fixed_size 0
		.amdhsa_kernarg_size 320
		.amdhsa_user_sgpr_count 6
		.amdhsa_user_sgpr_private_segment_buffer 1
		.amdhsa_user_sgpr_dispatch_ptr 0
		.amdhsa_user_sgpr_queue_ptr 0
		.amdhsa_user_sgpr_kernarg_segment_ptr 1
		.amdhsa_user_sgpr_dispatch_id 0
		.amdhsa_user_sgpr_flat_scratch_init 0
		.amdhsa_user_sgpr_kernarg_preload_length 0
		.amdhsa_user_sgpr_kernarg_preload_offset 0
		.amdhsa_user_sgpr_private_segment_size 0
		.amdhsa_uses_dynamic_stack 0
		.amdhsa_system_sgpr_private_segment_wavefront_offset 0
		.amdhsa_system_sgpr_workgroup_id_x 1
		.amdhsa_system_sgpr_workgroup_id_y 1
		.amdhsa_system_sgpr_workgroup_id_z 0
		.amdhsa_system_sgpr_workgroup_info 0
		.amdhsa_system_vgpr_workitem_id 1
		.amdhsa_next_free_vgpr 98
		.amdhsa_next_free_sgpr 44
		.amdhsa_accum_offset 100
		.amdhsa_reserve_vcc 1
		.amdhsa_reserve_flat_scratch 0
		.amdhsa_float_round_mode_32 0
		.amdhsa_float_round_mode_16_64 0
		.amdhsa_float_denorm_mode_32 3
		.amdhsa_float_denorm_mode_16_64 3
		.amdhsa_dx10_clamp 1
		.amdhsa_ieee_mode 1
		.amdhsa_fp16_overflow 0
		.amdhsa_tg_split 0
		.amdhsa_exception_fp_ieee_invalid_op 0
		.amdhsa_exception_fp_denorm_src 0
		.amdhsa_exception_fp_ieee_div_zero 0
		.amdhsa_exception_fp_ieee_overflow 0
		.amdhsa_exception_fp_ieee_underflow 0
		.amdhsa_exception_fp_ieee_inexact 0
		.amdhsa_exception_int_div_zero 0
	.end_amdhsa_kernel
	.section	.text._ZN2at6native12_GLOBAL__N_135GammaBetaBackwardCUDAKernelTemplateIffLj32ELj32ELj256ELb0ELb0ELb0EEEvllPKT_S5_PKT0_S8_PS3_S9_,"axG",@progbits,_ZN2at6native12_GLOBAL__N_135GammaBetaBackwardCUDAKernelTemplateIffLj32ELj32ELj256ELb0ELb0ELb0EEEvllPKT_S5_PKT0_S8_PS3_S9_,comdat
.Lfunc_end69:
	.size	_ZN2at6native12_GLOBAL__N_135GammaBetaBackwardCUDAKernelTemplateIffLj32ELj32ELj256ELb0ELb0ELb0EEEvllPKT_S5_PKT0_S8_PS3_S9_, .Lfunc_end69-_ZN2at6native12_GLOBAL__N_135GammaBetaBackwardCUDAKernelTemplateIffLj32ELj32ELj256ELb0ELb0ELb0EEEvllPKT_S5_PKT0_S8_PS3_S9_
                                        ; -- End function
	.section	.AMDGPU.csdata,"",@progbits
; Kernel info:
; codeLenInByte = 7340
; NumSgprs: 48
; NumVgprs: 98
; NumAgprs: 0
; TotalNumVgprs: 98
; ScratchSize: 0
; MemoryBound: 0
; FloatMode: 240
; IeeeMode: 1
; LDSByteSize: 0 bytes/workgroup (compile time only)
; SGPRBlocks: 5
; VGPRBlocks: 12
; NumSGPRsForWavesPerEU: 48
; NumVGPRsForWavesPerEU: 98
; AccumOffset: 100
; Occupancy: 4
; WaveLimiterHint : 0
; COMPUTE_PGM_RSRC2:SCRATCH_EN: 0
; COMPUTE_PGM_RSRC2:USER_SGPR: 6
; COMPUTE_PGM_RSRC2:TRAP_HANDLER: 0
; COMPUTE_PGM_RSRC2:TGID_X_EN: 1
; COMPUTE_PGM_RSRC2:TGID_Y_EN: 1
; COMPUTE_PGM_RSRC2:TGID_Z_EN: 0
; COMPUTE_PGM_RSRC2:TIDIG_COMP_CNT: 1
; COMPUTE_PGM_RSRC3_GFX90A:ACCUM_OFFSET: 24
; COMPUTE_PGM_RSRC3_GFX90A:TG_SPLIT: 0
	.section	.text._ZN2at6native12_GLOBAL__N_118cuComputeGradInputIN3c104HalfEfLb0EEEvPKT_S7_llPKT0_SA_S7_PS5_,"axG",@progbits,_ZN2at6native12_GLOBAL__N_118cuComputeGradInputIN3c104HalfEfLb0EEEvPKT_S7_llPKT0_SA_S7_PS5_,comdat
	.globl	_ZN2at6native12_GLOBAL__N_118cuComputeGradInputIN3c104HalfEfLb0EEEvPKT_S7_llPKT0_SA_S7_PS5_ ; -- Begin function _ZN2at6native12_GLOBAL__N_118cuComputeGradInputIN3c104HalfEfLb0EEEvPKT_S7_llPKT0_SA_S7_PS5_
	.p2align	8
	.type	_ZN2at6native12_GLOBAL__N_118cuComputeGradInputIN3c104HalfEfLb0EEEvPKT_S7_llPKT0_SA_S7_PS5_,@function
_ZN2at6native12_GLOBAL__N_118cuComputeGradInputIN3c104HalfEfLb0EEEvPKT_S7_llPKT0_SA_S7_PS5_: ; @_ZN2at6native12_GLOBAL__N_118cuComputeGradInputIN3c104HalfEfLb0EEEvPKT_S7_llPKT0_SA_S7_PS5_
; %bb.0:
	s_load_dwordx4 s[20:23], s[4:5], 0x10
	s_mov_b32 s28, s7
	s_ashr_i32 s29, s7, 31
	s_waitcnt lgkmcnt(0)
	v_pk_mov_b32 v[2:3], s[20:21], s[20:21] op_sel:[0,1]
	v_cmp_ge_i64_e32 vcc, s[28:29], v[2:3]
	s_cbranch_vccnz .LBB70_47
; %bb.1:
	s_load_dword s0, s[4:5], 0x4c
	s_load_dword s33, s[4:5], 0x44
	s_load_dwordx4 s[24:27], s[4:5], 0x0
	s_load_dwordx8 s[12:19], s[4:5], 0x20
	v_and_b32_e32 v14, 0x3ff, v0
	s_waitcnt lgkmcnt(0)
	s_lshr_b32 s44, s0, 16
	s_and_b32 s45, s0, 0xffff
	v_cmp_gt_u16_e64 s[30:31], s0, 1
	s_cmp_lg_u64 s[16:17], 0
	s_cselect_b64 s[6:7], -1, 0
	s_xor_b32 s1, s22, s23
	s_flbit_i32 s0, s23
	s_ashr_i32 s1, s1, 31
	s_add_i32 s0, s0, -1
	s_add_i32 s1, s1, 32
	s_min_u32 s2, s0, s1
	s_lshl_b64 s[0:1], s[22:23], s2
	s_min_u32 s0, s0, 1
	s_or_b32 s0, s1, s0
	v_cvt_f32_i32_e32 v1, s0
	s_sub_i32 s0, 32, s2
	v_bfe_u32 v15, v0, 10, 10
	s_mul_i32 s46, s44, s45
	v_ldexp_f32 v2, v1, s0
	v_div_scale_f32 v1, s[0:1], v2, v2, 1.0
	v_rcp_f32_e32 v4, v1
	v_mad_u32_u24 v0, v15, s45, v14
	s_ashr_i32 s47, s46, 31
	v_lshlrev_b32_e32 v3, 3, v0
	v_fma_f32 v5, -v1, v4, 1.0
	v_fmac_f32_e32 v4, v5, v4
	v_div_scale_f32 v5, vcc, 1.0, v2, 1.0
	v_mul_f32_e32 v6, v5, v4
	v_fma_f32 v7, -v1, v6, v5
	v_fmac_f32_e32 v6, v7, v4
	v_fma_f32 v1, -v1, v6, v5
	v_div_fmas_f32 v1, v1, v4, v6
	v_add_u32_e32 v4, s46, v0
	v_ashrrev_i32_e32 v5, 31, v4
	v_mov_b32_e32 v6, s47
	v_subrev_co_u32_e32 v4, vcc, s46, v4
	v_lshlrev_b32_e32 v8, 3, v14
	v_div_fixup_f32 v16, v1, v2, 1.0
	v_mov_b32_e32 v1, 0
	v_subb_co_u32_e32 v5, vcc, v5, v6, vcc
	v_cndmask_b32_e64 v6, 0, 1, s[6:7]
	v_cmp_gt_i64_e64 s[6:7], s[22:23], 0
	v_add_u32_e32 v18, 0, v3
	v_mbcnt_lo_u32_b32 v3, -1, 0
	v_cmp_gt_u16_e64 s[34:35], s44, 1
	s_mov_b32 s36, 0
	v_cmp_eq_u32_e64 s[0:1], 0, v15
	v_cmp_ne_u32_e64 s[2:3], 0, v15
	v_cmp_gt_i64_e64 s[4:5], s[22:23], v[0:1]
	v_cndmask_b32_e64 v17, 0, 1, s[6:7]
	v_cmp_ne_u32_e64 s[6:7], 1, v6
	v_pk_mov_b32 v[6:7], s[22:23], s[22:23] op_sel:[0,1]
	v_mbcnt_hi_u32_b32 v19, -1, v3
	v_add_u32_e32 v20, 0, v8
	s_branch .LBB70_4
.LBB70_2:                               ;   in Loop: Header=BB70_4 Depth=1
	s_or_b64 exec, exec, s[10:11]
.LBB70_3:                               ;   in Loop: Header=BB70_4 Depth=1
	s_add_i32 s28, s33, s28
	s_ashr_i32 s29, s28, 31
	v_pk_mov_b32 v[8:9], s[20:21], s[20:21] op_sel:[0,1]
	v_cmp_ge_i64_e32 vcc, s[28:29], v[8:9]
	s_barrier
	s_cbranch_vccnz .LBB70_47
.LBB70_4:                               ; =>This Loop Header: Depth=1
                                        ;     Child Loop BB70_8 Depth 2
                                        ;     Child Loop BB70_19 Depth 2
	;; [unrolled: 1-line block ×6, first 2 shown]
	s_mul_i32 s8, s28, s23
	s_mul_hi_u32 s9, s28, s22
	s_add_i32 s8, s9, s8
	s_mul_i32 s9, s29, s22
	s_add_i32 s9, s8, s9
	s_lshl_b64 s[10:11], s[28:29], 2
	s_add_u32 s38, s12, s10
	s_addc_u32 s39, s13, s11
	s_add_u32 s10, s14, s10
	s_mul_i32 s8, s28, s22
	s_addc_u32 s11, s15, s11
	s_load_dword s29, s[38:39], 0x0
	s_load_dword s52, s[10:11], 0x0
	s_lshl_b64 s[38:39], s[8:9], 1
	s_add_u32 s48, s26, s38
	s_addc_u32 s49, s27, s39
	s_add_u32 s50, s24, s38
	s_addc_u32 s51, s25, s39
	s_and_b64 vcc, exec, s[6:7]
	v_cmp_ne_u32_e64 s[8:9], 1, v17
	s_cbranch_vccnz .LBB70_15
; %bb.5:                                ;   in Loop: Header=BB70_4 Depth=1
	s_mov_b32 s37, s36
	s_and_b64 vcc, exec, s[8:9]
	v_pk_mov_b32 v[8:9], s[36:37], s[36:37] op_sel:[0,1]
	s_cbranch_vccnz .LBB70_14
; %bb.6:                                ;   in Loop: Header=BB70_4 Depth=1
	v_mov_b32_e32 v8, 0
	s_mov_b32 s40, 0
	v_mov_b32_e32 v9, v8
	s_branch .LBB70_8
.LBB70_7:                               ;   in Loop: Header=BB70_8 Depth=2
	s_or_b64 exec, exec, s[10:11]
	s_waitcnt vmcnt(0)
	v_cvt_f32_f16_e32 v10, v12
	v_cvt_f32_f16_e32 v3, v3
	;; [unrolled: 1-line block ×3, first 2 shown]
	s_add_i32 s40, s40, s46
	s_waitcnt lgkmcnt(0)
	v_subrev_f32_e32 v12, s29, v10
	s_ashr_i32 s41, s40, 31
	v_mul_f32_e32 v10, v3, v11
	v_mul_f32_e32 v3, v12, v10
	;; [unrolled: 1-line block ×3, first 2 shown]
	v_cmp_ge_i64_e32 vcc, s[40:41], v[6:7]
	v_pk_add_f32 v[8:9], v[8:9], v[10:11]
	s_cbranch_vccnz .LBB70_14
.LBB70_8:                               ;   Parent Loop BB70_4 Depth=1
                                        ; =>  This Inner Loop Header: Depth=2
	v_add_u32_e32 v10, s40, v0
	v_ashrrev_i32_e32 v11, 31, v10
	v_cmp_gt_i64_e32 vcc, s[22:23], v[10:11]
	v_lshlrev_b64 v[10:11], 1, v[10:11]
	v_mov_b32_e32 v3, 0
	s_and_saveexec_b64 s[42:43], vcc
	s_cbranch_execnz .LBB70_11
; %bb.9:                                ;   in Loop: Header=BB70_8 Depth=2
	s_or_b64 exec, exec, s[42:43]
	v_mov_b32_e32 v12, 0
	s_and_saveexec_b64 s[42:43], vcc
	s_cbranch_execnz .LBB70_12
.LBB70_10:                              ;   in Loop: Header=BB70_8 Depth=2
	s_or_b64 exec, exec, s[42:43]
	v_mov_b32_e32 v13, 0
	s_and_saveexec_b64 s[10:11], vcc
	s_cbranch_execz .LBB70_7
	s_branch .LBB70_13
.LBB70_11:                              ;   in Loop: Header=BB70_8 Depth=2
	v_mov_b32_e32 v3, s17
	v_add_co_u32_e64 v12, s[10:11], s16, v10
	v_addc_co_u32_e64 v13, s[10:11], v3, v11, s[10:11]
	global_load_ushort v3, v[12:13], off
	s_or_b64 exec, exec, s[42:43]
	v_mov_b32_e32 v12, 0
	s_and_saveexec_b64 s[42:43], vcc
	s_cbranch_execz .LBB70_10
.LBB70_12:                              ;   in Loop: Header=BB70_8 Depth=2
	v_mov_b32_e32 v13, s49
	v_add_co_u32_e64 v12, s[10:11], s48, v10
	v_addc_co_u32_e64 v13, s[10:11], v13, v11, s[10:11]
	global_load_ushort v12, v[12:13], off
	s_or_b64 exec, exec, s[42:43]
	v_mov_b32_e32 v13, 0
	s_and_saveexec_b64 s[10:11], vcc
	s_cbranch_execz .LBB70_7
.LBB70_13:                              ;   in Loop: Header=BB70_8 Depth=2
	v_mov_b32_e32 v13, s51
	v_add_co_u32_e32 v10, vcc, s50, v10
	v_addc_co_u32_e32 v11, vcc, v13, v11, vcc
	global_load_ushort v13, v[10:11], off
	s_branch .LBB70_7
.LBB70_14:                              ;   in Loop: Header=BB70_4 Depth=1
	s_cbranch_execz .LBB70_16
	s_branch .LBB70_23
.LBB70_15:                              ;   in Loop: Header=BB70_4 Depth=1
                                        ; implicit-def: $vgpr8_vgpr9
.LBB70_16:                              ;   in Loop: Header=BB70_4 Depth=1
	s_mov_b32 s37, s36
	s_and_b64 vcc, exec, s[8:9]
	v_pk_mov_b32 v[8:9], s[36:37], s[36:37] op_sel:[0,1]
	s_cbranch_vccnz .LBB70_23
; %bb.17:                               ;   in Loop: Header=BB70_4 Depth=1
	v_mov_b32_e32 v8, 0
	s_mov_b32 s10, 0
	v_mov_b32_e32 v9, v8
	s_branch .LBB70_19
.LBB70_18:                              ;   in Loop: Header=BB70_19 Depth=2
	s_or_b64 exec, exec, s[8:9]
	s_waitcnt vmcnt(0)
	v_cvt_f32_f16_e32 v3, v3
	v_cvt_f32_f16_e32 v10, v12
	s_add_i32 s10, s10, s46
	s_ashr_i32 s11, s10, 31
	s_waitcnt lgkmcnt(0)
	v_subrev_f32_e32 v3, s29, v3
	v_mul_f32_e32 v3, v3, v10
	v_mul_f32_e32 v11, s52, v3
	v_pk_add_f32 v[8:9], v[8:9], v[10:11]
	v_pk_mov_b32 v[10:11], s[22:23], s[22:23] op_sel:[0,1]
	v_cmp_ge_i64_e32 vcc, s[10:11], v[10:11]
	s_cbranch_vccnz .LBB70_23
.LBB70_19:                              ;   Parent Loop BB70_4 Depth=1
                                        ; =>  This Inner Loop Header: Depth=2
	v_add_u32_e32 v10, s10, v0
	v_ashrrev_i32_e32 v11, 31, v10
	v_cmp_gt_i64_e32 vcc, s[22:23], v[10:11]
	v_lshlrev_b64 v[10:11], 1, v[10:11]
	v_mov_b32_e32 v3, 0
	s_and_saveexec_b64 s[40:41], vcc
	s_cbranch_execz .LBB70_21
; %bb.20:                               ;   in Loop: Header=BB70_19 Depth=2
	v_mov_b32_e32 v3, s49
	v_add_co_u32_e64 v12, s[8:9], s48, v10
	v_addc_co_u32_e64 v13, s[8:9], v3, v11, s[8:9]
	global_load_ushort v3, v[12:13], off
.LBB70_21:                              ;   in Loop: Header=BB70_19 Depth=2
	s_or_b64 exec, exec, s[40:41]
	v_mov_b32_e32 v12, 0
	s_and_saveexec_b64 s[8:9], vcc
	s_cbranch_execz .LBB70_18
; %bb.22:                               ;   in Loop: Header=BB70_19 Depth=2
	v_mov_b32_e32 v12, s51
	v_add_co_u32_e32 v10, vcc, s50, v10
	v_addc_co_u32_e32 v11, vcc, v12, v11, vcc
	global_load_ushort v12, v[10:11], off
	s_branch .LBB70_18
.LBB70_23:                              ;   in Loop: Header=BB70_4 Depth=1
	s_andn2_b64 vcc, exec, s[30:31]
	s_cbranch_vccnz .LBB70_26
; %bb.24:                               ;   in Loop: Header=BB70_4 Depth=1
	v_and_b32_e32 v3, 64, v19
	v_add_u32_e32 v3, 64, v3
	s_mov_b32 s8, s45
.LBB70_25:                              ;   Parent Loop BB70_4 Depth=1
                                        ; =>  This Inner Loop Header: Depth=2
	s_lshr_b32 s9, s8, 1
	v_xor_b32_e32 v10, s9, v19
	v_cmp_lt_i32_e32 vcc, v10, v3
	v_cndmask_b32_e32 v10, v19, v10, vcc
	v_lshlrev_b32_e32 v11, 2, v10
	ds_bpermute_b32 v10, v11, v8
	ds_bpermute_b32 v11, v11, v9
	s_cmp_lt_u32 s8, 4
	s_mov_b32 s8, s9
	s_waitcnt lgkmcnt(0)
	v_pk_add_f32 v[8:9], v[8:9], v[10:11]
	s_cbranch_scc0 .LBB70_25
.LBB70_26:                              ;   in Loop: Header=BB70_4 Depth=1
	s_andn2_b64 vcc, exec, s[34:35]
	s_mov_b32 s37, s44
	s_cbranch_vccnz .LBB70_38
.LBB70_27:                              ;   Parent Loop BB70_4 Depth=1
                                        ; =>  This Inner Loop Header: Depth=2
	s_lshr_b32 s40, s37, 1
	s_and_b32 s10, s37, 0xfffe
	v_cmp_le_u32_e64 s[8:9], s40, v15
	v_cmp_gt_u32_e64 s[10:11], s10, v15
	v_cmp_gt_u32_e32 vcc, s40, v15
	s_and_b64 s[10:11], s[8:9], s[10:11]
	s_and_saveexec_b64 s[8:9], s[10:11]
	s_cbranch_execz .LBB70_29
; %bb.28:                               ;   in Loop: Header=BB70_27 Depth=2
	v_subrev_u32_e32 v3, s40, v15
	v_mad_i32_i24 v3, v3, s45, v14
	v_lshl_add_u32 v3, v3, 3, 0
	ds_write_b64 v3, v[8:9]
.LBB70_29:                              ;   in Loop: Header=BB70_27 Depth=2
	s_or_b64 exec, exec, s[8:9]
	s_waitcnt lgkmcnt(0)
	s_barrier
	s_and_saveexec_b64 s[8:9], vcc
	s_cbranch_execz .LBB70_31
; %bb.30:                               ;   in Loop: Header=BB70_27 Depth=2
	ds_read_b64 v[10:11], v18
	s_waitcnt lgkmcnt(0)
	v_pk_add_f32 v[8:9], v[8:9], v[10:11]
.LBB70_31:                              ;   in Loop: Header=BB70_27 Depth=2
	s_or_b64 exec, exec, s[8:9]
	s_cmp_lt_u32 s37, 4
	s_barrier
	s_cbranch_scc1 .LBB70_33
; %bb.32:                               ;   in Loop: Header=BB70_27 Depth=2
	s_mov_b32 s37, s40
	s_branch .LBB70_27
.LBB70_33:                              ;   in Loop: Header=BB70_4 Depth=1
	s_and_saveexec_b64 s[8:9], s[0:1]
	s_cbranch_execz .LBB70_35
; %bb.34:                               ;   in Loop: Header=BB70_4 Depth=1
	ds_write_b64 v20, v[8:9]
.LBB70_35:                              ;   in Loop: Header=BB70_4 Depth=1
	s_or_b64 exec, exec, s[8:9]
	s_waitcnt lgkmcnt(0)
	s_barrier
	s_and_saveexec_b64 s[8:9], s[2:3]
	s_cbranch_execz .LBB70_37
; %bb.36:                               ;   in Loop: Header=BB70_4 Depth=1
	ds_read_b64 v[8:9], v20
.LBB70_37:                              ;   in Loop: Header=BB70_4 Depth=1
	s_or_b64 exec, exec, s[8:9]
.LBB70_38:                              ;   in Loop: Header=BB70_4 Depth=1
	s_add_u32 s37, s18, s38
	s_addc_u32 s40, s19, s39
	s_and_b64 vcc, exec, s[6:7]
	s_waitcnt lgkmcnt(0)
	v_mul_f32_e32 v21, s52, v16
	s_cbranch_vccnz .LBB70_43
; %bb.39:                               ;   in Loop: Header=BB70_4 Depth=1
	s_and_saveexec_b64 s[10:11], s[4:5]
	s_cbranch_execz .LBB70_42
; %bb.40:                               ;   in Loop: Header=BB70_4 Depth=1
	s_mov_b64 s[38:39], 0
	v_pk_mov_b32 v[10:11], v[4:5], v[4:5] op_sel:[0,1]
	v_pk_mov_b32 v[12:13], v[0:1], v[0:1] op_sel:[0,1]
.LBB70_41:                              ;   Parent Loop BB70_4 Depth=1
                                        ; =>  This Inner Loop Header: Depth=2
	v_lshlrev_b64 v[12:13], 1, v[12:13]
	v_mov_b32_e32 v3, s49
	v_add_co_u32_e32 v22, vcc, s48, v12
	v_addc_co_u32_e32 v23, vcc, v3, v13, vcc
	v_mov_b32_e32 v25, s51
	v_add_co_u32_e32 v24, vcc, s50, v12
	v_addc_co_u32_e32 v25, vcc, v25, v13, vcc
	global_load_ushort v3, v[24:25], off
	global_load_ushort v27, v[22:23], off
	v_mov_b32_e32 v26, s17
	v_add_co_u32_e32 v22, vcc, s16, v12
	v_addc_co_u32_e32 v23, vcc, v26, v13, vcc
	global_load_ushort v24, v[22:23], off
	v_mov_b32_e32 v25, s47
	v_add_co_u32_e32 v10, vcc, s46, v10
	v_addc_co_u32_e32 v11, vcc, v11, v25, vcc
	v_mov_b32_e32 v23, s40
	v_add_co_u32_e64 v22, s[8:9], s37, v12
	v_cmp_le_i64_e32 vcc, s[22:23], v[10:11]
	v_addc_co_u32_e64 v23, s[8:9], v23, v13, s[8:9]
	v_ashrrev_i32_e32 v13, 31, v10
	v_mov_b32_e32 v12, v10
	s_or_b64 s[38:39], vcc, s[38:39]
	s_waitcnt vmcnt(2)
	v_cvt_f32_f16_e32 v3, v3
	s_waitcnt vmcnt(1)
	v_cvt_f32_f16_e32 v25, v27
	v_mul_f32_e32 v3, v2, v3
	v_subrev_f32_e32 v25, s29, v25
	s_waitcnt vmcnt(0)
	v_fma_mix_f32 v3, v3, v24, -v8 op_sel_hi:[0,1,0]
	v_mul_f32_e32 v24, s52, v25
	v_fma_f32 v3, -v9, v24, v3
	v_fma_mixlo_f16 v3, v21, v3, 0
	global_store_short v[22:23], v3, off
	s_andn2_b64 exec, exec, s[38:39]
	s_cbranch_execnz .LBB70_41
.LBB70_42:                              ;   in Loop: Header=BB70_4 Depth=1
	s_or_b64 exec, exec, s[10:11]
	s_cbranch_execnz .LBB70_3
	s_branch .LBB70_44
.LBB70_43:                              ;   in Loop: Header=BB70_4 Depth=1
.LBB70_44:                              ;   in Loop: Header=BB70_4 Depth=1
	s_and_saveexec_b64 s[10:11], s[4:5]
	s_cbranch_execz .LBB70_2
; %bb.45:                               ;   in Loop: Header=BB70_4 Depth=1
	v_mov_b32_e32 v3, s52
	s_mov_b64 s[38:39], 0
	v_pk_mov_b32 v[10:11], v[4:5], v[4:5] op_sel:[0,1]
	v_pk_mov_b32 v[12:13], v[0:1], v[0:1] op_sel:[0,1]
.LBB70_46:                              ;   Parent Loop BB70_4 Depth=1
                                        ; =>  This Inner Loop Header: Depth=2
	v_lshlrev_b64 v[12:13], 1, v[12:13]
	v_mov_b32_e32 v23, s49
	v_add_co_u32_e32 v22, vcc, s48, v12
	v_addc_co_u32_e32 v23, vcc, v23, v13, vcc
	v_mov_b32_e32 v25, s51
	v_add_co_u32_e32 v24, vcc, s50, v12
	v_addc_co_u32_e32 v25, vcc, v25, v13, vcc
	global_load_ushort v26, v[22:23], off
	global_load_ushort v27, v[24:25], off
	v_mov_b32_e32 v24, s47
	v_add_co_u32_e32 v10, vcc, s46, v10
	v_addc_co_u32_e32 v11, vcc, v11, v24, vcc
	v_mov_b32_e32 v23, s40
	v_add_co_u32_e64 v22, s[8:9], s37, v12
	v_cmp_le_i64_e32 vcc, s[22:23], v[10:11]
	v_addc_co_u32_e64 v23, s[8:9], v23, v13, s[8:9]
	v_ashrrev_i32_e32 v13, 31, v10
	v_mov_b32_e32 v12, v10
	s_or_b64 s[38:39], vcc, s[38:39]
	s_waitcnt vmcnt(1)
	v_cvt_f32_f16_e32 v25, v26
	s_waitcnt vmcnt(0)
	v_cvt_f32_f16_e32 v24, v27
	v_subrev_f32_e32 v25, s29, v25
	v_pk_mul_f32 v[24:25], v[2:3], v[24:25]
	v_sub_f32_e32 v24, v24, v8
	v_fma_f32 v24, -v25, v9, v24
	v_fma_mixlo_f16 v24, v21, v24, 0
	global_store_short v[22:23], v24, off
	s_andn2_b64 exec, exec, s[38:39]
	s_cbranch_execnz .LBB70_46
	s_branch .LBB70_2
.LBB70_47:
	s_endpgm
	.section	.rodata,"a",@progbits
	.p2align	6, 0x0
	.amdhsa_kernel _ZN2at6native12_GLOBAL__N_118cuComputeGradInputIN3c104HalfEfLb0EEEvPKT_S7_llPKT0_SA_S7_PS5_
		.amdhsa_group_segment_fixed_size 0
		.amdhsa_private_segment_fixed_size 0
		.amdhsa_kernarg_size 320
		.amdhsa_user_sgpr_count 6
		.amdhsa_user_sgpr_private_segment_buffer 1
		.amdhsa_user_sgpr_dispatch_ptr 0
		.amdhsa_user_sgpr_queue_ptr 0
		.amdhsa_user_sgpr_kernarg_segment_ptr 1
		.amdhsa_user_sgpr_dispatch_id 0
		.amdhsa_user_sgpr_flat_scratch_init 0
		.amdhsa_user_sgpr_kernarg_preload_length 0
		.amdhsa_user_sgpr_kernarg_preload_offset 0
		.amdhsa_user_sgpr_private_segment_size 0
		.amdhsa_uses_dynamic_stack 0
		.amdhsa_system_sgpr_private_segment_wavefront_offset 0
		.amdhsa_system_sgpr_workgroup_id_x 1
		.amdhsa_system_sgpr_workgroup_id_y 1
		.amdhsa_system_sgpr_workgroup_id_z 0
		.amdhsa_system_sgpr_workgroup_info 0
		.amdhsa_system_vgpr_workitem_id 1
		.amdhsa_next_free_vgpr 28
		.amdhsa_next_free_sgpr 53
		.amdhsa_accum_offset 28
		.amdhsa_reserve_vcc 1
		.amdhsa_reserve_flat_scratch 0
		.amdhsa_float_round_mode_32 0
		.amdhsa_float_round_mode_16_64 0
		.amdhsa_float_denorm_mode_32 3
		.amdhsa_float_denorm_mode_16_64 3
		.amdhsa_dx10_clamp 1
		.amdhsa_ieee_mode 1
		.amdhsa_fp16_overflow 0
		.amdhsa_tg_split 0
		.amdhsa_exception_fp_ieee_invalid_op 0
		.amdhsa_exception_fp_denorm_src 0
		.amdhsa_exception_fp_ieee_div_zero 0
		.amdhsa_exception_fp_ieee_overflow 0
		.amdhsa_exception_fp_ieee_underflow 0
		.amdhsa_exception_fp_ieee_inexact 0
		.amdhsa_exception_int_div_zero 0
	.end_amdhsa_kernel
	.section	.text._ZN2at6native12_GLOBAL__N_118cuComputeGradInputIN3c104HalfEfLb0EEEvPKT_S7_llPKT0_SA_S7_PS5_,"axG",@progbits,_ZN2at6native12_GLOBAL__N_118cuComputeGradInputIN3c104HalfEfLb0EEEvPKT_S7_llPKT0_SA_S7_PS5_,comdat
.Lfunc_end70:
	.size	_ZN2at6native12_GLOBAL__N_118cuComputeGradInputIN3c104HalfEfLb0EEEvPKT_S7_llPKT0_SA_S7_PS5_, .Lfunc_end70-_ZN2at6native12_GLOBAL__N_118cuComputeGradInputIN3c104HalfEfLb0EEEvPKT_S7_llPKT0_SA_S7_PS5_
                                        ; -- End function
	.section	.AMDGPU.csdata,"",@progbits
; Kernel info:
; codeLenInByte = 1736
; NumSgprs: 57
; NumVgprs: 28
; NumAgprs: 0
; TotalNumVgprs: 28
; ScratchSize: 0
; MemoryBound: 0
; FloatMode: 240
; IeeeMode: 1
; LDSByteSize: 0 bytes/workgroup (compile time only)
; SGPRBlocks: 7
; VGPRBlocks: 3
; NumSGPRsForWavesPerEU: 57
; NumVGPRsForWavesPerEU: 28
; AccumOffset: 28
; Occupancy: 8
; WaveLimiterHint : 0
; COMPUTE_PGM_RSRC2:SCRATCH_EN: 0
; COMPUTE_PGM_RSRC2:USER_SGPR: 6
; COMPUTE_PGM_RSRC2:TRAP_HANDLER: 0
; COMPUTE_PGM_RSRC2:TGID_X_EN: 1
; COMPUTE_PGM_RSRC2:TGID_Y_EN: 1
; COMPUTE_PGM_RSRC2:TGID_Z_EN: 0
; COMPUTE_PGM_RSRC2:TIDIG_COMP_CNT: 1
; COMPUTE_PGM_RSRC3_GFX90A:ACCUM_OFFSET: 6
; COMPUTE_PGM_RSRC3_GFX90A:TG_SPLIT: 0
	.section	.text._ZN2at6native12_GLOBAL__N_128layer_norm_grad_input_kernelIN3c104HalfEfLb0EEEvPKT_S7_PKT0_SA_S7_PS5_i,"axG",@progbits,_ZN2at6native12_GLOBAL__N_128layer_norm_grad_input_kernelIN3c104HalfEfLb0EEEvPKT_S7_PKT0_SA_S7_PS5_i,comdat
	.globl	_ZN2at6native12_GLOBAL__N_128layer_norm_grad_input_kernelIN3c104HalfEfLb0EEEvPKT_S7_PKT0_SA_S7_PS5_i ; -- Begin function _ZN2at6native12_GLOBAL__N_128layer_norm_grad_input_kernelIN3c104HalfEfLb0EEEvPKT_S7_PKT0_SA_S7_PS5_i
	.p2align	8
	.type	_ZN2at6native12_GLOBAL__N_128layer_norm_grad_input_kernelIN3c104HalfEfLb0EEEvPKT_S7_PKT0_SA_S7_PS5_i,@function
_ZN2at6native12_GLOBAL__N_128layer_norm_grad_input_kernelIN3c104HalfEfLb0EEEvPKT_S7_PKT0_SA_S7_PS5_i: ; @_ZN2at6native12_GLOBAL__N_128layer_norm_grad_input_kernelIN3c104HalfEfLb0EEEvPKT_S7_PKT0_SA_S7_PS5_i
; %bb.0:
	s_load_dword s18, s[4:5], 0x30
	s_load_dwordx2 s[16:17], s[4:5], 0x20
	s_load_dwordx8 s[8:15], s[4:5], 0x0
	s_mov_b32 s7, 0
	s_lshl_b64 s[2:3], s[6:7], 2
	s_waitcnt lgkmcnt(0)
	s_ashr_i32 s0, s18, 31
	s_mul_hi_u32 s1, s18, s6
	s_mul_i32 s0, s0, s6
	s_add_i32 s1, s1, s0
	s_add_u32 s12, s12, s2
	s_addc_u32 s13, s13, s3
	s_add_u32 s2, s14, s2
	s_mul_i32 s0, s18, s6
	s_addc_u32 s3, s15, s3
	s_load_dword s19, s[12:13], 0x0
	s_load_dword s20, s[2:3], 0x0
	s_lshl_b64 s[12:13], s[0:1], 1
	s_add_u32 s21, s10, s12
	v_lshlrev_b32_e32 v4, 2, v0
	s_addc_u32 s23, s11, s13
	s_add_u32 s22, s8, s12
	v_or_b32_e32 v1, 3, v4
	s_mov_b32 s6, s7
	s_addc_u32 s24, s9, s13
	v_cmp_gt_u32_e32 vcc, s18, v1
	v_pk_mov_b32 v[2:3], s[6:7], s[6:7] op_sel:[0,1]
	s_and_saveexec_b64 s[2:3], vcc
	s_cbranch_execz .LBB71_12
; %bb.1:
	s_load_dword s0, s[4:5], 0x44
	s_cmp_lg_u64 s[16:17], 0
	s_cselect_b64 s[14:15], -1, 0
	v_mov_b32_e32 v2, 0
	v_cndmask_b32_e64 v3, 0, 1, s[14:15]
	s_waitcnt lgkmcnt(0)
	s_and_b32 s0, s0, 0xffff
	s_lshl_b32 s25, s0, 2
	s_add_u32 s26, s16, 2
	s_addc_u32 s27, s17, 0
	s_add_u32 s28, s16, 4
	s_addc_u32 s29, s17, 0
	s_add_u32 s30, s16, 6
	s_mov_b64 s[6:7], 0
	s_addc_u32 s31, s17, 0
	v_mov_b32_e32 v5, 0
	v_mov_b32_e32 v1, s23
	;; [unrolled: 1-line block ×3, first 2 shown]
	v_cmp_ne_u32_e64 s[0:1], 1, v3
	v_mov_b32_e32 v3, v2
	s_branch .LBB71_3
.LBB71_2:                               ;   in Loop: Header=BB71_3 Depth=1
	global_load_ushort v23, v[6:7], off offset:6
	global_load_ushort v24, v[8:9], off offset:6
	s_waitcnt vmcnt(7)
	v_cvt_f32_f16_e32 v6, v16
	s_waitcnt vmcnt(6)
	v_cvt_f32_f16_e32 v7, v17
	;; [unrolled: 2-line block ×4, first 2 shown]
	v_subrev_f32_e32 v6, s19, v6
	v_mul_f32_e32 v7, v14, v7
	v_mul_f32_e32 v6, v6, v7
	s_waitcnt vmcnt(3)
	v_cvt_f32_f16_e32 v10, v21
	s_waitcnt vmcnt(2)
	v_cvt_f32_f16_e32 v11, v22
	v_mul_f32_e32 v6, s20, v6
	v_pk_add_f32 v[2:3], v[2:3], v[6:7]
	v_subrev_f32_e32 v8, s19, v8
	v_mul_f32_e32 v9, v13, v9
	v_subrev_f32_e32 v10, s19, v10
	v_mul_f32_e32 v11, v18, v11
	v_mul_f32_e32 v8, v8, v9
	v_add_u32_e32 v4, s25, v4
	v_mul_f32_e32 v10, v10, v11
	v_mul_f32_e32 v8, s20, v8
	v_add_u32_e32 v16, 3, v4
	v_mul_f32_e32 v10, s20, v10
	v_pk_add_f32 v[2:3], v[2:3], v[8:9]
	v_cmp_le_u32_e32 vcc, s18, v16
	v_pk_add_f32 v[2:3], v[2:3], v[10:11]
	s_or_b64 s[6:7], vcc, s[6:7]
	s_waitcnt vmcnt(1)
	v_cvt_f32_f16_e32 v6, v23
	s_waitcnt vmcnt(0)
	v_cvt_f32_f16_e32 v7, v24
	v_subrev_f32_e32 v6, s19, v6
	v_mul_f32_e32 v7, v15, v7
	v_mul_f32_e32 v6, v6, v7
	;; [unrolled: 1-line block ×3, first 2 shown]
	v_pk_add_f32 v[2:3], v[2:3], v[6:7]
	s_andn2_b64 exec, exec, s[6:7]
	s_cbranch_execz .LBB71_11
.LBB71_3:                               ; =>This Inner Loop Header: Depth=1
	s_and_b64 vcc, exec, s[14:15]
	v_mov_b32_e32 v13, 1.0
	v_lshlrev_b64 v[10:11], 1, v[4:5]
	v_mov_b32_e32 v14, 1.0
	s_cbranch_vccz .LBB71_5
; %bb.4:                                ;   in Loop: Header=BB71_3 Depth=1
	v_mov_b32_e32 v7, s17
	v_add_co_u32_e32 v6, vcc, s16, v10
	v_addc_co_u32_e32 v7, vcc, v7, v11, vcc
	global_load_ushort v6, v[6:7], off
	s_waitcnt vmcnt(0)
	v_cvt_f32_f16_e32 v14, v6
.LBB71_5:                               ;   in Loop: Header=BB71_3 Depth=1
	v_add_co_u32_e32 v6, vcc, s21, v10
	v_addc_co_u32_e32 v7, vcc, v1, v11, vcc
	v_add_co_u32_e32 v8, vcc, s22, v10
	v_addc_co_u32_e32 v9, vcc, v12, v11, vcc
	global_load_ushort v16, v[6:7], off
	global_load_ushort v17, v[8:9], off
	s_and_b64 vcc, exec, s[0:1]
	s_cbranch_vccnz .LBB71_7
; %bb.6:                                ;   in Loop: Header=BB71_3 Depth=1
	v_mov_b32_e32 v13, s27
	v_add_co_u32_e32 v18, vcc, s26, v10
	v_addc_co_u32_e32 v19, vcc, v13, v11, vcc
	global_load_ushort v13, v[18:19], off
	s_waitcnt vmcnt(0)
	v_cvt_f32_f16_e32 v13, v13
.LBB71_7:                               ;   in Loop: Header=BB71_3 Depth=1
	global_load_ushort v19, v[6:7], off offset:2
	global_load_ushort v20, v[8:9], off offset:2
	s_and_b64 vcc, exec, s[0:1]
	v_mov_b32_e32 v15, 1.0
	v_mov_b32_e32 v18, 1.0
	s_cbranch_vccnz .LBB71_9
; %bb.8:                                ;   in Loop: Header=BB71_3 Depth=1
	v_mov_b32_e32 v18, s29
	v_add_co_u32_e32 v22, vcc, s28, v10
	v_addc_co_u32_e32 v23, vcc, v18, v11, vcc
	global_load_ushort v18, v[22:23], off
	s_waitcnt vmcnt(0)
	v_cvt_f32_f16_e32 v18, v18
.LBB71_9:                               ;   in Loop: Header=BB71_3 Depth=1
	global_load_ushort v21, v[6:7], off offset:4
	global_load_ushort v22, v[8:9], off offset:4
	s_and_b64 vcc, exec, s[0:1]
	s_cbranch_vccnz .LBB71_2
; %bb.10:                               ;   in Loop: Header=BB71_3 Depth=1
	v_mov_b32_e32 v15, s31
	v_add_co_u32_e32 v10, vcc, s30, v10
	v_addc_co_u32_e32 v11, vcc, v15, v11, vcc
	global_load_ushort v10, v[10:11], off
	s_waitcnt vmcnt(0)
	v_cvt_f32_f16_e32 v15, v10
	s_branch .LBB71_2
.LBB71_11:
	s_or_b64 exec, exec, s[6:7]
.LBB71_12:
	s_or_b64 exec, exec, s[2:3]
	v_cmp_gt_u32_e32 vcc, s18, v4
	s_and_saveexec_b64 s[2:3], vcc
	s_cbranch_execz .LBB71_19
; %bb.13:
	v_mov_b32_e32 v5, 0
	v_lshlrev_b64 v[8:9], 1, v[4:5]
	v_mov_b32_e32 v1, s17
	v_add_co_u32_e32 v6, vcc, s16, v8
	v_addc_co_u32_e32 v7, vcc, v1, v9, vcc
	v_mov_b32_e32 v1, s13
	v_add_co_u32_e32 v5, vcc, s12, v8
	v_addc_co_u32_e32 v1, vcc, v1, v9, vcc
	v_mov_b32_e32 v9, s11
	v_add_co_u32_e32 v8, vcc, s10, v5
	s_cmp_lg_u64 s[16:17], 0
	v_addc_co_u32_e32 v9, vcc, v9, v1, vcc
	v_mov_b32_e32 v11, s9
	v_add_co_u32_e32 v10, vcc, s8, v5
	s_cselect_b64 s[0:1], -1, 0
	v_addc_co_u32_e32 v11, vcc, v11, v1, vcc
	v_cndmask_b32_e64 v1, 0, 1, s[0:1]
	s_mov_b64 s[6:7], 0
	v_cmp_ne_u32_e64 s[0:1], 1, v1
	s_branch .LBB71_16
.LBB71_14:                              ;   in Loop: Header=BB71_16 Depth=1
	global_load_ushort v1, v[6:7], off
	s_waitcnt vmcnt(0)
	v_cvt_f32_f16_e32 v1, v1
.LBB71_15:                              ;   in Loop: Header=BB71_16 Depth=1
	global_load_ushort v5, v[8:9], off
	global_load_ushort v12, v[10:11], off
	v_add_co_u32_e32 v6, vcc, 2, v6
	v_addc_co_u32_e32 v7, vcc, 0, v7, vcc
	v_add_co_u32_e32 v8, vcc, 2, v8
	v_add_u32_e32 v4, 1, v4
	v_addc_co_u32_e32 v9, vcc, 0, v9, vcc
	v_cmp_le_u32_e32 vcc, s18, v4
	s_or_b64 s[6:7], vcc, s[6:7]
	v_add_co_u32_e32 v10, vcc, 2, v10
	v_addc_co_u32_e32 v11, vcc, 0, v11, vcc
	s_waitcnt vmcnt(1)
	v_cvt_f32_f16_e32 v5, v5
	s_waitcnt vmcnt(0)
	v_cvt_f32_f16_e32 v12, v12
	s_waitcnt lgkmcnt(0)
	v_subrev_f32_e32 v5, s19, v5
	v_mul_f32_e32 v13, v1, v12
	v_mul_f32_e32 v1, v5, v13
	;; [unrolled: 1-line block ×3, first 2 shown]
	v_pk_add_f32 v[2:3], v[2:3], v[12:13]
	s_andn2_b64 exec, exec, s[6:7]
	s_cbranch_execz .LBB71_18
.LBB71_16:                              ; =>This Inner Loop Header: Depth=1
	s_and_b64 vcc, exec, s[0:1]
	s_cbranch_vccz .LBB71_14
; %bb.17:                               ;   in Loop: Header=BB71_16 Depth=1
	v_mov_b32_e32 v1, 1.0
	s_branch .LBB71_15
.LBB71_18:
	s_or_b64 exec, exec, s[6:7]
.LBB71_19:
	s_or_b64 exec, exec, s[2:3]
	v_mbcnt_lo_u32_b32 v1, -1, 0
	v_mbcnt_hi_u32_b32 v5, -1, v1
	v_and_b32_e32 v9, 63, v5
	v_cmp_gt_u32_e32 vcc, 32, v9
	v_cndmask_b32_e64 v1, 0, 1, vcc
	v_lshlrev_b32_e32 v1, 5, v1
	v_add_lshl_u32 v1, v1, v5, 2
	ds_bpermute_b32 v4, v1, v3
	v_cmp_gt_u32_e32 vcc, 48, v9
	v_cndmask_b32_e64 v6, 0, 1, vcc
	v_lshlrev_b32_e32 v6, 4, v6
	v_cmp_gt_u32_e32 vcc, 56, v9
	s_waitcnt lgkmcnt(0)
	v_add_f32_e32 v4, v3, v4
	v_add_lshl_u32 v3, v6, v5, 2
	ds_bpermute_b32 v6, v3, v4
	v_cndmask_b32_e64 v7, 0, 1, vcc
	v_lshlrev_b32_e32 v7, 3, v7
	v_cmp_gt_u32_e32 vcc, 60, v9
	v_cndmask_b32_e64 v8, 0, 1, vcc
	s_waitcnt lgkmcnt(0)
	v_add_f32_e32 v4, v4, v6
	v_add_lshl_u32 v6, v7, v5, 2
	ds_bpermute_b32 v7, v6, v4
	v_lshlrev_b32_e32 v8, 2, v8
	v_cmp_gt_u32_e32 vcc, 62, v9
	v_cndmask_b32_e64 v10, 0, 1, vcc
	v_lshlrev_b32_e32 v10, 1, v10
	s_waitcnt lgkmcnt(0)
	v_add_f32_e32 v4, v4, v7
	v_add_lshl_u32 v7, v8, v5, 2
	ds_bpermute_b32 v8, v7, v4
	v_cmp_ne_u32_e32 vcc, 63, v9
	s_waitcnt lgkmcnt(0)
	s_barrier
	v_add_f32_e32 v4, v4, v8
	v_add_lshl_u32 v8, v10, v5, 2
	ds_bpermute_b32 v11, v8, v4
	v_addc_co_u32_e32 v5, vcc, 0, v5, vcc
	v_lshlrev_b32_e32 v9, 2, v5
	v_and_b32_e32 v10, 63, v0
	s_waitcnt lgkmcnt(0)
	v_add_f32_e32 v4, v4, v11
	ds_bpermute_b32 v11, v9, v4
	v_cmp_eq_u32_e32 vcc, 0, v10
	v_lshrrev_b32_e32 v5, 4, v0
	s_and_saveexec_b64 s[0:1], vcc
	s_cbranch_execz .LBB71_21
; %bb.20:
	v_add_u32_e32 v12, 0, v5
	s_waitcnt lgkmcnt(0)
	v_add_f32_e32 v4, v4, v11
	ds_write_b32 v12, v4
.LBB71_21:
	s_or_b64 exec, exec, s[0:1]
	s_waitcnt lgkmcnt(0)
	s_barrier
	s_load_dword s8, s[4:5], 0x44
	v_mov_b32_e32 v4, 0
	v_lshl_add_u32 v10, v10, 2, 0
	s_waitcnt lgkmcnt(0)
	s_bfe_u32 s0, s8, 0xa0006
	v_cmp_gt_u32_e64 s[0:1], s0, v0
	s_and_saveexec_b64 s[2:3], s[0:1]
	s_cbranch_execz .LBB71_23
; %bb.22:
	ds_read_b32 v4, v10
.LBB71_23:
	s_or_b64 exec, exec, s[2:3]
	v_cmp_gt_u32_e64 s[2:3], 64, v0
	s_and_saveexec_b64 s[6:7], s[2:3]
	s_cbranch_execz .LBB71_25
; %bb.24:
	s_waitcnt lgkmcnt(0)
	ds_bpermute_b32 v11, v1, v4
	s_waitcnt lgkmcnt(0)
	v_add_f32_e32 v4, v4, v11
	ds_bpermute_b32 v11, v3, v4
	s_waitcnt lgkmcnt(0)
	v_add_f32_e32 v4, v4, v11
	;; [unrolled: 3-line block ×6, first 2 shown]
.LBB71_25:
	s_or_b64 exec, exec, s[6:7]
	ds_bpermute_b32 v11, v1, v2
	s_waitcnt lgkmcnt(0)
	s_barrier
	v_add_f32_e32 v2, v2, v11
	ds_bpermute_b32 v11, v3, v2
	s_waitcnt lgkmcnt(0)
	v_add_f32_e32 v2, v2, v11
	ds_bpermute_b32 v11, v6, v2
	s_waitcnt lgkmcnt(0)
	;; [unrolled: 3-line block ×4, first 2 shown]
	v_add_f32_e32 v2, v2, v11
	ds_bpermute_b32 v11, v9, v2
	s_and_saveexec_b64 s[6:7], vcc
	s_cbranch_execz .LBB71_27
; %bb.26:
	v_add_u32_e32 v5, 0, v5
	s_waitcnt lgkmcnt(0)
	v_add_f32_e32 v2, v2, v11
	ds_write_b32 v5, v2
.LBB71_27:
	s_or_b64 exec, exec, s[6:7]
	v_mov_b32_e32 v5, 0
	s_waitcnt lgkmcnt(0)
	s_barrier
	s_and_saveexec_b64 s[6:7], s[0:1]
	s_cbranch_execnz .LBB71_38
; %bb.28:
	s_or_b64 exec, exec, s[6:7]
	s_and_saveexec_b64 s[0:1], s[2:3]
	s_cbranch_execnz .LBB71_39
.LBB71_29:
	s_or_b64 exec, exec, s[0:1]
	v_cmp_eq_u32_e32 vcc, 0, v0
	s_and_saveexec_b64 s[0:1], vcc
	s_cbranch_execz .LBB71_31
.LBB71_30:
	v_mov_b32_e32 v1, 0
	s_waitcnt lgkmcnt(0)
	ds_write_b64 v1, v[4:5]
.LBB71_31:
	s_or_b64 exec, exec, s[0:1]
	v_cmp_gt_i32_e32 vcc, s18, v0
	s_waitcnt lgkmcnt(0)
	s_barrier
	s_and_saveexec_b64 s[0:1], vcc
	s_cbranch_execz .LBB71_37
; %bb.32:
	v_cvt_f32_i32_e32 v6, s18
	v_mov_b32_e32 v1, 0
	ds_read_b64 v[2:3], v1
	s_and_b32 s6, s8, 0xffff
	v_div_scale_f32 v4, s[0:1], v6, v6, 1.0
	v_rcp_f32_e32 v5, v4
	s_load_dwordx2 s[0:1], s[4:5], 0x28
	v_div_scale_f32 v1, vcc, 1.0, v6, 1.0
	v_fma_f32 v7, -v4, v5, 1.0
	v_fmac_f32_e32 v5, v7, v5
	v_mul_f32_e32 v7, v1, v5
	v_fma_f32 v8, -v4, v7, v1
	v_fmac_f32_e32 v7, v8, v5
	s_waitcnt lgkmcnt(0)
	s_add_u32 s4, s0, s12
	v_fma_f32 v1, -v4, v7, v1
	s_addc_u32 s5, s1, s13
	v_div_fmas_f32 v1, v1, v5, v7
	s_cmp_lg_u64 s[16:17], 0
	v_div_fixup_f32 v1, v1, v6, 1.0
	s_cselect_b64 s[0:1], -1, 0
	v_mul_f32_e32 v7, s20, v1
	v_cndmask_b32_e64 v1, 0, 1, s[0:1]
	s_mov_b64 s[2:3], 0
	v_mov_b32_e32 v8, s23
	v_mov_b32_e32 v9, s24
	v_cmp_ne_u32_e64 s[0:1], 1, v1
	v_mov_b32_e32 v10, s5
	s_branch .LBB71_35
.LBB71_33:                              ;   in Loop: Header=BB71_35 Depth=1
	v_mov_b32_e32 v13, s17
	v_add_co_u32_e32 v12, vcc, s16, v4
	v_addc_co_u32_e32 v13, vcc, v13, v5, vcc
	global_load_ushort v12, v[12:13], off
	s_waitcnt vmcnt(0)
	v_cvt_f32_f16_e32 v12, v12
.LBB71_34:                              ;   in Loop: Header=BB71_35 Depth=1
	s_waitcnt vmcnt(1)
	v_cvt_f32_f16_e32 v1, v1
	v_mul_f32_e32 v12, v12, v6
	v_add_co_u32_e32 v4, vcc, s4, v4
	v_subrev_f32_e32 v1, s19, v1
	v_mul_f32_e32 v1, s20, v1
	v_mul_f32_e32 v1, v3, v1
	s_waitcnt vmcnt(0)
	v_fma_mix_f32 v1, v12, v11, -v1 op_sel_hi:[0,1,0]
	v_addc_co_u32_e32 v5, vcc, v10, v5, vcc
	v_add_u32_e32 v0, s6, v0
	v_sub_f32_e32 v1, v1, v2
	v_cmp_le_i32_e32 vcc, s18, v0
	v_fma_mixlo_f16 v1, v7, v1, 0
	s_or_b64 s[2:3], vcc, s[2:3]
	global_store_short v[4:5], v1, off
	s_andn2_b64 exec, exec, s[2:3]
	s_cbranch_execz .LBB71_37
.LBB71_35:                              ; =>This Inner Loop Header: Depth=1
	v_ashrrev_i32_e32 v1, 31, v0
	v_lshlrev_b64 v[4:5], 1, v[0:1]
	v_add_co_u32_e32 v12, vcc, s21, v4
	v_addc_co_u32_e32 v13, vcc, v8, v5, vcc
	global_load_ushort v1, v[12:13], off
	v_add_co_u32_e32 v12, vcc, s22, v4
	v_addc_co_u32_e32 v13, vcc, v9, v5, vcc
	global_load_ushort v11, v[12:13], off
	s_and_b64 vcc, exec, s[0:1]
	s_cbranch_vccz .LBB71_33
; %bb.36:                               ;   in Loop: Header=BB71_35 Depth=1
	v_mov_b32_e32 v12, 1.0
	s_branch .LBB71_34
.LBB71_37:
	s_endpgm
.LBB71_38:
	ds_read_b32 v5, v10
	s_or_b64 exec, exec, s[6:7]
	s_and_saveexec_b64 s[0:1], s[2:3]
	s_cbranch_execz .LBB71_29
.LBB71_39:
	s_waitcnt lgkmcnt(0)
	ds_bpermute_b32 v1, v1, v5
	s_waitcnt lgkmcnt(0)
	v_add_f32_e32 v1, v5, v1
	ds_bpermute_b32 v2, v3, v1
	s_waitcnt lgkmcnt(0)
	v_add_f32_e32 v1, v1, v2
	;; [unrolled: 3-line block ×6, first 2 shown]
	s_or_b64 exec, exec, s[0:1]
	v_cmp_eq_u32_e32 vcc, 0, v0
	s_and_saveexec_b64 s[0:1], vcc
	s_cbranch_execnz .LBB71_30
	s_branch .LBB71_31
	.section	.rodata,"a",@progbits
	.p2align	6, 0x0
	.amdhsa_kernel _ZN2at6native12_GLOBAL__N_128layer_norm_grad_input_kernelIN3c104HalfEfLb0EEEvPKT_S7_PKT0_SA_S7_PS5_i
		.amdhsa_group_segment_fixed_size 0
		.amdhsa_private_segment_fixed_size 0
		.amdhsa_kernarg_size 312
		.amdhsa_user_sgpr_count 6
		.amdhsa_user_sgpr_private_segment_buffer 1
		.amdhsa_user_sgpr_dispatch_ptr 0
		.amdhsa_user_sgpr_queue_ptr 0
		.amdhsa_user_sgpr_kernarg_segment_ptr 1
		.amdhsa_user_sgpr_dispatch_id 0
		.amdhsa_user_sgpr_flat_scratch_init 0
		.amdhsa_user_sgpr_kernarg_preload_length 0
		.amdhsa_user_sgpr_kernarg_preload_offset 0
		.amdhsa_user_sgpr_private_segment_size 0
		.amdhsa_uses_dynamic_stack 0
		.amdhsa_system_sgpr_private_segment_wavefront_offset 0
		.amdhsa_system_sgpr_workgroup_id_x 1
		.amdhsa_system_sgpr_workgroup_id_y 0
		.amdhsa_system_sgpr_workgroup_id_z 0
		.amdhsa_system_sgpr_workgroup_info 0
		.amdhsa_system_vgpr_workitem_id 0
		.amdhsa_next_free_vgpr 25
		.amdhsa_next_free_sgpr 32
		.amdhsa_accum_offset 28
		.amdhsa_reserve_vcc 1
		.amdhsa_reserve_flat_scratch 0
		.amdhsa_float_round_mode_32 0
		.amdhsa_float_round_mode_16_64 0
		.amdhsa_float_denorm_mode_32 3
		.amdhsa_float_denorm_mode_16_64 3
		.amdhsa_dx10_clamp 1
		.amdhsa_ieee_mode 1
		.amdhsa_fp16_overflow 0
		.amdhsa_tg_split 0
		.amdhsa_exception_fp_ieee_invalid_op 0
		.amdhsa_exception_fp_denorm_src 0
		.amdhsa_exception_fp_ieee_div_zero 0
		.amdhsa_exception_fp_ieee_overflow 0
		.amdhsa_exception_fp_ieee_underflow 0
		.amdhsa_exception_fp_ieee_inexact 0
		.amdhsa_exception_int_div_zero 0
	.end_amdhsa_kernel
	.section	.text._ZN2at6native12_GLOBAL__N_128layer_norm_grad_input_kernelIN3c104HalfEfLb0EEEvPKT_S7_PKT0_SA_S7_PS5_i,"axG",@progbits,_ZN2at6native12_GLOBAL__N_128layer_norm_grad_input_kernelIN3c104HalfEfLb0EEEvPKT_S7_PKT0_SA_S7_PS5_i,comdat
.Lfunc_end71:
	.size	_ZN2at6native12_GLOBAL__N_128layer_norm_grad_input_kernelIN3c104HalfEfLb0EEEvPKT_S7_PKT0_SA_S7_PS5_i, .Lfunc_end71-_ZN2at6native12_GLOBAL__N_128layer_norm_grad_input_kernelIN3c104HalfEfLb0EEEvPKT_S7_PKT0_SA_S7_PS5_i
                                        ; -- End function
	.section	.AMDGPU.csdata,"",@progbits
; Kernel info:
; codeLenInByte = 2100
; NumSgprs: 36
; NumVgprs: 25
; NumAgprs: 0
; TotalNumVgprs: 25
; ScratchSize: 0
; MemoryBound: 0
; FloatMode: 240
; IeeeMode: 1
; LDSByteSize: 0 bytes/workgroup (compile time only)
; SGPRBlocks: 4
; VGPRBlocks: 3
; NumSGPRsForWavesPerEU: 36
; NumVGPRsForWavesPerEU: 25
; AccumOffset: 28
; Occupancy: 8
; WaveLimiterHint : 0
; COMPUTE_PGM_RSRC2:SCRATCH_EN: 0
; COMPUTE_PGM_RSRC2:USER_SGPR: 6
; COMPUTE_PGM_RSRC2:TRAP_HANDLER: 0
; COMPUTE_PGM_RSRC2:TGID_X_EN: 1
; COMPUTE_PGM_RSRC2:TGID_Y_EN: 0
; COMPUTE_PGM_RSRC2:TGID_Z_EN: 0
; COMPUTE_PGM_RSRC2:TIDIG_COMP_CNT: 0
; COMPUTE_PGM_RSRC3_GFX90A:ACCUM_OFFSET: 6
; COMPUTE_PGM_RSRC3_GFX90A:TG_SPLIT: 0
	.section	.text._ZN2at6native12_GLOBAL__N_133GammaBetaBackwardSimpleCUDAKernelIN3c104HalfEfLb0EEEvllPKT_S7_PKT0_SA_PS5_SB_,"axG",@progbits,_ZN2at6native12_GLOBAL__N_133GammaBetaBackwardSimpleCUDAKernelIN3c104HalfEfLb0EEEvllPKT_S7_PKT0_SA_PS5_SB_,comdat
	.globl	_ZN2at6native12_GLOBAL__N_133GammaBetaBackwardSimpleCUDAKernelIN3c104HalfEfLb0EEEvllPKT_S7_PKT0_SA_PS5_SB_ ; -- Begin function _ZN2at6native12_GLOBAL__N_133GammaBetaBackwardSimpleCUDAKernelIN3c104HalfEfLb0EEEvllPKT_S7_PKT0_SA_PS5_SB_
	.p2align	8
	.type	_ZN2at6native12_GLOBAL__N_133GammaBetaBackwardSimpleCUDAKernelIN3c104HalfEfLb0EEEvllPKT_S7_PKT0_SA_PS5_SB_,@function
_ZN2at6native12_GLOBAL__N_133GammaBetaBackwardSimpleCUDAKernelIN3c104HalfEfLb0EEEvllPKT_S7_PKT0_SA_PS5_SB_: ; @_ZN2at6native12_GLOBAL__N_133GammaBetaBackwardSimpleCUDAKernelIN3c104HalfEfLb0EEEvllPKT_S7_PKT0_SA_PS5_SB_
; %bb.0:
	s_load_dword s0, s[4:5], 0x4c
	s_load_dwordx16 s[8:23], s[4:5], 0x0
	v_mov_b32_e32 v1, 0
	v_mov_b32_e32 v2, s6
	s_waitcnt lgkmcnt(0)
	s_and_b32 s0, s0, 0xffff
	v_mad_u64_u32 v[2:3], s[0:1], s0, v2, v[0:1]
	v_cmp_gt_i64_e32 vcc, s[10:11], v[2:3]
	s_and_saveexec_b64 s[0:1], vcc
	s_cbranch_execz .LBB72_13
; %bb.1:
	v_cmp_lt_i64_e64 s[0:1], s[8:9], 1
	s_and_b64 vcc, exec, s[0:1]
	v_lshlrev_b64 v[2:3], 1, v[2:3]
	v_mov_b32_e32 v0, 0
	s_cbranch_vccnz .LBB72_9
; %bb.2:
	s_cmp_lg_u64 s[20:21], 0
	s_cselect_b64 s[0:1], -1, 0
	s_cmp_lg_u64 s[22:23], 0
	s_cselect_b64 s[2:3], -1, 0
	v_cndmask_b32_e64 v0, 0, 1, s[0:1]
	s_lshl_b64 s[4:5], s[10:11], 1
	v_cmp_ne_u32_e64 s[0:1], 1, v0
	v_cndmask_b32_e64 v0, 0, 1, s[2:3]
	v_mov_b32_e32 v4, 0
	v_cmp_ne_u32_e64 s[2:3], 1, v0
	v_mov_b32_e32 v5, s5
	v_pk_mov_b32 v[0:1], v[2:3], v[2:3] op_sel:[0,1]
	v_mov_b32_e32 v6, 0
	s_branch .LBB72_4
.LBB72_3:                               ;   in Loop: Header=BB72_4 Depth=1
	s_add_u32 s8, s8, -1
	s_addc_u32 s9, s9, -1
	s_add_u32 s18, s18, 4
	s_addc_u32 s19, s19, 0
	s_add_u32 s16, s16, 4
	s_addc_u32 s17, s17, 0
	v_add_co_u32_e32 v0, vcc, s4, v0
	v_add_f32_e32 v4, v4, v7
	v_add_f32_e32 v6, v6, v8
	s_cmp_eq_u64 s[8:9], 0
	v_addc_co_u32_e32 v1, vcc, v1, v5, vcc
	s_cbranch_scc1 .LBB72_8
.LBB72_4:                               ; =>This Inner Loop Header: Depth=1
	s_and_b64 vcc, exec, s[0:1]
	v_mov_b32_e32 v7, 0
	s_cbranch_vccnz .LBB72_6
; %bb.5:                                ;   in Loop: Header=BB72_4 Depth=1
	v_mov_b32_e32 v7, s13
	v_add_co_u32_e32 v8, vcc, s12, v0
	v_addc_co_u32_e32 v9, vcc, v7, v1, vcc
	global_load_ushort v7, v[8:9], off
	v_mov_b32_e32 v9, s15
	v_add_co_u32_e32 v8, vcc, s14, v0
	v_addc_co_u32_e32 v9, vcc, v9, v1, vcc
	global_load_ushort v8, v[8:9], off
	s_load_dword s5, s[16:17], 0x0
	s_load_dword s6, s[18:19], 0x0
	s_waitcnt vmcnt(1)
	v_cvt_f32_f16_e32 v7, v7
	s_waitcnt vmcnt(0)
	v_cvt_f32_f16_e32 v8, v8
	s_waitcnt lgkmcnt(0)
	v_subrev_f32_e32 v8, s5, v8
	v_mul_f32_e32 v7, v8, v7
	v_mul_f32_e32 v7, s6, v7
.LBB72_6:                               ;   in Loop: Header=BB72_4 Depth=1
	s_and_b64 vcc, exec, s[2:3]
	v_mov_b32_e32 v8, 0
	s_cbranch_vccnz .LBB72_3
; %bb.7:                                ;   in Loop: Header=BB72_4 Depth=1
	v_mov_b32_e32 v9, s13
	v_add_co_u32_e32 v8, vcc, s12, v0
	v_addc_co_u32_e32 v9, vcc, v9, v1, vcc
	global_load_ushort v8, v[8:9], off
	s_waitcnt vmcnt(0)
	v_cvt_f32_f16_e32 v8, v8
	s_branch .LBB72_3
.LBB72_8:
	v_cvt_f16_f32_e32 v1, v4
	v_cvt_f16_f32_e32 v0, v6
.LBB72_9:
	s_cmp_lg_u64 s[20:21], 0
	s_cbranch_scc0 .LBB72_11
; %bb.10:
	v_mov_b32_e32 v5, s21
	v_add_co_u32_e32 v4, vcc, s20, v2
	v_addc_co_u32_e32 v5, vcc, v5, v3, vcc
	global_store_short v[4:5], v1, off
.LBB72_11:
	s_cmp_eq_u64 s[22:23], 0
	s_cbranch_scc1 .LBB72_13
; %bb.12:
	v_mov_b32_e32 v1, s23
	v_add_co_u32_e32 v2, vcc, s22, v2
	v_addc_co_u32_e32 v3, vcc, v1, v3, vcc
	global_store_short v[2:3], v0, off
.LBB72_13:
	s_endpgm
	.section	.rodata,"a",@progbits
	.p2align	6, 0x0
	.amdhsa_kernel _ZN2at6native12_GLOBAL__N_133GammaBetaBackwardSimpleCUDAKernelIN3c104HalfEfLb0EEEvllPKT_S7_PKT0_SA_PS5_SB_
		.amdhsa_group_segment_fixed_size 0
		.amdhsa_private_segment_fixed_size 0
		.amdhsa_kernarg_size 320
		.amdhsa_user_sgpr_count 6
		.amdhsa_user_sgpr_private_segment_buffer 1
		.amdhsa_user_sgpr_dispatch_ptr 0
		.amdhsa_user_sgpr_queue_ptr 0
		.amdhsa_user_sgpr_kernarg_segment_ptr 1
		.amdhsa_user_sgpr_dispatch_id 0
		.amdhsa_user_sgpr_flat_scratch_init 0
		.amdhsa_user_sgpr_kernarg_preload_length 0
		.amdhsa_user_sgpr_kernarg_preload_offset 0
		.amdhsa_user_sgpr_private_segment_size 0
		.amdhsa_uses_dynamic_stack 0
		.amdhsa_system_sgpr_private_segment_wavefront_offset 0
		.amdhsa_system_sgpr_workgroup_id_x 1
		.amdhsa_system_sgpr_workgroup_id_y 0
		.amdhsa_system_sgpr_workgroup_id_z 0
		.amdhsa_system_sgpr_workgroup_info 0
		.amdhsa_system_vgpr_workitem_id 0
		.amdhsa_next_free_vgpr 10
		.amdhsa_next_free_sgpr 24
		.amdhsa_accum_offset 12
		.amdhsa_reserve_vcc 1
		.amdhsa_reserve_flat_scratch 0
		.amdhsa_float_round_mode_32 0
		.amdhsa_float_round_mode_16_64 0
		.amdhsa_float_denorm_mode_32 3
		.amdhsa_float_denorm_mode_16_64 3
		.amdhsa_dx10_clamp 1
		.amdhsa_ieee_mode 1
		.amdhsa_fp16_overflow 0
		.amdhsa_tg_split 0
		.amdhsa_exception_fp_ieee_invalid_op 0
		.amdhsa_exception_fp_denorm_src 0
		.amdhsa_exception_fp_ieee_div_zero 0
		.amdhsa_exception_fp_ieee_overflow 0
		.amdhsa_exception_fp_ieee_underflow 0
		.amdhsa_exception_fp_ieee_inexact 0
		.amdhsa_exception_int_div_zero 0
	.end_amdhsa_kernel
	.section	.text._ZN2at6native12_GLOBAL__N_133GammaBetaBackwardSimpleCUDAKernelIN3c104HalfEfLb0EEEvllPKT_S7_PKT0_SA_PS5_SB_,"axG",@progbits,_ZN2at6native12_GLOBAL__N_133GammaBetaBackwardSimpleCUDAKernelIN3c104HalfEfLb0EEEvllPKT_S7_PKT0_SA_PS5_SB_,comdat
.Lfunc_end72:
	.size	_ZN2at6native12_GLOBAL__N_133GammaBetaBackwardSimpleCUDAKernelIN3c104HalfEfLb0EEEvllPKT_S7_PKT0_SA_PS5_SB_, .Lfunc_end72-_ZN2at6native12_GLOBAL__N_133GammaBetaBackwardSimpleCUDAKernelIN3c104HalfEfLb0EEEvllPKT_S7_PKT0_SA_PS5_SB_
                                        ; -- End function
	.section	.AMDGPU.csdata,"",@progbits
; Kernel info:
; codeLenInByte = 420
; NumSgprs: 28
; NumVgprs: 10
; NumAgprs: 0
; TotalNumVgprs: 10
; ScratchSize: 0
; MemoryBound: 0
; FloatMode: 240
; IeeeMode: 1
; LDSByteSize: 0 bytes/workgroup (compile time only)
; SGPRBlocks: 3
; VGPRBlocks: 1
; NumSGPRsForWavesPerEU: 28
; NumVGPRsForWavesPerEU: 10
; AccumOffset: 12
; Occupancy: 8
; WaveLimiterHint : 0
; COMPUTE_PGM_RSRC2:SCRATCH_EN: 0
; COMPUTE_PGM_RSRC2:USER_SGPR: 6
; COMPUTE_PGM_RSRC2:TRAP_HANDLER: 0
; COMPUTE_PGM_RSRC2:TGID_X_EN: 1
; COMPUTE_PGM_RSRC2:TGID_Y_EN: 0
; COMPUTE_PGM_RSRC2:TGID_Z_EN: 0
; COMPUTE_PGM_RSRC2:TIDIG_COMP_CNT: 0
; COMPUTE_PGM_RSRC3_GFX90A:ACCUM_OFFSET: 2
; COMPUTE_PGM_RSRC3_GFX90A:TG_SPLIT: 0
	.section	.text._ZN2at6native12_GLOBAL__N_135GammaBetaBackwardCUDAKernelTemplateIN3c104HalfEfLj64ELj1ELj32ELb1ELb1ELb0EEEvllPKT_S7_PKT0_SA_PS5_SB_,"axG",@progbits,_ZN2at6native12_GLOBAL__N_135GammaBetaBackwardCUDAKernelTemplateIN3c104HalfEfLj64ELj1ELj32ELb1ELb1ELb0EEEvllPKT_S7_PKT0_SA_PS5_SB_,comdat
	.globl	_ZN2at6native12_GLOBAL__N_135GammaBetaBackwardCUDAKernelTemplateIN3c104HalfEfLj64ELj1ELj32ELb1ELb1ELb0EEEvllPKT_S7_PKT0_SA_PS5_SB_ ; -- Begin function _ZN2at6native12_GLOBAL__N_135GammaBetaBackwardCUDAKernelTemplateIN3c104HalfEfLj64ELj1ELj32ELb1ELb1ELb0EEEvllPKT_S7_PKT0_SA_PS5_SB_
	.p2align	8
	.type	_ZN2at6native12_GLOBAL__N_135GammaBetaBackwardCUDAKernelTemplateIN3c104HalfEfLj64ELj1ELj32ELb1ELb1ELb0EEEvllPKT_S7_PKT0_SA_PS5_SB_,@function
_ZN2at6native12_GLOBAL__N_135GammaBetaBackwardCUDAKernelTemplateIN3c104HalfEfLj64ELj1ELj32ELb1ELb1ELb0EEEvllPKT_S7_PKT0_SA_PS5_SB_: ; @_ZN2at6native12_GLOBAL__N_135GammaBetaBackwardCUDAKernelTemplateIN3c104HalfEfLj64ELj1ELj32ELb1ELb1ELb0EEEvllPKT_S7_PKT0_SA_PS5_SB_
; %bb.0:
	s_load_dwordx4 s[16:19], s[4:5], 0x0
	s_lshl_b32 s24, s7, 5
	s_mov_b32 s25, 0
	s_mov_b32 s2, s7
	v_bfe_u32 v12, v0, 10, 10
	s_waitcnt lgkmcnt(0)
	v_pk_mov_b32 v[2:3], s[16:17], s[16:17] op_sel:[0,1]
	v_cmp_lt_i64_e32 vcc, s[24:25], v[2:3]
	s_cbranch_vccnz .LBB73_2
; %bb.1:
	s_add_u32 s26, s4, 64
	s_addc_u32 s27, s5, 0
	s_mov_b64 s[0:1], 0
	v_bfe_u32 v2, v0, 10, 10
	s_branch .LBB73_3
.LBB73_2:
	s_mov_b64 s[0:1], -1
                                        ; implicit-def: $sgpr26_sgpr27
                                        ; implicit-def: $vgpr2
.LBB73_3:
	s_load_dwordx4 s[20:23], s[4:5], 0x30
	v_and_b32_e32 v13, 0x3ff, v0
	s_andn2_b64 vcc, exec, s[0:1]
	v_mov_b32_e32 v4, s25
	s_cbranch_vccnz .LBB73_11
; %bb.4:
	s_load_dword s0, s[4:5], 0x4c
	s_load_dword s3, s[4:5], 0x44
	s_load_dwordx8 s[8:15], s[4:5], 0x10
	v_mbcnt_lo_u32_b32 v2, -1, 0
	s_add_u32 s26, s4, 64
	v_mbcnt_hi_u32_b32 v2, -1, v2
	s_addc_u32 s27, s5, 0
	s_waitcnt lgkmcnt(0)
	s_and_b32 s0, s0, 0xffff
	v_lshlrev_b32_e32 v1, 5, v12
	v_lshlrev_b32_e32 v2, 2, v2
	v_mad_u32_u24 v0, v12, s0, v13
	v_and_b32_e32 v14, 0x100, v2
	v_mov_b32_e32 v2, s25
	v_add_co_u32_e32 v4, vcc, s24, v1
	v_and_b32_e32 v0, 63, v0
	v_addc_co_u32_e32 v5, vcc, 0, v2, vcc
	v_cmp_gt_u32_e64 s[0:1], 32, v0
	v_add_co_u32_e32 v0, vcc, v4, v0
	v_addc_co_u32_e32 v1, vcc, 0, v5, vcc
	v_mul_lo_u32 v8, s19, v4
	v_mul_lo_u32 v9, s18, v5
	v_mad_u64_u32 v[4:5], s[30:31], s18, v4, 0
	v_mov_b32_e32 v7, 0
	v_lshl_add_u32 v6, s6, 6, v13
	s_lshl_b32 s4, s3, 5
	v_add3_u32 v5, v5, v9, v8
	v_lshlrev_b64 v[4:5], 1, v[4:5]
	v_lshlrev_b64 v[8:9], 1, v[6:7]
	s_mul_i32 s3, s19, s4
	s_mul_hi_u32 s7, s18, s4
	s_mov_b32 s5, 0
	v_add_co_u32_e32 v4, vcc, v4, v8
	s_add_i32 s31, s7, s3
	s_mul_i32 s30, s18, s4
	v_or_b32_e32 v15, 4, v14
	v_or_b32_e32 v16, 8, v14
	;; [unrolled: 1-line block ×31, first 2 shown]
	v_lshlrev_b64 v[2:3], 2, v[0:1]
	s_lshl_b64 s[28:29], s[4:5], 2
	v_addc_co_u32_e32 v5, vcc, v5, v9, vcc
	s_lshl_b64 s[30:31], s[30:31], 1
	s_lshl_b64 s[34:35], s[18:19], 1
	v_mov_b32_e32 v6, v7
	s_branch .LBB73_7
.LBB73_5:                               ;   in Loop: Header=BB73_7 Depth=1
	s_or_b64 exec, exec, s[38:39]
.LBB73_6:                               ;   in Loop: Header=BB73_7 Depth=1
	s_or_b64 exec, exec, s[36:37]
	v_mov_b32_e32 v9, s11
	v_add_co_u32_e32 v8, vcc, s10, v4
	v_addc_co_u32_e32 v9, vcc, v9, v5, vcc
	global_load_ushort v49, v[8:9], off
	v_mov_b32_e32 v11, s9
	v_add_co_u32_e32 v10, vcc, s8, v4
	v_addc_co_u32_e32 v11, vcc, v11, v5, vcc
	v_mov_b32_e32 v48, s35
	v_add_co_u32_e32 v8, vcc, s34, v8
	global_load_ushort v50, v[10:11], off
	v_addc_co_u32_e32 v9, vcc, v9, v48, vcc
	global_load_ushort v52, v[8:9], off
	v_add_co_u32_e32 v10, vcc, s34, v10
	v_addc_co_u32_e32 v11, vcc, v11, v48, vcc
	v_add_co_u32_e32 v56, vcc, s34, v8
	v_addc_co_u32_e32 v57, vcc, v9, v48, vcc
	global_load_ushort v51, v[10:11], off
	v_add_co_u32_e32 v8, vcc, s34, v10
	global_load_ushort v53, v[56:57], off
	v_addc_co_u32_e32 v9, vcc, v11, v48, vcc
	global_load_ushort v54, v[8:9], off
	v_add_co_u32_e32 v10, vcc, s34, v56
	v_addc_co_u32_e32 v11, vcc, v57, v48, vcc
	global_load_ushort v55, v[10:11], off
	v_add_co_u32_e32 v10, vcc, s34, v10
	v_addc_co_u32_e32 v11, vcc, v11, v48, vcc
	v_add_co_u32_e32 v8, vcc, s34, v8
	v_addc_co_u32_e32 v9, vcc, v9, v48, vcc
	global_load_ushort v61, v[8:9], off
	v_add_co_u32_e32 v8, vcc, s34, v8
	v_addc_co_u32_e32 v9, vcc, v9, v48, vcc
	global_load_ushort v60, v[10:11], off
	v_add_co_u32_e32 v10, vcc, s34, v10
	global_load_ushort v62, v[8:9], off
	v_addc_co_u32_e32 v11, vcc, v11, v48, vcc
	v_add_co_u32_e32 v8, vcc, s34, v8
	global_load_ushort v63, v[10:11], off
	v_addc_co_u32_e32 v9, vcc, v9, v48, vcc
	v_add_co_u32_e32 v56, vcc, s34, v10
	v_addc_co_u32_e32 v57, vcc, v11, v48, vcc
	v_add_co_u32_e32 v10, vcc, s34, v8
	global_load_ushort v64, v[8:9], off
	global_load_ushort v65, v[56:57], off
	v_addc_co_u32_e32 v11, vcc, v9, v48, vcc
	global_load_ushort v66, v[10:11], off
	v_add_co_u32_e32 v8, vcc, s34, v56
	v_addc_co_u32_e32 v9, vcc, v57, v48, vcc
	v_add_co_u32_e32 v56, vcc, s34, v10
	v_addc_co_u32_e32 v57, vcc, v11, v48, vcc
	v_add_co_u32_e32 v10, vcc, s34, v8
	global_load_ushort v67, v[8:9], off
	v_addc_co_u32_e32 v11, vcc, v9, v48, vcc
	v_add_co_u32_e32 v8, vcc, s34, v56
	global_load_ushort v68, v[56:57], off
	global_load_ushort v69, v[10:11], off
	v_addc_co_u32_e32 v9, vcc, v57, v48, vcc
	v_add_co_u32_e32 v10, vcc, s34, v10
	v_addc_co_u32_e32 v11, vcc, v11, v48, vcc
	global_load_ushort v70, v[8:9], off
	global_load_ushort v71, v[10:11], off
	v_add_co_u32_e32 v8, vcc, s34, v8
	v_addc_co_u32_e32 v9, vcc, v9, v48, vcc
	global_load_ushort v72, v[8:9], off
	v_add_co_u32_e32 v10, vcc, s34, v10
	v_addc_co_u32_e32 v11, vcc, v11, v48, vcc
	v_add_co_u32_e32 v56, vcc, s34, v8
	global_load_ushort v73, v[10:11], off
	v_addc_co_u32_e32 v57, vcc, v9, v48, vcc
	global_load_ushort v74, v[56:57], off
	s_waitcnt vmcnt(23)
	ds_bpermute_b32 v8, v14, v47
	s_waitcnt vmcnt(21)
	v_cvt_f32_f16_e32 v9, v49
	ds_bpermute_b32 v49, v14, v46
	s_waitcnt vmcnt(20)
	v_cvt_f32_f16_e32 v58, v50
	s_waitcnt vmcnt(19)
	v_cvt_f32_f16_e32 v50, v52
	s_waitcnt lgkmcnt(1)
	v_sub_f32_e32 v8, v9, v8
	ds_bpermute_b32 v9, v15, v47
	v_mul_f32_e32 v8, v8, v58
	s_waitcnt lgkmcnt(1)
	v_mul_f32_e32 v59, v8, v49
	ds_bpermute_b32 v8, v15, v46
	ds_bpermute_b32 v49, v16, v47
	s_waitcnt lgkmcnt(2)
	v_sub_f32_e32 v9, v50, v9
	s_waitcnt vmcnt(18)
	v_cvt_f32_f16_e32 v50, v51
	s_waitcnt vmcnt(17)
	v_cvt_f32_f16_e32 v53, v53
	ds_bpermute_b32 v75, v16, v46
	s_waitcnt vmcnt(16)
	v_cvt_f32_f16_e32 v52, v54
	v_mul_f32_e32 v9, v9, v50
	s_waitcnt lgkmcnt(2)
	v_mul_f32_e32 v51, v9, v8
	s_waitcnt lgkmcnt(1)
	v_sub_f32_e32 v8, v53, v49
	v_mul_f32_e32 v8, v8, v52
	s_waitcnt lgkmcnt(0)
	v_mul_f32_e32 v53, v8, v75
	ds_bpermute_b32 v8, v17, v47
	s_waitcnt vmcnt(15)
	v_cvt_f32_f16_e32 v9, v55
	ds_bpermute_b32 v49, v18, v47
	s_waitcnt vmcnt(13)
	v_cvt_f32_f16_e32 v55, v60
	v_cvt_f32_f16_e32 v54, v61
	s_waitcnt lgkmcnt(1)
	v_sub_f32_e32 v8, v9, v8
	ds_bpermute_b32 v9, v17, v46
	s_waitcnt vmcnt(12)
	v_cvt_f32_f16_e32 v60, v62
	ds_bpermute_b32 v61, v18, v46
	ds_bpermute_b32 v62, v19, v47
	s_waitcnt vmcnt(11)
	v_cvt_f32_f16_e32 v63, v63
	s_waitcnt lgkmcnt(3)
	v_sub_f32_e32 v49, v55, v49
	v_mul_f32_e32 v8, v8, v54
	s_waitcnt lgkmcnt(2)
	v_mul_f32_e32 v55, v8, v9
	v_mul_f32_e32 v8, v49, v60
	s_waitcnt lgkmcnt(1)
	v_mul_f32_e32 v61, v8, v61
	s_waitcnt lgkmcnt(0)
	v_sub_f32_e32 v8, v63, v62
	s_waitcnt vmcnt(10)
	v_cvt_f32_f16_e32 v62, v64
	ds_bpermute_b32 v9, v19, v46
	s_waitcnt vmcnt(9)
	v_cvt_f32_f16_e32 v49, v65
	ds_bpermute_b32 v65, v20, v47
	;; [unrolled: 3-line block ×3, first 2 shown]
	v_mul_f32_e32 v8, v8, v62
	s_waitcnt lgkmcnt(2)
	v_mul_f32_e32 v63, v8, v9
	s_waitcnt lgkmcnt(1)
	v_sub_f32_e32 v8, v49, v65
	v_mul_f32_e32 v8, v8, v64
	ds_bpermute_b32 v9, v21, v47
	s_waitcnt lgkmcnt(1)
	v_mul_f32_e32 v65, v8, v66
	ds_bpermute_b32 v49, v21, v46
	v_add_co_u32_e32 v10, vcc, s34, v10
	s_waitcnt vmcnt(7)
	v_cvt_f32_f16_e32 v8, v67
	v_addc_co_u32_e32 v11, vcc, v11, v48, vcc
	s_waitcnt vmcnt(6)
	v_cvt_f32_f16_e32 v66, v68
	ds_bpermute_b32 v68, v22, v47
	s_waitcnt vmcnt(5)
	v_cvt_f32_f16_e32 v69, v69
	s_waitcnt lgkmcnt(2)
	v_sub_f32_e32 v8, v8, v9
	v_mul_f32_e32 v8, v8, v66
	s_waitcnt lgkmcnt(1)
	v_mul_f32_e32 v67, v8, v49
	s_waitcnt lgkmcnt(0)
	v_sub_f32_e32 v9, v69, v68
	s_waitcnt vmcnt(4)
	v_cvt_f32_f16_e32 v68, v70
	ds_bpermute_b32 v49, v22, v46
	s_waitcnt vmcnt(3)
	v_cvt_f32_f16_e32 v70, v71
	ds_bpermute_b32 v71, v23, v47
	v_mul_f32_e32 v9, v9, v68
	v_pk_add_f32 v[6:7], v[6:7], v[58:59]
	s_waitcnt vmcnt(2)
	v_cvt_f32_f16_e32 v8, v72
	ds_bpermute_b32 v72, v23, v46
	s_waitcnt lgkmcnt(2)
	v_mul_f32_e32 v69, v9, v49
	s_waitcnt lgkmcnt(1)
	v_sub_f32_e32 v9, v70, v71
	ds_bpermute_b32 v71, v24, v47
	v_mul_f32_e32 v9, v9, v8
	s_waitcnt lgkmcnt(1)
	v_mul_f32_e32 v9, v9, v72
	s_waitcnt vmcnt(1)
	v_cvt_f32_f16_e32 v49, v73
	ds_bpermute_b32 v72, v24, v46
	v_add_co_u32_e32 v56, vcc, s34, v56
	s_waitcnt vmcnt(0)
	v_cvt_f32_f16_e32 v70, v74
	s_waitcnt lgkmcnt(1)
	v_sub_f32_e32 v49, v49, v71
	v_pk_add_f32 v[6:7], v[6:7], v[50:51]
	v_addc_co_u32_e32 v57, vcc, v57, v48, vcc
	v_mul_f32_e32 v49, v49, v70
	v_pk_add_f32 v[6:7], v[6:7], v[52:53]
	s_waitcnt lgkmcnt(0)
	v_mul_f32_e32 v71, v49, v72
	v_pk_add_f32 v[6:7], v[6:7], v[54:55]
	global_load_ushort v49, v[56:57], off
	global_load_ushort v54, v[10:11], off
	v_add_co_u32_e32 v50, vcc, s34, v56
	v_addc_co_u32_e32 v51, vcc, v57, v48, vcc
	v_add_co_u32_e32 v10, vcc, s34, v10
	v_addc_co_u32_e32 v11, vcc, v11, v48, vcc
	global_load_ushort v56, v[50:51], off
	global_load_ushort v57, v[10:11], off
	v_add_co_u32_e32 v52, vcc, s34, v50
	v_addc_co_u32_e32 v53, vcc, v51, v48, vcc
	v_add_co_u32_e32 v10, vcc, s34, v10
	v_addc_co_u32_e32 v11, vcc, v11, v48, vcc
	;; [unrolled: 6-line block ×3, first 2 shown]
	v_pk_add_f32 v[6:7], v[6:7], v[60:61]
	global_load_ushort v60, v[10:11], off
	global_load_ushort v61, v[50:51], off
	v_add_co_u32_e32 v52, vcc, s34, v10
	v_addc_co_u32_e32 v53, vcc, v11, v48, vcc
	v_add_co_u32_e32 v10, vcc, s34, v50
	v_addc_co_u32_e32 v11, vcc, v51, v48, vcc
	v_add_co_u32_e32 v50, vcc, s34, v52
	v_pk_add_f32 v[6:7], v[6:7], v[62:63]
	global_load_ushort v62, v[52:53], off
	global_load_ushort v63, v[10:11], off
	v_addc_co_u32_e32 v51, vcc, v53, v48, vcc
	v_pk_add_f32 v[6:7], v[6:7], v[64:65]
	v_add_co_u32_e32 v10, vcc, s34, v10
	global_load_ushort v64, v[50:51], off
	v_addc_co_u32_e32 v11, vcc, v11, v48, vcc
	v_add_co_u32_e32 v52, vcc, s34, v50
	v_addc_co_u32_e32 v53, vcc, v51, v48, vcc
	v_add_co_u32_e32 v50, vcc, s34, v10
	global_load_ushort v65, v[10:11], off
	v_pk_add_f32 v[6:7], v[6:7], v[66:67]
	v_addc_co_u32_e32 v51, vcc, v11, v48, vcc
	global_load_ushort v66, v[52:53], off
	global_load_ushort v67, v[50:51], off
	v_add_co_u32_e32 v10, vcc, s34, v52
	v_addc_co_u32_e32 v11, vcc, v53, v48, vcc
	v_add_co_u32_e32 v52, vcc, s34, v50
	v_addc_co_u32_e32 v53, vcc, v51, v48, vcc
	v_add_co_u32_e32 v50, vcc, s34, v10
	global_load_ushort v72, v[10:11], off
	v_addc_co_u32_e32 v51, vcc, v11, v48, vcc
	v_add_co_u32_e32 v10, vcc, s34, v52
	global_load_ushort v73, v[52:53], off
	global_load_ushort v74, v[50:51], off
	v_addc_co_u32_e32 v11, vcc, v53, v48, vcc
	v_add_co_u32_e32 v50, vcc, s34, v50
	v_addc_co_u32_e32 v51, vcc, v51, v48, vcc
	global_load_ushort v75, v[10:11], off
	global_load_ushort v76, v[50:51], off
	v_add_co_u32_e32 v10, vcc, s34, v10
	v_addc_co_u32_e32 v11, vcc, v11, v48, vcc
	global_load_ushort v77, v[10:11], off
	v_add_co_u32_e32 v50, vcc, s34, v50
	v_addc_co_u32_e32 v51, vcc, v51, v48, vcc
	v_add_co_u32_e32 v10, vcc, s34, v10
	global_load_ushort v78, v[50:51], off
	v_addc_co_u32_e32 v11, vcc, v11, v48, vcc
	global_load_ushort v79, v[10:11], off
	v_pk_add_f32 v[6:7], v[6:7], v[68:69]
	v_pk_add_f32 v[6:7], v[6:7], v[8:9]
	ds_bpermute_b32 v8, v25, v47
	s_waitcnt vmcnt(20)
	v_cvt_f32_f16_e32 v9, v54
	v_cvt_f32_f16_e32 v52, v49
	v_pk_add_f32 v[54:55], v[6:7], v[70:71]
	ds_bpermute_b32 v6, v25, v46
	s_waitcnt lgkmcnt(1)
	v_sub_f32_e32 v7, v9, v8
	ds_bpermute_b32 v8, v26, v47
	s_waitcnt vmcnt(18)
	v_cvt_f32_f16_e32 v9, v57
	v_mul_f32_e32 v7, v7, v52
	s_waitcnt lgkmcnt(1)
	v_mul_f32_e32 v53, v7, v6
	v_cvt_f32_f16_e32 v56, v56
	ds_bpermute_b32 v6, v26, v46
	s_waitcnt lgkmcnt(1)
	v_sub_f32_e32 v7, v9, v8
	ds_bpermute_b32 v8, v27, v47
	s_waitcnt vmcnt(16)
	v_cvt_f32_f16_e32 v9, v59
	v_mul_f32_e32 v7, v7, v56
	s_waitcnt lgkmcnt(1)
	v_mul_f32_e32 v57, v7, v6
	v_cvt_f32_f16_e32 v58, v58
	s_waitcnt lgkmcnt(0)
	v_sub_f32_e32 v6, v9, v8
	ds_bpermute_b32 v7, v27, v46
	ds_bpermute_b32 v8, v28, v47
	s_waitcnt vmcnt(15)
	v_cvt_f32_f16_e32 v9, v60
	s_waitcnt vmcnt(14)
	v_cvt_f32_f16_e32 v60, v61
	ds_bpermute_b32 v49, v28, v46
	v_mul_f32_e32 v6, v6, v58
	s_waitcnt lgkmcnt(2)
	v_mul_f32_e32 v59, v6, v7
	s_waitcnt lgkmcnt(1)
	v_sub_f32_e32 v6, v9, v8
	v_mul_f32_e32 v6, v6, v60
	s_waitcnt lgkmcnt(0)
	v_mul_f32_e32 v61, v6, v49
	ds_bpermute_b32 v6, v29, v47
	s_waitcnt vmcnt(13)
	v_cvt_f32_f16_e32 v7, v62
	s_waitcnt vmcnt(12)
	v_cvt_f32_f16_e32 v62, v63
	ds_bpermute_b32 v8, v29, v46
	ds_bpermute_b32 v9, v30, v47
	s_waitcnt vmcnt(11)
	v_cvt_f32_f16_e32 v49, v64
	s_waitcnt lgkmcnt(2)
	v_sub_f32_e32 v6, v7, v6
	v_mul_f32_e32 v6, v6, v62
	s_waitcnt lgkmcnt(1)
	v_mul_f32_e32 v63, v6, v8
	s_waitcnt lgkmcnt(0)
	v_sub_f32_e32 v7, v49, v9
	s_waitcnt vmcnt(10)
	v_cvt_f32_f16_e32 v6, v65
	ds_bpermute_b32 v9, v30, v46
	ds_bpermute_b32 v64, v31, v47
	s_waitcnt vmcnt(9)
	v_cvt_f32_f16_e32 v49, v66
	s_waitcnt vmcnt(8)
	v_cvt_f32_f16_e32 v8, v67
	ds_bpermute_b32 v65, v31, v46
	v_mul_f32_e32 v7, v7, v6
	s_waitcnt lgkmcnt(2)
	v_mul_f32_e32 v7, v7, v9
	s_waitcnt lgkmcnt(1)
	v_sub_f32_e32 v9, v49, v64
	v_mul_f32_e32 v9, v9, v8
	s_waitcnt lgkmcnt(0)
	v_mul_f32_e32 v9, v9, v65
	ds_bpermute_b32 v65, v32, v47
	s_waitcnt vmcnt(7)
	v_cvt_f32_f16_e32 v49, v72
	ds_bpermute_b32 v66, v32, v46
	ds_bpermute_b32 v67, v33, v47
	s_waitcnt vmcnt(6)
	v_cvt_f32_f16_e32 v64, v73
	s_waitcnt vmcnt(5)
	v_cvt_f32_f16_e32 v68, v74
	s_waitcnt lgkmcnt(2)
	v_sub_f32_e32 v49, v49, v65
	ds_bpermute_b32 v70, v34, v47
	v_mul_f32_e32 v49, v49, v64
	s_waitcnt lgkmcnt(2)
	v_mul_f32_e32 v65, v49, v66
	s_waitcnt lgkmcnt(1)
	v_sub_f32_e32 v49, v68, v67
	s_waitcnt vmcnt(4)
	v_cvt_f32_f16_e32 v66, v75
	ds_bpermute_b32 v67, v33, v46
	s_waitcnt vmcnt(3)
	v_cvt_f32_f16_e32 v69, v76
	ds_bpermute_b32 v71, v34, v46
	v_mul_f32_e32 v49, v49, v66
	v_add_co_u32_e32 v50, vcc, s34, v50
	s_waitcnt vmcnt(2)
	v_cvt_f32_f16_e32 v68, v77
	s_waitcnt lgkmcnt(1)
	v_mul_f32_e32 v67, v49, v67
	v_sub_f32_e32 v49, v69, v70
	ds_bpermute_b32 v72, v35, v46
	v_mul_f32_e32 v49, v49, v68
	s_waitcnt lgkmcnt(1)
	v_mul_f32_e32 v69, v49, v71
	ds_bpermute_b32 v71, v35, v47
	s_waitcnt vmcnt(1)
	v_cvt_f32_f16_e32 v49, v78
	v_addc_co_u32_e32 v51, vcc, v51, v48, vcc
	s_waitcnt vmcnt(0)
	v_cvt_f32_f16_e32 v70, v79
	v_add_co_u32_e32 v10, vcc, s34, v10
	v_addc_co_u32_e32 v11, vcc, v11, v48, vcc
	s_waitcnt lgkmcnt(0)
	v_sub_f32_e32 v49, v49, v71
	v_mul_f32_e32 v49, v49, v70
	v_pk_add_f32 v[52:53], v[54:55], v[52:53]
	v_add_co_u32_e32 v54, vcc, s34, v10
	v_mul_f32_e32 v71, v49, v72
	v_pk_add_f32 v[52:53], v[52:53], v[56:57]
	v_addc_co_u32_e32 v55, vcc, v11, v48, vcc
	global_load_ushort v49, v[10:11], off
	global_load_ushort v56, v[50:51], off
	v_add_co_u32_e32 v10, vcc, s34, v50
	v_pk_add_f32 v[52:53], v[52:53], v[58:59]
	v_addc_co_u32_e32 v11, vcc, v51, v48, vcc
	global_load_ushort v57, v[54:55], off
	global_load_ushort v58, v[10:11], off
	v_add_co_u32_e32 v50, vcc, s34, v54
	v_addc_co_u32_e32 v51, vcc, v55, v48, vcc
	v_add_co_u32_e32 v10, vcc, s34, v10
	v_pk_add_f32 v[52:53], v[52:53], v[60:61]
	v_addc_co_u32_e32 v11, vcc, v11, v48, vcc
	global_load_ushort v59, v[50:51], off
	global_load_ushort v60, v[10:11], off
	v_add_co_u32_e32 v54, vcc, s34, v50
	v_addc_co_u32_e32 v55, vcc, v51, v48, vcc
	v_add_co_u32_e32 v10, vcc, s34, v10
	v_addc_co_u32_e32 v11, vcc, v11, v48, vcc
	;; [unrolled: 2-line block ×3, first 2 shown]
	v_pk_add_f32 v[52:53], v[52:53], v[62:63]
	global_load_ushort v61, v[10:11], off
	global_load_ushort v62, v[54:55], off
	v_add_co_u32_e32 v10, vcc, s34, v54
	v_addc_co_u32_e32 v11, vcc, v55, v48, vcc
	global_load_ushort v63, v[50:51], off
	global_load_ushort v72, v[10:11], off
	v_add_co_u32_e32 v50, vcc, s34, v50
	v_addc_co_u32_e32 v51, vcc, v51, v48, vcc
	v_add_co_u32_e32 v10, vcc, s34, v10
	v_addc_co_u32_e32 v11, vcc, v11, v48, vcc
	v_add_co_u32_e32 v54, vcc, s34, v50
	global_load_ushort v73, v[50:51], off
	v_addc_co_u32_e32 v55, vcc, v51, v48, vcc
	global_load_ushort v74, v[10:11], off
	v_add_co_u32_e32 v50, vcc, s34, v10
	v_addc_co_u32_e32 v51, vcc, v11, v48, vcc
	v_add_co_u32_e32 v10, vcc, s34, v54
	v_addc_co_u32_e32 v11, vcc, v55, v48, vcc
	global_load_ushort v75, v[54:55], off
	v_add_co_u32_e32 v54, vcc, s34, v50
	v_addc_co_u32_e32 v55, vcc, v51, v48, vcc
	global_load_ushort v76, v[50:51], off
	;; [unrolled: 3-line block ×6, first 2 shown]
	global_load_ushort v81, v[50:51], off
	global_load_ushort v82, v[54:55], off
	v_pk_add_f32 v[6:7], v[52:53], v[6:7]
	v_pk_add_f32 v[6:7], v[6:7], v[8:9]
	ds_bpermute_b32 v9, v36, v47
	s_waitcnt vmcnt(18)
	v_cvt_f32_f16_e32 v10, v56
	v_cvt_f32_f16_e32 v8, v49
	ds_bpermute_b32 v11, v36, v46
	ds_bpermute_b32 v48, v37, v47
	s_waitcnt vmcnt(16)
	v_cvt_f32_f16_e32 v49, v58
	s_waitcnt lgkmcnt(2)
	v_sub_f32_e32 v9, v10, v9
	v_mul_f32_e32 v9, v9, v8
	s_waitcnt lgkmcnt(1)
	v_mul_f32_e32 v9, v9, v11
	v_cvt_f32_f16_e32 v10, v57
	s_waitcnt lgkmcnt(0)
	v_sub_f32_e32 v11, v49, v48
	ds_bpermute_b32 v49, v37, v46
	ds_bpermute_b32 v50, v38, v47
	s_waitcnt vmcnt(14)
	v_cvt_f32_f16_e32 v51, v60
	v_cvt_f32_f16_e32 v48, v59
	ds_bpermute_b32 v52, v38, v46
	v_mul_f32_e32 v11, v11, v10
	s_waitcnt lgkmcnt(2)
	v_mul_f32_e32 v11, v11, v49
	s_waitcnt lgkmcnt(1)
	v_sub_f32_e32 v49, v51, v50
	v_mul_f32_e32 v49, v49, v48
	ds_bpermute_b32 v51, v39, v47
	s_waitcnt lgkmcnt(1)
	v_mul_f32_e32 v49, v49, v52
	ds_bpermute_b32 v53, v39, v46
	s_waitcnt vmcnt(13)
	v_cvt_f32_f16_e32 v52, v61
	s_waitcnt vmcnt(12)
	v_cvt_f32_f16_e32 v50, v62
	ds_bpermute_b32 v54, v40, v47
	ds_bpermute_b32 v57, v41, v47
	s_waitcnt lgkmcnt(3)
	v_sub_f32_e32 v51, v52, v51
	s_waitcnt vmcnt(11)
	v_cvt_f32_f16_e32 v55, v63
	v_mul_f32_e32 v51, v51, v50
	s_waitcnt lgkmcnt(2)
	v_mul_f32_e32 v51, v51, v53
	s_waitcnt vmcnt(10)
	v_cvt_f32_f16_e32 v52, v72
	s_waitcnt lgkmcnt(1)
	v_sub_f32_e32 v53, v55, v54
	ds_bpermute_b32 v55, v40, v46
	ds_bpermute_b32 v58, v41, v46
	v_mul_f32_e32 v53, v53, v52
	ds_bpermute_b32 v59, v42, v46
	ds_bpermute_b32 v60, v43, v47
	s_waitcnt lgkmcnt(3)
	v_mul_f32_e32 v53, v53, v55
	v_pk_add_f32 v[6:7], v[6:7], v[64:65]
	s_waitcnt vmcnt(9)
	v_cvt_f32_f16_e32 v56, v73
	v_pk_add_f32 v[6:7], v[6:7], v[66:67]
	v_pk_add_f32 v[6:7], v[6:7], v[68:69]
	s_waitcnt vmcnt(8)
	v_cvt_f32_f16_e32 v54, v74
	v_sub_f32_e32 v55, v56, v57
	v_pk_add_f32 v[6:7], v[6:7], v[70:71]
	ds_bpermute_b32 v63, v44, v47
	v_mul_f32_e32 v55, v55, v54
	s_waitcnt lgkmcnt(3)
	v_mul_f32_e32 v55, v55, v58
	ds_bpermute_b32 v58, v42, v47
	v_pk_add_f32 v[6:7], v[6:7], v[8:9]
	v_pk_add_f32 v[6:7], v[6:7], v[10:11]
	s_waitcnt vmcnt(7)
	v_cvt_f32_f16_e32 v57, v75
	ds_bpermute_b32 v10, v45, v47
	ds_bpermute_b32 v64, v44, v46
	v_pk_add_f32 v[6:7], v[6:7], v[48:49]
	s_waitcnt lgkmcnt(2)
	v_sub_f32_e32 v57, v57, v58
	s_waitcnt vmcnt(6)
	v_cvt_f32_f16_e32 v56, v76
	v_pk_add_f32 v[6:7], v[6:7], v[50:51]
	ds_bpermute_b32 v11, v45, v46
	v_pk_add_f32 v[6:7], v[6:7], v[52:53]
	v_mul_f32_e32 v57, v57, v56
	s_waitcnt vmcnt(5)
	v_cvt_f32_f16_e32 v61, v77
	v_mul_f32_e32 v57, v57, v59
	v_pk_add_f32 v[6:7], v[6:7], v[54:55]
	v_pk_add_f32 v[6:7], v[6:7], v[56:57]
	v_sub_f32_e32 v59, v61, v60
	s_waitcnt vmcnt(4)
	v_cvt_f32_f16_e32 v58, v78
	ds_bpermute_b32 v61, v43, v46
	v_add_co_u32_e32 v2, vcc, s28, v2
	v_mul_f32_e32 v59, v59, v58
	s_waitcnt vmcnt(3)
	v_cvt_f32_f16_e32 v62, v79
	s_waitcnt lgkmcnt(0)
	v_mul_f32_e32 v59, v59, v61
	v_pk_add_f32 v[6:7], v[6:7], v[58:59]
	s_waitcnt vmcnt(2)
	v_cvt_f32_f16_e32 v60, v80
	s_waitcnt vmcnt(1)
	v_cvt_f32_f16_e32 v8, v81
	;; [unrolled: 2-line block ×3, first 2 shown]
	v_sub_f32_e32 v61, v62, v63
	v_mul_f32_e32 v61, v61, v60
	v_mul_f32_e32 v61, v61, v64
	v_sub_f32_e32 v9, v9, v10
	v_mul_f32_e32 v9, v9, v8
	v_pk_add_f32 v[6:7], v[6:7], v[60:61]
	v_mul_f32_e32 v9, v9, v11
	v_pk_add_f32 v[6:7], v[6:7], v[8:9]
	v_mov_b32_e32 v8, s29
	v_addc_co_u32_e32 v3, vcc, v3, v8, vcc
	v_mov_b32_e32 v8, s5
	v_add_co_u32_e32 v0, vcc, s4, v0
	v_addc_co_u32_e32 v1, vcc, v1, v8, vcc
	s_add_u32 s24, s24, s4
	v_mov_b32_e32 v8, s31
	v_add_co_u32_e32 v4, vcc, s30, v4
	s_addc_u32 s25, s25, 0
	v_addc_co_u32_e32 v5, vcc, v5, v8, vcc
	v_pk_mov_b32 v[8:9], s[16:17], s[16:17] op_sel:[0,1]
	v_cmp_lt_i64_e32 vcc, s[24:25], v[8:9]
	s_cbranch_vccz .LBB73_10
.LBB73_7:                               ; =>This Inner Loop Header: Depth=1
	v_mov_b32_e32 v46, 0
	v_mov_b32_e32 v47, 0
	s_and_saveexec_b64 s[36:37], s[0:1]
	s_cbranch_execz .LBB73_6
; %bb.8:                                ;   in Loop: Header=BB73_7 Depth=1
	v_cmp_gt_i64_e32 vcc, s[16:17], v[0:1]
	v_mov_b32_e32 v47, 0
	v_mov_b32_e32 v46, 0
	s_and_saveexec_b64 s[38:39], vcc
	s_cbranch_execz .LBB73_5
; %bb.9:                                ;   in Loop: Header=BB73_7 Depth=1
	v_mov_b32_e32 v9, s15
	v_add_co_u32_e32 v8, vcc, s14, v2
	v_addc_co_u32_e32 v9, vcc, v9, v3, vcc
	v_mov_b32_e32 v11, s13
	v_add_co_u32_e32 v10, vcc, s12, v2
	v_addc_co_u32_e32 v11, vcc, v11, v3, vcc
	global_load_dword v47, v[10:11], off
	global_load_dword v46, v[8:9], off
	s_branch .LBB73_5
.LBB73_10:
	v_cvt_f16_f32_e32 v0, v7
	v_cvt_f16_f32_e32 v1, v6
	v_mov_b32_e32 v2, v12
	v_pack_b32_f16 v4, v1, v0
.LBB73_11:
	s_mov_b32 s7, 0
	s_lshl_b64 s[0:1], s[6:7], 6
	v_mov_b32_e32 v1, s1
	s_load_dword s1, s[26:27], 0xc
	v_mov_b32_e32 v3, 0
	v_add_co_u32_e32 v0, vcc, s0, v13
	v_mov_b32_e32 v5, s2
	s_waitcnt lgkmcnt(0)
	s_lshr_b32 s0, s1, 16
	v_addc_co_u32_e32 v1, vcc, 0, v1, vcc
	v_mad_u64_u32 v[2:3], s[0:1], s0, v5, v[2:3]
	s_cmp_eq_u64 s[20:21], 0
	v_mul_lo_u32 v3, v3, s18
	v_mul_lo_u32 v5, v2, s19
	v_lshlrev_b64 v[0:1], 1, v[0:1]
	s_cbranch_scc1 .LBB73_13
; %bb.12:
	v_mad_u64_u32 v[6:7], s[0:1], v2, s18, 0
	v_add3_u32 v7, v7, v5, v3
	v_lshlrev_b64 v[6:7], 1, v[6:7]
	v_mov_b32_e32 v8, s21
	v_add_co_u32_e32 v6, vcc, s20, v6
	v_addc_co_u32_e32 v7, vcc, v8, v7, vcc
	v_add_co_u32_e32 v6, vcc, v6, v0
	v_addc_co_u32_e32 v7, vcc, v7, v1, vcc
	global_store_short_d16_hi v[6:7], v4, off
.LBB73_13:
	s_cmp_eq_u64 s[22:23], 0
	s_cbranch_scc1 .LBB73_15
; %bb.14:
	v_mad_u64_u32 v[6:7], s[0:1], v2, s18, 0
	v_add3_u32 v7, v7, v5, v3
	v_lshlrev_b64 v[2:3], 1, v[6:7]
	v_mov_b32_e32 v5, s23
	v_add_co_u32_e32 v2, vcc, s22, v2
	v_addc_co_u32_e32 v3, vcc, v5, v3, vcc
	v_add_co_u32_e32 v0, vcc, v2, v0
	v_addc_co_u32_e32 v1, vcc, v3, v1, vcc
	global_store_short v[0:1], v4, off
.LBB73_15:
	s_endpgm
	.section	.rodata,"a",@progbits
	.p2align	6, 0x0
	.amdhsa_kernel _ZN2at6native12_GLOBAL__N_135GammaBetaBackwardCUDAKernelTemplateIN3c104HalfEfLj64ELj1ELj32ELb1ELb1ELb0EEEvllPKT_S7_PKT0_SA_PS5_SB_
		.amdhsa_group_segment_fixed_size 0
		.amdhsa_private_segment_fixed_size 0
		.amdhsa_kernarg_size 320
		.amdhsa_user_sgpr_count 6
		.amdhsa_user_sgpr_private_segment_buffer 1
		.amdhsa_user_sgpr_dispatch_ptr 0
		.amdhsa_user_sgpr_queue_ptr 0
		.amdhsa_user_sgpr_kernarg_segment_ptr 1
		.amdhsa_user_sgpr_dispatch_id 0
		.amdhsa_user_sgpr_flat_scratch_init 0
		.amdhsa_user_sgpr_kernarg_preload_length 0
		.amdhsa_user_sgpr_kernarg_preload_offset 0
		.amdhsa_user_sgpr_private_segment_size 0
		.amdhsa_uses_dynamic_stack 0
		.amdhsa_system_sgpr_private_segment_wavefront_offset 0
		.amdhsa_system_sgpr_workgroup_id_x 1
		.amdhsa_system_sgpr_workgroup_id_y 1
		.amdhsa_system_sgpr_workgroup_id_z 0
		.amdhsa_system_sgpr_workgroup_info 0
		.amdhsa_system_vgpr_workitem_id 1
		.amdhsa_next_free_vgpr 83
		.amdhsa_next_free_sgpr 40
		.amdhsa_accum_offset 84
		.amdhsa_reserve_vcc 1
		.amdhsa_reserve_flat_scratch 0
		.amdhsa_float_round_mode_32 0
		.amdhsa_float_round_mode_16_64 0
		.amdhsa_float_denorm_mode_32 3
		.amdhsa_float_denorm_mode_16_64 3
		.amdhsa_dx10_clamp 1
		.amdhsa_ieee_mode 1
		.amdhsa_fp16_overflow 0
		.amdhsa_tg_split 0
		.amdhsa_exception_fp_ieee_invalid_op 0
		.amdhsa_exception_fp_denorm_src 0
		.amdhsa_exception_fp_ieee_div_zero 0
		.amdhsa_exception_fp_ieee_overflow 0
		.amdhsa_exception_fp_ieee_underflow 0
		.amdhsa_exception_fp_ieee_inexact 0
		.amdhsa_exception_int_div_zero 0
	.end_amdhsa_kernel
	.section	.text._ZN2at6native12_GLOBAL__N_135GammaBetaBackwardCUDAKernelTemplateIN3c104HalfEfLj64ELj1ELj32ELb1ELb1ELb0EEEvllPKT_S7_PKT0_SA_PS5_SB_,"axG",@progbits,_ZN2at6native12_GLOBAL__N_135GammaBetaBackwardCUDAKernelTemplateIN3c104HalfEfLj64ELj1ELj32ELb1ELb1ELb0EEEvllPKT_S7_PKT0_SA_PS5_SB_,comdat
.Lfunc_end73:
	.size	_ZN2at6native12_GLOBAL__N_135GammaBetaBackwardCUDAKernelTemplateIN3c104HalfEfLj64ELj1ELj32ELb1ELb1ELb0EEEvllPKT_S7_PKT0_SA_PS5_SB_, .Lfunc_end73-_ZN2at6native12_GLOBAL__N_135GammaBetaBackwardCUDAKernelTemplateIN3c104HalfEfLj64ELj1ELj32ELb1ELb1ELb0EEEvllPKT_S7_PKT0_SA_PS5_SB_
                                        ; -- End function
	.section	.AMDGPU.csdata,"",@progbits
; Kernel info:
; codeLenInByte = 3788
; NumSgprs: 44
; NumVgprs: 83
; NumAgprs: 0
; TotalNumVgprs: 83
; ScratchSize: 0
; MemoryBound: 0
; FloatMode: 240
; IeeeMode: 1
; LDSByteSize: 0 bytes/workgroup (compile time only)
; SGPRBlocks: 5
; VGPRBlocks: 10
; NumSGPRsForWavesPerEU: 44
; NumVGPRsForWavesPerEU: 83
; AccumOffset: 84
; Occupancy: 5
; WaveLimiterHint : 0
; COMPUTE_PGM_RSRC2:SCRATCH_EN: 0
; COMPUTE_PGM_RSRC2:USER_SGPR: 6
; COMPUTE_PGM_RSRC2:TRAP_HANDLER: 0
; COMPUTE_PGM_RSRC2:TGID_X_EN: 1
; COMPUTE_PGM_RSRC2:TGID_Y_EN: 1
; COMPUTE_PGM_RSRC2:TGID_Z_EN: 0
; COMPUTE_PGM_RSRC2:TIDIG_COMP_CNT: 1
; COMPUTE_PGM_RSRC3_GFX90A:ACCUM_OFFSET: 20
; COMPUTE_PGM_RSRC3_GFX90A:TG_SPLIT: 0
	.section	.text._ZN2at6native12_GLOBAL__N_135GammaBetaBackwardCUDAKernelTemplateIN3c104HalfEfLj64ELj1ELj32ELb1ELb0ELb0EEEvllPKT_S7_PKT0_SA_PS5_SB_,"axG",@progbits,_ZN2at6native12_GLOBAL__N_135GammaBetaBackwardCUDAKernelTemplateIN3c104HalfEfLj64ELj1ELj32ELb1ELb0ELb0EEEvllPKT_S7_PKT0_SA_PS5_SB_,comdat
	.globl	_ZN2at6native12_GLOBAL__N_135GammaBetaBackwardCUDAKernelTemplateIN3c104HalfEfLj64ELj1ELj32ELb1ELb0ELb0EEEvllPKT_S7_PKT0_SA_PS5_SB_ ; -- Begin function _ZN2at6native12_GLOBAL__N_135GammaBetaBackwardCUDAKernelTemplateIN3c104HalfEfLj64ELj1ELj32ELb1ELb0ELb0EEEvllPKT_S7_PKT0_SA_PS5_SB_
	.p2align	8
	.type	_ZN2at6native12_GLOBAL__N_135GammaBetaBackwardCUDAKernelTemplateIN3c104HalfEfLj64ELj1ELj32ELb1ELb0ELb0EEEvllPKT_S7_PKT0_SA_PS5_SB_,@function
_ZN2at6native12_GLOBAL__N_135GammaBetaBackwardCUDAKernelTemplateIN3c104HalfEfLj64ELj1ELj32ELb1ELb0ELb0EEEvllPKT_S7_PKT0_SA_PS5_SB_: ; @_ZN2at6native12_GLOBAL__N_135GammaBetaBackwardCUDAKernelTemplateIN3c104HalfEfLj64ELj1ELj32ELb1ELb0ELb0EEEvllPKT_S7_PKT0_SA_PS5_SB_
; %bb.0:
	s_load_dwordx8 s[12:19], s[4:5], 0x0
	s_load_dwordx4 s[20:23], s[4:5], 0x20
	s_mov_b32 s8, s7
	s_lshl_b32 s7, s6, 6
	v_mov_b32_e32 v211, v0
	s_or_b32 s24, s7, 63
	s_mov_b32 s25, 0
	s_waitcnt lgkmcnt(0)
	v_pk_mov_b32 v[0:1], s[14:15], s[14:15] op_sel:[0,1]
	v_cmp_ge_i64_e32 vcc, s[24:25], v[0:1]
	s_lshl_b32 s24, s8, 5
	v_pk_mov_b32 v[0:1], s[12:13], s[12:13] op_sel:[0,1]
	v_cmp_lt_i64_e64 s[0:1], s[24:25], v[0:1]
	v_cndmask_b32_e64 v0, 0, 1, s[0:1]
	v_cmp_ne_u32_e64 s[0:1], 1, v0
	s_cbranch_vccz .LBB74_144
; %bb.1:
	s_mov_b32 s2, s25
	s_mov_b32 s3, s25
	s_and_b64 vcc, exec, s[0:1]
	v_pk_mov_b32 v[138:139], s[2:3], s[2:3] op_sel:[0,1]
	s_cbranch_vccnz .LBB74_145
; %bb.2:
	v_bfe_u32 v0, v211, 10, 10
	v_lshlrev_b32_e32 v2, 5, v0
	v_mov_b32_e32 v1, s25
	v_add_co_u32_e32 v121, vcc, s24, v2
	v_addc_co_u32_e32 v123, vcc, 0, v1, vcc
	v_add_co_u32_e32 v1, vcc, 31, v121
	v_addc_co_u32_e32 v3, vcc, 0, v123, vcc
	v_mul_lo_u32 v6, s15, v1
	v_mul_lo_u32 v3, s14, v3
	v_mad_u64_u32 v[4:5], s[2:3], s14, v1, 0
	v_add3_u32 v5, v5, v3, v6
	v_lshlrev_b64 v[6:7], 1, v[4:5]
	v_mov_b32_e32 v125, s17
	v_add_co_u32_e32 v4, vcc, s16, v6
	v_addc_co_u32_e32 v1, vcc, v125, v7, vcc
	v_mov_b32_e32 v127, s19
	v_add_co_u32_e32 v6, vcc, s18, v6
	v_addc_co_u32_e32 v3, vcc, v127, v7, vcc
	v_add_co_u32_e32 v5, vcc, 30, v121
	v_addc_co_u32_e32 v7, vcc, 0, v123, vcc
	v_mul_lo_u32 v10, s15, v5
	v_mul_lo_u32 v7, s14, v7
	v_mad_u64_u32 v[8:9], s[2:3], s14, v5, 0
	v_add3_u32 v9, v9, v7, v10
	v_lshlrev_b64 v[10:11], 1, v[8:9]
	v_add_co_u32_e32 v8, vcc, s16, v10
	v_addc_co_u32_e32 v5, vcc, v125, v11, vcc
	v_add_co_u32_e32 v10, vcc, s18, v10
	v_addc_co_u32_e32 v7, vcc, v127, v11, vcc
	v_add_co_u32_e32 v9, vcc, 29, v121
	v_addc_co_u32_e32 v11, vcc, 0, v123, vcc
	v_mul_lo_u32 v14, s15, v9
	v_mul_lo_u32 v11, s14, v11
	v_mad_u64_u32 v[12:13], s[2:3], s14, v9, 0
	v_add3_u32 v13, v13, v11, v14
	v_lshlrev_b64 v[14:15], 1, v[12:13]
	v_add_co_u32_e32 v12, vcc, s16, v14
	v_addc_co_u32_e32 v9, vcc, v125, v15, vcc
	;; [unrolled: 11-line block ×29, first 2 shown]
	v_add_co_u32_e32 v122, vcc, s18, v128
	v_addc_co_u32_e32 v119, vcc, v127, v129, vcc
	v_pk_mov_b32 v[128:129], s[14:15], s[14:15] op_sel:[0,1]
	v_mad_u64_u32 v[128:129], s[2:3], s14, v121, v[128:129]
	v_mul_lo_u32 v123, s14, v123
	v_mul_lo_u32 v124, s15, v121
	v_add3_u32 v129, v124, v129, v123
	v_lshlrev_b64 v[128:129], 1, v[128:129]
	v_mad_u64_u32 v[130:131], s[2:3], s14, v121, 0
	v_add3_u32 v131, v131, v123, v124
	v_add_co_u32_e32 v124, vcc, s16, v128
	v_addc_co_u32_e32 v121, vcc, v125, v129, vcc
	s_load_dword s10, s[4:5], 0x44
	v_add_co_u32_e32 v126, vcc, s18, v128
	v_addc_co_u32_e32 v123, vcc, v127, v129, vcc
	v_lshlrev_b64 v[130:131], 1, v[130:131]
	v_add_co_u32_e32 v128, vcc, s16, v130
	v_addc_co_u32_e32 v125, vcc, v125, v131, vcc
	s_add_u32 s26, s4, 64
	v_add_co_u32_e32 v130, vcc, s18, v130
	s_addc_u32 s27, s5, 0
	s_waitcnt lgkmcnt(0)
	s_lshl_b32 s33, s10, 5
	v_mbcnt_lo_u32_b32 v129, -1, 0
	v_addc_co_u32_e32 v127, vcc, v127, v131, vcc
	v_and_b32_e32 v131, 0x3ff, v211
	s_mul_i32 s10, s15, s33
	s_mul_hi_u32 s11, s14, s33
	v_mbcnt_hi_u32_b32 v129, -1, v129
	v_add_u32_e32 v132, s7, v131
	v_mov_b32_e32 v133, 0
	s_add_i32 s11, s11, s10
	s_mul_i32 s10, s14, s33
	v_lshlrev_b32_e32 v129, 2, v129
	s_mov_b32 s9, 0
	v_cmp_gt_i64_e64 s[2:3], s[14:15], v[132:133]
	s_mov_b64 s[28:29], 31
	s_lshl_b64 s[30:31], s[10:11], 1
	v_and_b32_e32 v204, 0x100, v129
	v_mov_b32_e32 v138, 0
	v_mov_b32_e32 v139, v133
	s_mov_b64 s[34:35], s[24:25]
	v_mov_b32_e32 v129, v133
	v_lshlrev_b64 v[136:137], 1, v[132:133]
	s_branch .LBB74_5
.LBB74_3:                               ;   in Loop: Header=BB74_5 Depth=1
	s_or_b64 exec, exec, s[10:11]
	s_waitcnt vmcnt(1)
	ds_bpermute_b32 v141, v204, v171
	s_waitcnt vmcnt(0)
	ds_bpermute_b32 v157, v204, v132
	ds_bpermute_b32 v207, v204, v171 offset:4
	ds_bpermute_b32 v163, v204, v132 offset:4
	;; [unrolled: 1-line block ×3, first 2 shown]
	s_waitcnt lgkmcnt(4)
	v_sub_f32_e32 v135, v135, v141
	v_mul_f32_e32 v135, v140, v135
	s_waitcnt lgkmcnt(3)
	v_mul_f32_e32 v141, v135, v157
	ds_bpermute_b32 v157, v204, v132 offset:8
	s_waitcnt lgkmcnt(3)
	v_sub_f32_e32 v135, v143, v207
	v_mul_f32_e32 v135, v142, v135
	s_waitcnt lgkmcnt(2)
	v_mul_f32_e32 v143, v135, v163
	s_waitcnt lgkmcnt(1)
	v_sub_f32_e32 v135, v145, v208
	ds_bpermute_b32 v145, v204, v171 offset:12
	v_mul_f32_e32 v135, v134, v135
	s_waitcnt lgkmcnt(1)
	v_mul_f32_e32 v135, v135, v157
	ds_bpermute_b32 v157, v204, v132 offset:12
	ds_bpermute_b32 v163, v204, v171 offset:16
	s_waitcnt lgkmcnt(2)
	v_sub_f32_e32 v145, v147, v145
	v_mul_f32_e32 v145, v146, v145
	ds_bpermute_b32 v207, v204, v132 offset:16
	s_waitcnt lgkmcnt(2)
	v_mul_f32_e32 v147, v145, v157
	s_waitcnt lgkmcnt(1)
	v_sub_f32_e32 v145, v149, v163
	ds_bpermute_b32 v149, v204, v171 offset:20
	ds_bpermute_b32 v157, v204, v132 offset:20
	;; [unrolled: 1-line block ×3, first 2 shown]
	v_pk_add_f32 v[138:139], v[138:139], v[140:141]
	v_mul_f32_e32 v145, v144, v145
	s_waitcnt lgkmcnt(2)
	v_sub_f32_e32 v149, v151, v149
	v_mul_f32_e32 v149, v150, v149
	s_waitcnt lgkmcnt(1)
	v_mul_f32_e32 v151, v149, v157
	s_waitcnt lgkmcnt(0)
	v_sub_f32_e32 v149, v153, v163
	ds_bpermute_b32 v153, v204, v171 offset:28
	ds_bpermute_b32 v157, v204, v132 offset:28
	;; [unrolled: 1-line block ×3, first 2 shown]
	v_pk_add_f32 v[138:139], v[138:139], v[142:143]
	v_mul_f32_e32 v145, v145, v207
	s_waitcnt lgkmcnt(2)
	v_sub_f32_e32 v153, v155, v153
	ds_bpermute_b32 v155, v204, v132 offset:32
	v_mul_f32_e32 v153, v156, v153
	ds_bpermute_b32 v207, v204, v132 offset:24
	s_waitcnt lgkmcnt(3)
	v_mul_f32_e32 v157, v153, v157
	s_waitcnt lgkmcnt(2)
	v_sub_f32_e32 v153, v159, v163
	ds_bpermute_b32 v159, v204, v171 offset:36
	v_pk_add_f32 v[134:135], v[138:139], v[134:135]
	ds_bpermute_b32 v138, v204, v171 offset:44
	v_mul_f32_e32 v153, v152, v153
	s_waitcnt lgkmcnt(3)
	v_mul_f32_e32 v153, v153, v155
	ds_bpermute_b32 v155, v204, v132 offset:36
	ds_bpermute_b32 v139, v204, v132 offset:44
	v_mul_f32_e32 v149, v148, v149
	s_waitcnt lgkmcnt(4)
	v_mul_f32_e32 v149, v149, v207
	ds_bpermute_b32 v207, v204, v171 offset:40
	s_waitcnt lgkmcnt(4)
	v_sub_f32_e32 v159, v161, v159
	s_waitcnt lgkmcnt(3)
	v_sub_f32_e32 v138, v165, v138
	ds_bpermute_b32 v140, v204, v171 offset:48
	v_mul_f32_e32 v159, v162, v159
	v_mul_f32_e32 v138, v158, v138
	ds_bpermute_b32 v161, v204, v132 offset:40
	s_waitcnt lgkmcnt(4)
	v_mul_f32_e32 v163, v159, v155
	s_waitcnt lgkmcnt(3)
	v_mul_f32_e32 v159, v138, v139
	ds_bpermute_b32 v138, v204, v132 offset:48
	ds_bpermute_b32 v139, v204, v171 offset:52
	;; [unrolled: 1-line block ×3, first 2 shown]
	s_waitcnt lgkmcnt(5)
	v_sub_f32_e32 v155, v169, v207
	s_waitcnt lgkmcnt(4)
	v_sub_f32_e32 v140, v167, v140
	v_mul_f32_e32 v155, v160, v155
	v_mul_f32_e32 v140, v154, v140
	s_waitcnt lgkmcnt(3)
	v_mul_f32_e32 v161, v155, v161
	s_waitcnt lgkmcnt(2)
	v_mul_f32_e32 v155, v140, v138
	s_waitcnt lgkmcnt(1)
	v_sub_f32_e32 v138, v173, v139
	ds_bpermute_b32 v139, v204, v171 offset:56
	v_mul_f32_e32 v138, v166, v138
	s_waitcnt lgkmcnt(1)
	v_mul_f32_e32 v167, v138, v141
	ds_bpermute_b32 v138, v204, v132 offset:56
	ds_bpermute_b32 v140, v204, v171 offset:60
	ds_bpermute_b32 v141, v204, v132 offset:60
	s_waitcnt lgkmcnt(3)
	v_sub_f32_e32 v139, v175, v139
	v_mul_f32_e32 v139, v164, v139
	s_waitcnt lgkmcnt(2)
	v_mul_f32_e32 v165, v139, v138
	s_waitcnt lgkmcnt(1)
	v_sub_f32_e32 v138, v177, v140
	ds_bpermute_b32 v139, v204, v171 offset:64
	v_mul_f32_e32 v138, v172, v138
	s_waitcnt lgkmcnt(1)
	v_mul_f32_e32 v173, v138, v141
	ds_bpermute_b32 v138, v204, v132 offset:64
	ds_bpermute_b32 v140, v204, v171 offset:68
	ds_bpermute_b32 v141, v204, v132 offset:68
	s_waitcnt lgkmcnt(3)
	v_sub_f32_e32 v139, v179, v139
	v_mul_f32_e32 v139, v168, v139
	s_waitcnt lgkmcnt(2)
	v_mul_f32_e32 v169, v139, v138
	s_waitcnt lgkmcnt(1)
	;; [unrolled: 14-line block ×4, first 2 shown]
	v_sub_f32_e32 v138, v189, v140
	v_mul_f32_e32 v138, v188, v138
	s_waitcnt lgkmcnt(0)
	v_mul_f32_e32 v189, v138, v141
	ds_bpermute_b32 v138, v204, v171 offset:88
	ds_bpermute_b32 v139, v204, v132 offset:88
	;; [unrolled: 1-line block ×4, first 2 shown]
	v_pk_add_f32 v[134:135], v[134:135], v[146:147]
	s_waitcnt lgkmcnt(3)
	v_sub_f32_e32 v138, v191, v138
	v_mul_f32_e32 v138, v178, v138
	s_waitcnt lgkmcnt(2)
	v_mul_f32_e32 v179, v138, v139
	s_waitcnt lgkmcnt(1)
	v_sub_f32_e32 v138, v193, v140
	ds_bpermute_b32 v139, v204, v171 offset:96
	v_mul_f32_e32 v138, v186, v138
	s_waitcnt lgkmcnt(1)
	v_mul_f32_e32 v187, v138, v141
	ds_bpermute_b32 v138, v204, v132 offset:96
	ds_bpermute_b32 v140, v204, v171 offset:100
	;; [unrolled: 1-line block ×3, first 2 shown]
	v_pk_add_f32 v[134:135], v[134:135], v[144:145]
	s_waitcnt lgkmcnt(3)
	v_sub_f32_e32 v139, v195, v139
	v_pk_add_f32 v[134:135], v[134:135], v[150:151]
	v_mul_f32_e32 v139, v184, v139
	v_pk_add_f32 v[134:135], v[134:135], v[148:149]
	s_waitcnt lgkmcnt(2)
	v_mul_f32_e32 v185, v139, v138
	s_waitcnt lgkmcnt(1)
	v_sub_f32_e32 v138, v197, v140
	ds_bpermute_b32 v139, v204, v171 offset:104
	v_pk_add_f32 v[134:135], v[134:135], v[156:157]
	v_mul_f32_e32 v138, v192, v138
	v_pk_add_f32 v[134:135], v[134:135], v[152:153]
	s_waitcnt lgkmcnt(1)
	v_mul_f32_e32 v193, v138, v141
	ds_bpermute_b32 v138, v204, v132 offset:104
	ds_bpermute_b32 v140, v204, v171 offset:108
	v_pk_add_f32 v[134:135], v[134:135], v[162:163]
	v_pk_add_f32 v[134:135], v[134:135], v[160:161]
	ds_bpermute_b32 v141, v204, v132 offset:108
	v_pk_add_f32 v[134:135], v[134:135], v[158:159]
	s_waitcnt lgkmcnt(3)
	v_sub_f32_e32 v139, v199, v139
	v_pk_add_f32 v[134:135], v[134:135], v[154:155]
	v_mul_f32_e32 v139, v190, v139
	v_pk_add_f32 v[134:135], v[134:135], v[166:167]
	s_waitcnt lgkmcnt(2)
	v_mul_f32_e32 v191, v139, v138
	s_waitcnt lgkmcnt(1)
	v_sub_f32_e32 v138, v201, v140
	ds_bpermute_b32 v139, v204, v171 offset:112
	v_pk_add_f32 v[134:135], v[134:135], v[164:165]
	v_mul_f32_e32 v138, v196, v138
	v_pk_add_f32 v[134:135], v[134:135], v[172:173]
	s_waitcnt lgkmcnt(1)
	v_mul_f32_e32 v197, v138, v141
	ds_bpermute_b32 v138, v204, v132 offset:112
	ds_bpermute_b32 v140, v204, v171 offset:116
	v_pk_add_f32 v[134:135], v[134:135], v[168:169]
	v_pk_add_f32 v[134:135], v[134:135], v[176:177]
	ds_bpermute_b32 v141, v204, v132 offset:116
	v_pk_add_f32 v[134:135], v[134:135], v[174:175]
	s_waitcnt lgkmcnt(3)
	v_sub_f32_e32 v139, v202, v139
	v_pk_add_f32 v[134:135], v[134:135], v[182:183]
	v_mul_f32_e32 v139, v194, v139
	v_pk_add_f32 v[134:135], v[134:135], v[180:181]
	s_waitcnt lgkmcnt(2)
	v_mul_f32_e32 v195, v139, v138
	s_waitcnt lgkmcnt(1)
	v_sub_f32_e32 v138, v206, v140
	v_pk_add_f32 v[134:135], v[134:135], v[188:189]
	v_mul_f32_e32 v138, v200, v138
	s_waitcnt lgkmcnt(0)
	v_mul_f32_e32 v201, v138, v141
	v_pk_add_f32 v[134:135], v[134:135], v[178:179]
	ds_bpermute_b32 v138, v204, v171 offset:120
	v_pk_add_f32 v[134:135], v[134:135], v[186:187]
	v_pk_add_f32 v[134:135], v[134:135], v[184:185]
	ds_bpermute_b32 v139, v204, v132 offset:120
	v_pk_add_f32 v[134:135], v[134:135], v[192:193]
	v_pk_add_f32 v[134:135], v[134:135], v[190:191]
	;; [unrolled: 1-line block ×3, first 2 shown]
	s_waitcnt lgkmcnt(1)
	v_sub_f32_e32 v138, v203, v138
	v_pk_add_f32 v[134:135], v[134:135], v[194:195]
	v_mul_f32_e32 v138, v198, v138
	v_pk_add_f32 v[134:135], v[134:135], v[200:201]
	s_waitcnt lgkmcnt(0)
	v_mul_f32_e32 v199, v138, v139
	ds_bpermute_b32 v132, v204, v132 offset:124
	ds_bpermute_b32 v142, v204, v171 offset:124
	v_pk_add_f32 v[140:141], v[134:135], v[198:199]
.LBB74_4:                               ;   in Loop: Header=BB74_5 Depth=1
	s_waitcnt lgkmcnt(0)
	v_sub_f32_e32 v134, v205, v142
	v_mul_f32_e32 v134, v170, v134
	v_mul_f32_e32 v171, v134, v132
	v_mov_b32_e32 v132, s9
	v_add_co_u32_e64 v2, s[10:11], s33, v2
	v_addc_co_u32_e64 v129, s[10:11], v129, v132, s[10:11]
	v_mov_b32_e32 v132, s31
	v_add_co_u32_e64 v4, s[10:11], s30, v4
	v_addc_co_u32_e64 v1, s[10:11], v1, v132, s[10:11]
	v_add_co_u32_e64 v6, s[10:11], s30, v6
	v_addc_co_u32_e64 v3, s[10:11], v3, v132, s[10:11]
	;; [unrolled: 2-line block ×62, first 2 shown]
	s_add_u32 s34, s34, s33
	v_add_co_u32_e64 v128, s[10:11], s30, v128
	s_addc_u32 s35, s35, 0
	v_pk_mov_b32 v[134:135], s[12:13], s[12:13] op_sel:[0,1]
	v_addc_co_u32_e64 v125, s[10:11], v125, v132, s[10:11]
	v_cmp_lt_i64_e32 vcc, s[34:35], v[134:135]
	v_add_co_u32_e64 v130, s[10:11], s30, v130
	s_add_u32 s28, s28, s33
	v_pk_add_f32 v[138:139], v[140:141], v[170:171]
	v_addc_co_u32_e64 v127, s[10:11], v127, v132, s[10:11]
	s_addc_u32 s29, s29, 0
	s_cbranch_vccz .LBB74_145
.LBB74_5:                               ; =>This Inner Loop Header: Depth=1
	s_add_u32 s10, s24, s28
	s_addc_u32 s11, 0, s29
	v_pk_mov_b32 v[134:135], s[12:13], s[12:13] op_sel:[0,1]
	v_cmp_ge_i64_e32 vcc, s[10:11], v[134:135]
	v_mov_b32_e32 v132, s25
	v_add_co_u32_e64 v134, s[10:11], s24, v2
	v_addc_co_u32_e64 v135, s[10:11], v132, v129, s[10:11]
	s_cbranch_vccz .LBB74_75
; %bb.6:                                ;   in Loop: Header=BB74_5 Depth=1
	s_load_dword s10, s[26:27], 0xc
	v_mov_b32_e32 v140, 0
	v_mov_b32_e32 v132, 0
	;; [unrolled: 1-line block ×3, first 2 shown]
	s_waitcnt lgkmcnt(0)
	s_and_b32 s10, s10, 0xffff
	v_mad_u32_u24 v141, v0, s10, v131
	v_and_b32_e32 v141, 63, v141
	v_cmp_gt_u32_e32 vcc, 32, v141
	s_and_saveexec_b64 s[10:11], vcc
	s_cbranch_execz .LBB74_10
; %bb.7:                                ;   in Loop: Header=BB74_5 Depth=1
	v_add_co_u32_e32 v142, vcc, v134, v141
	v_addc_co_u32_e32 v143, vcc, 0, v135, vcc
	v_cmp_gt_i64_e32 vcc, s[12:13], v[142:143]
	v_mov_b32_e32 v171, 0
	v_mov_b32_e32 v132, 0
	s_and_saveexec_b64 s[36:37], vcc
	s_cbranch_execz .LBB74_9
; %bb.8:                                ;   in Loop: Header=BB74_5 Depth=1
	v_lshlrev_b64 v[142:143], 2, v[142:143]
	v_mov_b32_e32 v132, s23
	v_add_co_u32_e32 v144, vcc, s22, v142
	v_addc_co_u32_e32 v145, vcc, v132, v143, vcc
	v_mov_b32_e32 v132, s21
	v_add_co_u32_e32 v142, vcc, s20, v142
	v_addc_co_u32_e32 v143, vcc, v132, v143, vcc
	global_load_dword v171, v[142:143], off
	global_load_dword v132, v[144:145], off
.LBB74_9:                               ;   in Loop: Header=BB74_5 Depth=1
	s_or_b64 exec, exec, s[36:37]
.LBB74_10:                              ;   in Loop: Header=BB74_5 Depth=1
	s_or_b64 exec, exec, s[10:11]
	v_cmp_gt_i64_e32 vcc, s[12:13], v[134:135]
	s_and_b64 s[36:37], s[2:3], vcc
	v_mov_b32_e32 v141, 0
	s_and_saveexec_b64 s[10:11], s[36:37]
	s_cbranch_execz .LBB74_12
; %bb.11:                               ;   in Loop: Header=BB74_5 Depth=1
	v_add_co_u32_e32 v140, vcc, v128, v136
	v_addc_co_u32_e32 v141, vcc, v125, v137, vcc
	global_load_ushort v142, v[140:141], off
	v_add_co_u32_e32 v140, vcc, v130, v136
	v_addc_co_u32_e32 v141, vcc, v127, v137, vcc
	global_load_ushort v141, v[140:141], off
	s_waitcnt vmcnt(1)
	v_cvt_f32_f16_e32 v140, v142
	s_waitcnt vmcnt(0)
	v_cvt_f32_f16_e32 v141, v141
.LBB74_12:                              ;   in Loop: Header=BB74_5 Depth=1
	s_or_b64 exec, exec, s[10:11]
	v_add_co_u32_e32 v142, vcc, 1, v134
	v_addc_co_u32_e32 v143, vcc, 0, v135, vcc
	v_cmp_gt_i64_e32 vcc, s[12:13], v[142:143]
	s_and_b64 s[36:37], s[2:3], vcc
	v_mov_b32_e32 v142, 0
	v_mov_b32_e32 v144, 0
	v_mov_b32_e32 v143, 0
	s_and_saveexec_b64 s[10:11], s[36:37]
	s_cbranch_execz .LBB74_14
; %bb.13:                               ;   in Loop: Header=BB74_5 Depth=1
	v_add_co_u32_e32 v144, vcc, v124, v136
	v_addc_co_u32_e32 v145, vcc, v121, v137, vcc
	global_load_ushort v143, v[144:145], off
	v_add_co_u32_e32 v144, vcc, v126, v136
	v_addc_co_u32_e32 v145, vcc, v123, v137, vcc
	global_load_ushort v145, v[144:145], off
	s_waitcnt vmcnt(1)
	v_cvt_f32_f16_e32 v144, v143
	s_waitcnt vmcnt(0)
	v_cvt_f32_f16_e32 v143, v145
.LBB74_14:                              ;   in Loop: Header=BB74_5 Depth=1
	s_or_b64 exec, exec, s[10:11]
	v_add_co_u32_e32 v146, vcc, 2, v134
	v_addc_co_u32_e32 v147, vcc, 0, v135, vcc
	v_cmp_gt_i64_e32 vcc, s[12:13], v[146:147]
	s_and_b64 s[36:37], s[2:3], vcc
	v_mov_b32_e32 v147, 0
	s_and_saveexec_b64 s[10:11], s[36:37]
	s_cbranch_execz .LBB74_16
; %bb.15:                               ;   in Loop: Header=BB74_5 Depth=1
	v_add_co_u32_e32 v146, vcc, v120, v136
	v_addc_co_u32_e32 v147, vcc, v117, v137, vcc
	global_load_ushort v142, v[146:147], off
	v_add_co_u32_e32 v146, vcc, v122, v136
	v_addc_co_u32_e32 v147, vcc, v119, v137, vcc
	global_load_ushort v145, v[146:147], off
	s_waitcnt vmcnt(1)
	v_cvt_f32_f16_e32 v142, v142
	s_waitcnt vmcnt(0)
	v_cvt_f32_f16_e32 v147, v145
.LBB74_16:                              ;   in Loop: Header=BB74_5 Depth=1
	s_or_b64 exec, exec, s[10:11]
	v_add_co_u32_e32 v148, vcc, 3, v134
	v_addc_co_u32_e32 v149, vcc, 0, v135, vcc
	v_cmp_gt_i64_e32 vcc, s[12:13], v[148:149]
	s_and_b64 s[36:37], s[2:3], vcc
	v_mov_b32_e32 v146, 0
	v_mov_b32_e32 v148, 0
	v_mov_b32_e32 v149, 0
	s_and_saveexec_b64 s[10:11], s[36:37]
	s_cbranch_execz .LBB74_18
; %bb.17:                               ;   in Loop: Header=BB74_5 Depth=1
	v_add_co_u32_e32 v148, vcc, v116, v136
	v_addc_co_u32_e32 v149, vcc, v113, v137, vcc
	global_load_ushort v145, v[148:149], off
	v_add_co_u32_e32 v148, vcc, v118, v136
	v_addc_co_u32_e32 v149, vcc, v115, v137, vcc
	global_load_ushort v149, v[148:149], off
	s_waitcnt vmcnt(1)
	v_cvt_f32_f16_e32 v148, v145
	s_waitcnt vmcnt(0)
	v_cvt_f32_f16_e32 v149, v149
.LBB74_18:                              ;   in Loop: Header=BB74_5 Depth=1
	s_or_b64 exec, exec, s[10:11]
	v_add_co_u32_e32 v150, vcc, 4, v134
	v_addc_co_u32_e32 v151, vcc, 0, v135, vcc
	;; [unrolled: 42-line block ×15, first 2 shown]
	v_cmp_gt_i64_e32 vcc, s[12:13], v[208:209]
	s_and_b64 s[36:37], s[2:3], vcc
	v_mov_b32_e32 v207, 0
	s_and_saveexec_b64 s[10:11], s[36:37]
	s_cbranch_execz .LBB74_72
; %bb.71:                               ;   in Loop: Header=BB74_5 Depth=1
	v_add_co_u32_e32 v208, vcc, v8, v136
	v_addc_co_u32_e32 v209, vcc, v5, v137, vcc
	global_load_ushort v145, v[208:209], off
	v_add_co_u32_e32 v208, vcc, v10, v136
	v_addc_co_u32_e32 v209, vcc, v7, v137, vcc
	global_load_ushort v165, v[208:209], off
	s_waitcnt vmcnt(1)
	v_cvt_f32_f16_e32 v200, v145
	s_waitcnt vmcnt(0)
	v_cvt_f32_f16_e32 v207, v165
.LBB74_72:                              ;   in Loop: Header=BB74_5 Depth=1
	s_or_b64 exec, exec, s[10:11]
	v_add_co_u32_e32 v208, vcc, 31, v134
	v_addc_co_u32_e32 v209, vcc, 0, v135, vcc
	v_cmp_gt_i64_e32 vcc, s[12:13], v[208:209]
	s_and_b64 s[36:37], s[2:3], vcc
	v_mov_b32_e32 v170, 0
	v_mov_b32_e32 v205, 0
	s_and_saveexec_b64 s[10:11], s[36:37]
	s_cbranch_execz .LBB74_74
; %bb.73:                               ;   in Loop: Header=BB74_5 Depth=1
	v_add_co_u32_e32 v208, vcc, v4, v136
	v_addc_co_u32_e32 v209, vcc, v1, v137, vcc
	global_load_ushort v145, v[208:209], off
	v_add_co_u32_e32 v208, vcc, v6, v136
	v_addc_co_u32_e32 v209, vcc, v3, v137, vcc
	global_load_ushort v165, v[208:209], off
	s_waitcnt vmcnt(1)
	v_cvt_f32_f16_e32 v170, v145
	s_waitcnt vmcnt(0)
	v_cvt_f32_f16_e32 v205, v165
.LBB74_74:                              ;   in Loop: Header=BB74_5 Depth=1
	s_or_b64 exec, exec, s[10:11]
	s_waitcnt vmcnt(1)
	ds_bpermute_b32 v145, v204, v171
	s_waitcnt vmcnt(0)
	ds_bpermute_b32 v165, v204, v132
	ds_bpermute_b32 v209, v204, v171 offset:4
	ds_bpermute_b32 v208, v204, v132 offset:4
	;; [unrolled: 1-line block ×3, first 2 shown]
	s_waitcnt lgkmcnt(4)
	v_sub_f32_e32 v141, v141, v145
	v_mul_f32_e32 v141, v140, v141
	s_waitcnt lgkmcnt(3)
	v_mul_f32_e32 v141, v141, v165
	ds_bpermute_b32 v165, v204, v132 offset:8
	s_waitcnt lgkmcnt(3)
	v_sub_f32_e32 v143, v143, v209
	v_mul_f32_e32 v143, v144, v143
	s_waitcnt lgkmcnt(2)
	v_mul_f32_e32 v145, v143, v208
	s_waitcnt lgkmcnt(1)
	v_sub_f32_e32 v143, v147, v210
	ds_bpermute_b32 v147, v204, v171 offset:12
	v_mul_f32_e32 v143, v142, v143
	s_waitcnt lgkmcnt(1)
	v_mul_f32_e32 v143, v143, v165
	ds_bpermute_b32 v165, v204, v132 offset:12
	ds_bpermute_b32 v208, v204, v171 offset:16
	s_waitcnt lgkmcnt(2)
	v_sub_f32_e32 v147, v149, v147
	v_mul_f32_e32 v147, v148, v147
	v_pk_add_f32 v[140:141], v[138:139], v[140:141]
	s_waitcnt lgkmcnt(1)
	v_mul_f32_e32 v149, v147, v165
	s_waitcnt lgkmcnt(0)
	v_sub_f32_e32 v147, v151, v208
	ds_bpermute_b32 v151, v204, v171 offset:20
	ds_bpermute_b32 v165, v204, v132 offset:20
	;; [unrolled: 1-line block ×3, first 2 shown]
	v_pk_add_f32 v[140:141], v[140:141], v[144:145]
	v_pk_add_f32 v[140:141], v[140:141], v[142:143]
	s_waitcnt lgkmcnt(2)
	v_sub_f32_e32 v151, v153, v151
	v_mul_f32_e32 v151, v152, v151
	s_waitcnt lgkmcnt(1)
	v_mul_f32_e32 v153, v151, v165
	s_waitcnt lgkmcnt(0)
	v_sub_f32_e32 v151, v155, v208
	ds_bpermute_b32 v155, v204, v171 offset:28
	ds_bpermute_b32 v165, v204, v132 offset:28
	ds_bpermute_b32 v208, v204, v171 offset:32
	ds_bpermute_b32 v142, v204, v171 offset:44
	ds_bpermute_b32 v143, v204, v132 offset:44
	s_waitcnt lgkmcnt(4)
	v_sub_f32_e32 v155, v157, v155
	v_mul_f32_e32 v155, v156, v155
	s_waitcnt lgkmcnt(3)
	v_mul_f32_e32 v157, v155, v165
	s_waitcnt lgkmcnt(2)
	v_sub_f32_e32 v155, v159, v208
	ds_bpermute_b32 v159, v204, v171 offset:36
	ds_bpermute_b32 v165, v204, v132 offset:36
	;; [unrolled: 1-line block ×3, first 2 shown]
	s_waitcnt lgkmcnt(4)
	v_sub_f32_e32 v142, v167, v142
	ds_bpermute_b32 v144, v204, v171 offset:48
	s_waitcnt lgkmcnt(3)
	v_sub_f32_e32 v159, v161, v159
	ds_bpermute_b32 v161, v204, v132 offset:40
	v_mul_f32_e32 v159, v164, v159
	s_waitcnt lgkmcnt(3)
	v_mul_f32_e32 v165, v159, v165
	s_waitcnt lgkmcnt(2)
	v_sub_f32_e32 v159, v163, v208
	v_mul_f32_e32 v159, v162, v159
	v_mul_f32_e32 v142, v160, v142
	s_waitcnt lgkmcnt(0)
	v_mul_f32_e32 v163, v159, v161
	v_mul_f32_e32 v161, v142, v143
	ds_bpermute_b32 v142, v204, v132 offset:48
	ds_bpermute_b32 v143, v204, v171 offset:52
	;; [unrolled: 1-line block ×3, first 2 shown]
	v_sub_f32_e32 v144, v169, v144
	v_mul_f32_e32 v144, v158, v144
	s_waitcnt lgkmcnt(2)
	v_mul_f32_e32 v159, v144, v142
	s_waitcnt lgkmcnt(1)
	v_sub_f32_e32 v142, v173, v143
	ds_bpermute_b32 v143, v204, v171 offset:56
	v_mul_f32_e32 v142, v168, v142
	s_waitcnt lgkmcnt(1)
	v_mul_f32_e32 v169, v142, v145
	ds_bpermute_b32 v142, v204, v132 offset:56
	ds_bpermute_b32 v144, v204, v171 offset:60
	ds_bpermute_b32 v145, v204, v132 offset:60
	s_waitcnt lgkmcnt(3)
	v_sub_f32_e32 v143, v175, v143
	v_mul_f32_e32 v143, v166, v143
	s_waitcnt lgkmcnt(2)
	v_mul_f32_e32 v167, v143, v142
	s_waitcnt lgkmcnt(1)
	v_sub_f32_e32 v142, v177, v144
	ds_bpermute_b32 v143, v204, v171 offset:64
	v_mul_f32_e32 v142, v174, v142
	s_waitcnt lgkmcnt(1)
	v_mul_f32_e32 v175, v142, v145
	ds_bpermute_b32 v142, v204, v132 offset:64
	ds_bpermute_b32 v144, v204, v171 offset:68
	ds_bpermute_b32 v145, v204, v132 offset:68
	s_waitcnt lgkmcnt(3)
	;; [unrolled: 14-line block ×4, first 2 shown]
	v_sub_f32_e32 v143, v187, v143
	v_mul_f32_e32 v143, v182, v143
	s_waitcnt lgkmcnt(2)
	v_mul_f32_e32 v183, v143, v142
	s_waitcnt lgkmcnt(1)
	v_sub_f32_e32 v142, v191, v144
	v_mul_f32_e32 v142, v190, v142
	s_waitcnt lgkmcnt(0)
	v_mul_f32_e32 v191, v142, v145
	ds_bpermute_b32 v142, v204, v171 offset:88
	ds_bpermute_b32 v209, v204, v132 offset:16
	;; [unrolled: 1-line block ×5, first 2 shown]
	v_mul_f32_e32 v147, v146, v147
	s_waitcnt lgkmcnt(4)
	v_sub_f32_e32 v142, v189, v142
	s_waitcnt lgkmcnt(3)
	v_mul_f32_e32 v147, v147, v209
	ds_bpermute_b32 v209, v204, v132 offset:24
	v_mul_f32_e32 v142, v180, v142
	s_waitcnt lgkmcnt(3)
	v_mul_f32_e32 v181, v142, v143
	s_waitcnt lgkmcnt(2)
	v_sub_f32_e32 v142, v193, v144
	ds_bpermute_b32 v143, v204, v171 offset:96
	v_mul_f32_e32 v142, v188, v142
	s_waitcnt lgkmcnt(2)
	v_mul_f32_e32 v189, v142, v145
	ds_bpermute_b32 v142, v204, v132 offset:96
	ds_bpermute_b32 v144, v204, v171 offset:100
	v_mul_f32_e32 v151, v150, v151
	s_waitcnt lgkmcnt(3)
	v_mul_f32_e32 v151, v151, v209
	ds_bpermute_b32 v209, v204, v132 offset:32
	ds_bpermute_b32 v145, v204, v132 offset:100
	v_pk_add_f32 v[140:141], v[140:141], v[148:149]
	s_waitcnt lgkmcnt(4)
	v_sub_f32_e32 v143, v195, v143
	v_pk_add_f32 v[140:141], v[140:141], v[146:147]
	v_mul_f32_e32 v143, v186, v143
	v_pk_add_f32 v[140:141], v[140:141], v[152:153]
	s_waitcnt lgkmcnt(3)
	v_mul_f32_e32 v187, v143, v142
	s_waitcnt lgkmcnt(2)
	v_sub_f32_e32 v142, v197, v144
	ds_bpermute_b32 v143, v204, v171 offset:104
	v_mul_f32_e32 v155, v154, v155
	v_pk_add_f32 v[140:141], v[140:141], v[150:151]
	v_mul_f32_e32 v142, v194, v142
	s_waitcnt lgkmcnt(2)
	v_mul_f32_e32 v155, v155, v209
	v_pk_add_f32 v[140:141], v[140:141], v[156:157]
	s_waitcnt lgkmcnt(1)
	v_mul_f32_e32 v195, v142, v145
	ds_bpermute_b32 v142, v204, v132 offset:104
	ds_bpermute_b32 v144, v204, v171 offset:108
	v_pk_add_f32 v[140:141], v[140:141], v[154:155]
	v_pk_add_f32 v[140:141], v[140:141], v[164:165]
	ds_bpermute_b32 v145, v204, v132 offset:108
	v_pk_add_f32 v[140:141], v[140:141], v[162:163]
	s_waitcnt lgkmcnt(3)
	v_sub_f32_e32 v143, v199, v143
	v_pk_add_f32 v[140:141], v[140:141], v[160:161]
	v_mul_f32_e32 v143, v192, v143
	v_pk_add_f32 v[140:141], v[140:141], v[158:159]
	s_waitcnt lgkmcnt(2)
	v_mul_f32_e32 v193, v143, v142
	s_waitcnt lgkmcnt(1)
	v_sub_f32_e32 v142, v201, v144
	ds_bpermute_b32 v143, v204, v171 offset:112
	v_pk_add_f32 v[140:141], v[140:141], v[168:169]
	v_mul_f32_e32 v142, v198, v142
	v_pk_add_f32 v[140:141], v[140:141], v[166:167]
	s_waitcnt lgkmcnt(1)
	v_mul_f32_e32 v199, v142, v145
	ds_bpermute_b32 v142, v204, v132 offset:112
	ds_bpermute_b32 v144, v204, v171 offset:116
	v_pk_add_f32 v[140:141], v[140:141], v[174:175]
	v_pk_add_f32 v[140:141], v[140:141], v[172:173]
	ds_bpermute_b32 v145, v204, v132 offset:116
	v_pk_add_f32 v[140:141], v[140:141], v[178:179]
	s_waitcnt lgkmcnt(3)
	v_sub_f32_e32 v143, v203, v143
	v_pk_add_f32 v[140:141], v[140:141], v[176:177]
	v_mul_f32_e32 v143, v196, v143
	v_pk_add_f32 v[140:141], v[140:141], v[184:185]
	s_waitcnt lgkmcnt(2)
	v_mul_f32_e32 v197, v143, v142
	s_waitcnt lgkmcnt(1)
	v_sub_f32_e32 v142, v206, v144
	v_pk_add_f32 v[140:141], v[140:141], v[182:183]
	v_mul_f32_e32 v142, v202, v142
	v_pk_add_f32 v[140:141], v[140:141], v[190:191]
	s_waitcnt lgkmcnt(0)
	v_mul_f32_e32 v203, v142, v145
	ds_bpermute_b32 v142, v204, v171 offset:120
	v_pk_add_f32 v[140:141], v[140:141], v[180:181]
	v_pk_add_f32 v[140:141], v[140:141], v[188:189]
	;; [unrolled: 1-line block ×3, first 2 shown]
	ds_bpermute_b32 v143, v204, v132 offset:120
	v_pk_add_f32 v[140:141], v[140:141], v[194:195]
	v_pk_add_f32 v[140:141], v[140:141], v[192:193]
	s_waitcnt lgkmcnt(1)
	v_sub_f32_e32 v144, v207, v142
	ds_bpermute_b32 v132, v204, v132 offset:124
	ds_bpermute_b32 v142, v204, v171 offset:124
	v_pk_add_f32 v[140:141], v[140:141], v[198:199]
	v_pk_add_f32 v[140:141], v[140:141], v[196:197]
	v_mul_f32_e32 v144, v200, v144
	v_pk_add_f32 v[140:141], v[140:141], v[202:203]
	s_waitcnt lgkmcnt(2)
	v_mul_f32_e32 v201, v144, v143
	v_pk_add_f32 v[140:141], v[140:141], v[200:201]
	s_branch .LBB74_4
.LBB74_75:                              ;   in Loop: Header=BB74_5 Depth=1
                                        ; implicit-def: $vgpr140_vgpr141
                                        ; implicit-def: $vgpr132
                                        ; implicit-def: $vgpr170
                                        ; implicit-def: $vgpr205
                                        ; implicit-def: $vgpr142
	s_cbranch_execz .LBB74_4
; %bb.76:                               ;   in Loop: Header=BB74_5 Depth=1
	s_load_dword s10, s[26:27], 0x0
	v_mov_b32_e32 v140, 0
	s_waitcnt lgkmcnt(0)
	v_mov_b32_e32 v132, 0
	v_mov_b32_e32 v171, 0
	s_cmp_lt_u32 s6, s10
	s_cselect_b32 s10, 12, 18
	s_add_u32 s10, s26, s10
	s_addc_u32 s11, s27, 0
	global_load_ushort v141, v133, s[10:11]
	s_waitcnt vmcnt(0)
	v_mad_u32_u24 v141, v0, v141, v131
	v_and_b32_e32 v141, 63, v141
	v_cmp_gt_u32_e32 vcc, 32, v141
	s_and_saveexec_b64 s[10:11], vcc
	s_cbranch_execz .LBB74_80
; %bb.77:                               ;   in Loop: Header=BB74_5 Depth=1
	v_add_co_u32_e32 v134, vcc, v134, v141
	v_addc_co_u32_e32 v135, vcc, 0, v135, vcc
	v_cmp_gt_i64_e32 vcc, s[12:13], v[134:135]
	v_mov_b32_e32 v171, 0
	v_mov_b32_e32 v132, 0
	s_and_saveexec_b64 s[36:37], vcc
	s_cbranch_execz .LBB74_79
; %bb.78:                               ;   in Loop: Header=BB74_5 Depth=1
	v_lshlrev_b64 v[134:135], 2, v[134:135]
	v_mov_b32_e32 v132, s23
	v_add_co_u32_e32 v142, vcc, s22, v134
	v_addc_co_u32_e32 v143, vcc, v132, v135, vcc
	v_mov_b32_e32 v132, s21
	v_add_co_u32_e32 v134, vcc, s20, v134
	v_addc_co_u32_e32 v135, vcc, v132, v135, vcc
	global_load_dword v171, v[134:135], off
	global_load_dword v132, v[142:143], off
.LBB74_79:                              ;   in Loop: Header=BB74_5 Depth=1
	s_or_b64 exec, exec, s[36:37]
.LBB74_80:                              ;   in Loop: Header=BB74_5 Depth=1
	s_or_b64 exec, exec, s[10:11]
	v_mov_b32_e32 v135, 0
	s_and_saveexec_b64 s[10:11], s[2:3]
	s_cbranch_execz .LBB74_82
; %bb.81:                               ;   in Loop: Header=BB74_5 Depth=1
	v_add_co_u32_e32 v134, vcc, v128, v136
	v_addc_co_u32_e32 v135, vcc, v125, v137, vcc
	global_load_ushort v140, v[134:135], off
	v_add_co_u32_e32 v134, vcc, v130, v136
	v_addc_co_u32_e32 v135, vcc, v127, v137, vcc
	global_load_ushort v134, v[134:135], off
	s_waitcnt vmcnt(1)
	v_cvt_f32_f16_e32 v140, v140
	s_waitcnt vmcnt(0)
	v_cvt_f32_f16_e32 v135, v134
.LBB74_82:                              ;   in Loop: Header=BB74_5 Depth=1
	s_or_b64 exec, exec, s[10:11]
	v_mov_b32_e32 v134, 0
	v_mov_b32_e32 v142, 0
	v_mov_b32_e32 v143, 0
	s_and_saveexec_b64 s[10:11], s[2:3]
	s_cbranch_execz .LBB74_84
; %bb.83:                               ;   in Loop: Header=BB74_5 Depth=1
	v_add_co_u32_e32 v142, vcc, v124, v136
	v_addc_co_u32_e32 v143, vcc, v121, v137, vcc
	global_load_ushort v141, v[142:143], off
	v_add_co_u32_e32 v142, vcc, v126, v136
	v_addc_co_u32_e32 v143, vcc, v123, v137, vcc
	global_load_ushort v143, v[142:143], off
	s_waitcnt vmcnt(1)
	v_cvt_f32_f16_e32 v142, v141
	s_waitcnt vmcnt(0)
	v_cvt_f32_f16_e32 v143, v143
.LBB74_84:                              ;   in Loop: Header=BB74_5 Depth=1
	s_or_b64 exec, exec, s[10:11]
	v_mov_b32_e32 v145, 0
	s_and_saveexec_b64 s[10:11], s[2:3]
	s_cbranch_execz .LBB74_86
; %bb.85:                               ;   in Loop: Header=BB74_5 Depth=1
	v_add_co_u32_e32 v144, vcc, v120, v136
	v_addc_co_u32_e32 v145, vcc, v117, v137, vcc
	global_load_ushort v134, v[144:145], off
	v_add_co_u32_e32 v144, vcc, v122, v136
	v_addc_co_u32_e32 v145, vcc, v119, v137, vcc
	global_load_ushort v141, v[144:145], off
	s_waitcnt vmcnt(1)
	v_cvt_f32_f16_e32 v134, v134
	s_waitcnt vmcnt(0)
	v_cvt_f32_f16_e32 v145, v141
.LBB74_86:                              ;   in Loop: Header=BB74_5 Depth=1
	s_or_b64 exec, exec, s[10:11]
	v_mov_b32_e32 v144, 0
	v_mov_b32_e32 v146, 0
	v_mov_b32_e32 v147, 0
	s_and_saveexec_b64 s[10:11], s[2:3]
	s_cbranch_execz .LBB74_88
; %bb.87:                               ;   in Loop: Header=BB74_5 Depth=1
	v_add_co_u32_e32 v146, vcc, v116, v136
	v_addc_co_u32_e32 v147, vcc, v113, v137, vcc
	global_load_ushort v141, v[146:147], off
	v_add_co_u32_e32 v146, vcc, v118, v136
	v_addc_co_u32_e32 v147, vcc, v115, v137, vcc
	global_load_ushort v147, v[146:147], off
	s_waitcnt vmcnt(1)
	v_cvt_f32_f16_e32 v146, v141
	s_waitcnt vmcnt(0)
	v_cvt_f32_f16_e32 v147, v147
.LBB74_88:                              ;   in Loop: Header=BB74_5 Depth=1
	;; [unrolled: 34-line block ×4, first 2 shown]
	s_or_b64 exec, exec, s[10:11]
	v_mov_b32_e32 v159, 0
	s_and_saveexec_b64 s[10:11], s[2:3]
	s_cbranch_execz .LBB74_98
; %bb.97:                               ;   in Loop: Header=BB74_5 Depth=1
	v_add_co_u32_e32 v158, vcc, v96, v136
	v_addc_co_u32_e32 v159, vcc, v93, v137, vcc
	global_load_ushort v141, v[158:159], off
	v_add_co_u32_e32 v158, vcc, v98, v136
	v_addc_co_u32_e32 v159, vcc, v95, v137, vcc
	global_load_ushort v154, v[158:159], off
	s_waitcnt vmcnt(1)
	v_cvt_f32_f16_e32 v152, v141
	s_waitcnt vmcnt(0)
	v_cvt_f32_f16_e32 v159, v154
.LBB74_98:                              ;   in Loop: Header=BB74_5 Depth=1
	s_or_b64 exec, exec, s[10:11]
	v_mov_b32_e32 v160, 0
	v_mov_b32_e32 v162, 0
	;; [unrolled: 1-line block ×3, first 2 shown]
	s_and_saveexec_b64 s[10:11], s[2:3]
	s_cbranch_execz .LBB74_100
; %bb.99:                               ;   in Loop: Header=BB74_5 Depth=1
	v_add_co_u32_e32 v162, vcc, v92, v136
	v_addc_co_u32_e32 v163, vcc, v89, v137, vcc
	global_load_ushort v141, v[162:163], off
	v_add_co_u32_e32 v162, vcc, v94, v136
	v_addc_co_u32_e32 v163, vcc, v91, v137, vcc
	global_load_ushort v154, v[162:163], off
	s_waitcnt vmcnt(1)
	v_cvt_f32_f16_e32 v162, v141
	s_waitcnt vmcnt(0)
	v_cvt_f32_f16_e32 v161, v154
.LBB74_100:                             ;   in Loop: Header=BB74_5 Depth=1
	s_or_b64 exec, exec, s[10:11]
	v_mov_b32_e32 v169, 0
	s_and_saveexec_b64 s[10:11], s[2:3]
	s_cbranch_execz .LBB74_102
; %bb.101:                              ;   in Loop: Header=BB74_5 Depth=1
	v_add_co_u32_e32 v164, vcc, v88, v136
	v_addc_co_u32_e32 v165, vcc, v85, v137, vcc
	global_load_ushort v141, v[164:165], off
	v_add_co_u32_e32 v164, vcc, v90, v136
	v_addc_co_u32_e32 v165, vcc, v87, v137, vcc
	global_load_ushort v154, v[164:165], off
	s_waitcnt vmcnt(1)
	v_cvt_f32_f16_e32 v160, v141
	s_waitcnt vmcnt(0)
	v_cvt_f32_f16_e32 v169, v154
.LBB74_102:                             ;   in Loop: Header=BB74_5 Depth=1
	s_or_b64 exec, exec, s[10:11]
	v_mov_b32_e32 v154, 0
	v_mov_b32_e32 v158, 0
	v_mov_b32_e32 v165, 0
	s_and_saveexec_b64 s[10:11], s[2:3]
	s_cbranch_execz .LBB74_104
; %bb.103:                              ;   in Loop: Header=BB74_5 Depth=1
	v_add_co_u32_e32 v164, vcc, v84, v136
	v_addc_co_u32_e32 v165, vcc, v81, v137, vcc
	global_load_ushort v141, v[164:165], off
	v_add_co_u32_e32 v164, vcc, v86, v136
	v_addc_co_u32_e32 v165, vcc, v83, v137, vcc
	global_load_ushort v157, v[164:165], off
	s_waitcnt vmcnt(1)
	v_cvt_f32_f16_e32 v158, v141
	s_waitcnt vmcnt(0)
	v_cvt_f32_f16_e32 v165, v157
.LBB74_104:                             ;   in Loop: Header=BB74_5 Depth=1
	s_or_b64 exec, exec, s[10:11]
	v_mov_b32_e32 v167, 0
	s_and_saveexec_b64 s[10:11], s[2:3]
	s_cbranch_execz .LBB74_106
; %bb.105:                              ;   in Loop: Header=BB74_5 Depth=1
	v_add_co_u32_e32 v166, vcc, v80, v136
	v_addc_co_u32_e32 v167, vcc, v77, v137, vcc
	global_load_ushort v141, v[166:167], off
	v_add_co_u32_e32 v166, vcc, v82, v136
	v_addc_co_u32_e32 v167, vcc, v79, v137, vcc
	global_load_ushort v157, v[166:167], off
	s_waitcnt vmcnt(1)
	v_cvt_f32_f16_e32 v154, v141
	s_waitcnt vmcnt(0)
	v_cvt_f32_f16_e32 v167, v157
.LBB74_106:                             ;   in Loop: Header=BB74_5 Depth=1
	s_or_b64 exec, exec, s[10:11]
	v_mov_b32_e32 v164, 0
	v_mov_b32_e32 v166, 0
	v_mov_b32_e32 v173, 0
	s_and_saveexec_b64 s[10:11], s[2:3]
	s_cbranch_execz .LBB74_108
; %bb.107:                              ;   in Loop: Header=BB74_5 Depth=1
	v_add_co_u32_e32 v172, vcc, v76, v136
	v_addc_co_u32_e32 v173, vcc, v73, v137, vcc
	global_load_ushort v141, v[172:173], off
	v_add_co_u32_e32 v172, vcc, v78, v136
	v_addc_co_u32_e32 v173, vcc, v75, v137, vcc
	global_load_ushort v157, v[172:173], off
	s_waitcnt vmcnt(1)
	v_cvt_f32_f16_e32 v166, v141
	s_waitcnt vmcnt(0)
	v_cvt_f32_f16_e32 v173, v157
.LBB74_108:                             ;   in Loop: Header=BB74_5 Depth=1
	;; [unrolled: 34-line block ×10, first 2 shown]
	s_or_b64 exec, exec, s[10:11]
	v_mov_b32_e32 v203, 0
	s_and_saveexec_b64 s[10:11], s[2:3]
	s_cbranch_execz .LBB74_142
; %bb.141:                              ;   in Loop: Header=BB74_5 Depth=1
	v_add_co_u32_e32 v208, vcc, v8, v136
	v_addc_co_u32_e32 v209, vcc, v5, v137, vcc
	global_load_ushort v141, v[208:209], off
	v_add_co_u32_e32 v208, vcc, v10, v136
	v_addc_co_u32_e32 v209, vcc, v7, v137, vcc
	global_load_ushort v157, v[208:209], off
	s_waitcnt vmcnt(1)
	v_cvt_f32_f16_e32 v198, v141
	s_waitcnt vmcnt(0)
	v_cvt_f32_f16_e32 v203, v157
.LBB74_142:                             ;   in Loop: Header=BB74_5 Depth=1
	s_or_b64 exec, exec, s[10:11]
	v_mov_b32_e32 v170, 0
	v_mov_b32_e32 v205, 0
	s_and_saveexec_b64 s[10:11], s[2:3]
	s_cbranch_execz .LBB74_3
; %bb.143:                              ;   in Loop: Header=BB74_5 Depth=1
	v_add_co_u32_e32 v208, vcc, v4, v136
	v_addc_co_u32_e32 v209, vcc, v1, v137, vcc
	global_load_ushort v141, v[208:209], off
	v_add_co_u32_e32 v208, vcc, v6, v136
	v_addc_co_u32_e32 v209, vcc, v3, v137, vcc
	global_load_ushort v157, v[208:209], off
	s_waitcnt vmcnt(1)
	v_cvt_f32_f16_e32 v170, v141
	s_waitcnt vmcnt(0)
	v_cvt_f32_f16_e32 v205, v157
	s_branch .LBB74_3
.LBB74_144:
                                        ; implicit-def: $vgpr138_vgpr139
	s_branch .LBB74_146
.LBB74_145:
	s_cbranch_execnz .LBB74_226
.LBB74_146:
	s_mov_b32 s3, 0
	s_mov_b32 s2, s3
	s_and_b64 vcc, exec, s[0:1]
	v_pk_mov_b32 v[138:139], s[2:3], s[2:3] op_sel:[0,1]
	s_cbranch_vccnz .LBB74_226
; %bb.147:
	v_bfe_u32 v128, v211, 10, 10
	s_add_u32 s10, s4, 64
	s_addc_u32 s11, s5, 0
	v_lshlrev_b32_e32 v0, 6, v128
	s_lshl_b64 s[0:1], s[24:25], 1
	v_mov_b32_e32 v1, s1
	v_add_co_u32_e32 v0, vcc, s0, v0
	v_addc_co_u32_e32 v1, vcc, 0, v1, vcc
	v_add_co_u32_e32 v22, vcc, 2, v0
	v_addc_co_u32_e32 v4, vcc, 0, v1, vcc
	;; [unrolled: 2-line block ×10, first 2 shown]
	v_add_co_u32_e32 v50, vcc, 20, v0
	v_pk_mov_b32 v[122:123], s[16:17], s[16:17] op_sel:[0,1]
	v_addc_co_u32_e32 v23, vcc, 0, v1, vcc
	v_pk_mov_b32 v[124:125], s[18:19], s[18:19] op_sel:[0,1]
	v_mad_u64_u32 v[2:3], s[0:1], s14, v22, v[122:123]
	v_mul_lo_u32 v24, s14, v4
	v_mul_lo_u32 v25, s15, v22
	;; [unrolled: 1-line block ×3, first 2 shown]
	v_mad_u64_u32 v[22:23], s[0:1], s14, v22, v[124:125]
	v_add3_u32 v3, v25, v3, v24
	v_mad_u64_u32 v[4:5], s[0:1], s14, v26, v[122:123]
	v_mul_lo_u32 v27, s14, v6
	v_mul_lo_u32 v28, s15, v26
	v_add3_u32 v23, v25, v23, v24
	v_mad_u64_u32 v[24:25], s[0:1], s14, v26, v[124:125]
	v_add3_u32 v5, v28, v5, v27
	v_mad_u64_u32 v[6:7], s[0:1], s14, v29, v[122:123]
	v_mul_lo_u32 v30, s14, v8
	v_mul_lo_u32 v31, s15, v29
	v_add3_u32 v25, v28, v25, v27
	v_mad_u64_u32 v[26:27], s[0:1], s14, v29, v[124:125]
	v_add3_u32 v7, v31, v7, v30
	v_mad_u64_u32 v[8:9], s[0:1], s14, v32, v[122:123]
	v_mul_lo_u32 v33, s14, v10
	v_mul_lo_u32 v34, s15, v32
	v_add_co_u32_e32 v53, vcc, 22, v0
	v_add3_u32 v27, v31, v27, v30
	v_mad_u64_u32 v[30:31], s[0:1], s14, v32, v[124:125]
	v_add3_u32 v9, v34, v9, v33
	v_mad_u64_u32 v[10:11], s[0:1], s14, v35, v[122:123]
	v_mul_lo_u32 v36, s14, v12
	v_mul_lo_u32 v37, s15, v35
	v_mad_u64_u32 v[12:13], s[0:1], s14, v38, v[122:123]
	v_mul_lo_u32 v39, s14, v14
	v_mul_lo_u32 v40, s15, v38
	v_addc_co_u32_e32 v54, vcc, 0, v1, vcc
	v_add3_u32 v31, v34, v31, v33
	v_mad_u64_u32 v[32:33], s[0:1], s14, v35, v[124:125]
	v_mad_u64_u32 v[34:35], s[0:1], s14, v38, v[124:125]
	v_add3_u32 v13, v40, v13, v39
	v_mul_lo_u32 v42, s14, v16
	v_mad_u64_u32 v[16:17], s[0:1], s14, v44, v[122:123]
	v_mul_lo_u32 v45, s14, v18
	v_mul_lo_u32 v46, s15, v44
	v_add3_u32 v35, v40, v35, v39
	v_add_co_u32_e32 v56, vcc, 24, v0
	v_mad_u64_u32 v[38:39], s[0:1], s14, v44, v[124:125]
	v_add3_u32 v17, v46, v17, v45
	v_mul_lo_u32 v48, s14, v20
	v_mad_u64_u32 v[20:21], s[0:1], s14, v50, v[122:123]
	v_mul_lo_u32 v52, s15, v50
	v_addc_co_u32_e32 v57, vcc, 0, v1, vcc
	v_add3_u32 v39, v46, v39, v45
	v_mad_u64_u32 v[44:45], s[0:1], s14, v50, v[124:125]
	v_add3_u32 v11, v37, v11, v36
	v_mad_u64_u32 v[14:15], s[0:1], s14, v41, v[122:123]
	v_mul_lo_u32 v43, s15, v41
	v_add3_u32 v21, v52, v21, v51
	v_add3_u32 v33, v37, v33, v36
	v_mad_u64_u32 v[36:37], s[0:1], s14, v41, v[124:125]
	v_add3_u32 v45, v52, v45, v51
	v_add_co_u32_e32 v52, vcc, 26, v0
	v_add3_u32 v15, v43, v15, v42
	v_mad_u64_u32 v[18:19], s[0:1], s14, v47, v[122:123]
	v_mul_lo_u32 v49, s15, v47
	v_mad_u64_u32 v[28:29], s[0:1], s14, v53, v[122:123]
	v_mul_lo_u32 v54, s14, v54
	v_mul_lo_u32 v55, s15, v53
	v_add3_u32 v37, v43, v37, v42
	v_mad_u64_u32 v[42:43], s[0:1], s14, v47, v[124:125]
	v_mad_u64_u32 v[46:47], s[0:1], s14, v53, v[124:125]
	v_addc_co_u32_e32 v53, vcc, 0, v1, vcc
	v_add3_u32 v19, v49, v19, v48
	v_add3_u32 v29, v55, v29, v54
	v_mad_u64_u32 v[40:41], s[0:1], s14, v56, v[122:123]
	v_add3_u32 v43, v49, v43, v48
	v_mul_lo_u32 v58, s15, v56
	v_add3_u32 v47, v55, v47, v54
	v_mad_u64_u32 v[48:49], s[0:1], s14, v56, v[124:125]
	v_mad_u64_u32 v[50:51], s[0:1], s14, v52, v[122:123]
	v_mul_lo_u32 v54, s14, v53
	v_mul_lo_u32 v55, s15, v52
	v_mad_u64_u32 v[52:53], s[0:1], s14, v52, v[124:125]
	v_add_co_u32_e32 v56, vcc, 28, v0
	v_mul_lo_u32 v57, s14, v57
	v_add3_u32 v51, v55, v51, v54
	v_add3_u32 v53, v55, v53, v54
	v_addc_co_u32_e32 v54, vcc, 0, v1, vcc
	v_add3_u32 v41, v58, v41, v57
	v_add3_u32 v49, v58, v49, v57
	v_mul_lo_u32 v58, s14, v54
	v_mul_lo_u32 v59, s15, v56
	v_mad_u64_u32 v[54:55], s[0:1], s14, v56, v[122:123]
	v_mad_u64_u32 v[56:57], s[0:1], s14, v56, v[124:125]
	v_add_co_u32_e32 v60, vcc, 30, v0
	v_add3_u32 v55, v59, v55, v58
	v_add3_u32 v57, v59, v57, v58
	v_addc_co_u32_e32 v58, vcc, 0, v1, vcc
	v_mul_lo_u32 v62, s14, v58
	v_mul_lo_u32 v63, s15, v60
	v_mad_u64_u32 v[58:59], s[0:1], s14, v60, v[122:123]
	v_mad_u64_u32 v[60:61], s[0:1], s14, v60, v[124:125]
	v_add_co_u32_e32 v64, vcc, 32, v0
	v_add3_u32 v59, v63, v59, v62
	v_add3_u32 v61, v63, v61, v62
	v_addc_co_u32_e32 v62, vcc, 0, v1, vcc
	;; [unrolled: 8-line block ×16, first 2 shown]
	v_add_co_u32_e32 v0, vcc, 62, v0
	v_mul_lo_u32 v126, s14, v118
	v_mul_lo_u32 v127, s15, v120
	v_mad_u64_u32 v[118:119], s[0:1], s14, v120, v[122:123]
	v_mad_u64_u32 v[120:121], s[0:1], s14, v120, v[124:125]
	v_addc_co_u32_e32 v1, vcc, 0, v1, vcc
	v_add3_u32 v119, v127, v119, v126
	v_add3_u32 v121, v127, v121, v126
	v_mad_u64_u32 v[122:123], s[0:1], s14, v0, v[122:123]
	v_mul_lo_u32 v1, s14, v1
	v_mad_u64_u32 v[124:125], s[0:1], s14, v0, v[124:125]
	v_mul_lo_u32 v0, s15, v0
	v_lshlrev_b32_e32 v126, 5, v128
	v_add3_u32 v123, v0, v123, v1
	v_add3_u32 v125, v0, v125, v1
	v_mov_b32_e32 v1, s25
	v_add_co_u32_e32 v0, vcc, s24, v126
	v_addc_co_u32_e32 v1, vcc, 0, v1, vcc
	v_add_co_u32_e32 v127, vcc, 31, v0
	v_accvgpr_write_b32 a1, v128
	v_addc_co_u32_e32 v128, vcc, 0, v1, vcc
	v_mul_lo_u32 v128, s14, v128
	v_mul_lo_u32 v129, s15, v127
	v_mad_u64_u32 v[132:133], s[0:1], s14, v127, 0
	v_add_co_u32_e32 v127, vcc, 30, v0
	v_add3_u32 v133, v133, v128, v129
	v_addc_co_u32_e32 v128, vcc, 0, v1, vcc
	v_mul_lo_u32 v128, s14, v128
	v_mul_lo_u32 v129, s15, v127
	v_mad_u64_u32 v[134:135], s[0:1], s14, v127, 0
	v_add_co_u32_e32 v127, vcc, 29, v0
	v_add3_u32 v135, v135, v128, v129
	;; [unrolled: 6-line block ×29, first 2 shown]
	v_addc_co_u32_e32 v128, vcc, 0, v1, vcc
	v_mul_lo_u32 v128, s14, v128
	v_mul_lo_u32 v129, s15, v127
	v_mad_u64_u32 v[190:191], s[0:1], s14, v127, 0
	v_add3_u32 v191, v191, v128, v129
	v_pk_mov_b32 v[128:129], s[14:15], s[14:15] op_sel:[0,1]
	v_mul_lo_u32 v127, s14, v1
	v_mad_u64_u32 v[192:193], s[0:1], s14, v0, v[128:129]
	v_mul_lo_u32 v128, s15, v0
	v_mad_u64_u32 v[0:1], s[0:1], s14, v0, 0
	v_add3_u32 v1, v1, v127, v128
	v_lshlrev_b64 v[130:131], 1, v[0:1]
	v_add3_u32 v193, v128, v193, v127
	v_mov_b32_e32 v0, s17
	v_add_co_u32_e32 v128, vcc, s16, v130
	v_addc_co_u32_e32 v1, vcc, v0, v131, vcc
	v_mov_b32_e32 v129, s19
	v_add_co_u32_e32 v130, vcc, s18, v130
	v_addc_co_u32_e32 v127, vcc, v129, v131, vcc
	v_lshlrev_b64 v[132:133], 1, v[132:133]
	v_add_co_u32_e32 v194, vcc, s16, v132
	v_addc_co_u32_e32 v131, vcc, v0, v133, vcc
	v_add_co_u32_e32 v132, vcc, s18, v132
	v_accvgpr_write_b32 a3, v131
	v_accvgpr_write_b32 a4, v132
	v_addc_co_u32_e32 v131, vcc, v129, v133, vcc
	v_lshlrev_b64 v[132:133], 1, v[134:135]
	v_add_co_u32_e32 v134, vcc, s16, v132
	v_accvgpr_write_b32 a5, v131
	v_addc_co_u32_e32 v131, vcc, v0, v133, vcc
	v_add_co_u32_e32 v132, vcc, s18, v132
	v_accvgpr_write_b32 a7, v131
	v_accvgpr_write_b32 a8, v132
	v_addc_co_u32_e32 v131, vcc, v129, v133, vcc
	v_lshlrev_b64 v[132:133], 1, v[136:137]
	v_accvgpr_write_b32 a6, v134
	v_add_co_u32_e32 v134, vcc, s16, v132
	v_accvgpr_write_b32 a9, v131
	v_addc_co_u32_e32 v131, vcc, v0, v133, vcc
	v_add_co_u32_e32 v132, vcc, s18, v132
	v_accvgpr_write_b32 a11, v131
	v_accvgpr_write_b32 a12, v132
	v_addc_co_u32_e32 v131, vcc, v129, v133, vcc
	v_lshlrev_b64 v[132:133], 1, v[138:139]
	v_accvgpr_write_b32 a10, v134
	v_add_co_u32_e32 v134, vcc, s16, v132
	v_accvgpr_write_b32 a13, v131
	v_addc_co_u32_e32 v131, vcc, v0, v133, vcc
	v_add_co_u32_e32 v132, vcc, s18, v132
	v_accvgpr_write_b32 a15, v131
	v_accvgpr_write_b32 a16, v132
	v_addc_co_u32_e32 v131, vcc, v129, v133, vcc
	v_lshlrev_b64 v[132:133], 1, v[140:141]
	v_accvgpr_write_b32 a14, v134
	v_add_co_u32_e32 v134, vcc, s16, v132
	v_accvgpr_write_b32 a17, v131
	v_addc_co_u32_e32 v131, vcc, v0, v133, vcc
	v_add_co_u32_e32 v132, vcc, s18, v132
	v_accvgpr_write_b32 a19, v131
	v_accvgpr_write_b32 a20, v132
	v_addc_co_u32_e32 v131, vcc, v129, v133, vcc
	v_lshlrev_b64 v[132:133], 1, v[142:143]
	v_accvgpr_write_b32 a18, v134
	v_add_co_u32_e32 v134, vcc, s16, v132
	v_accvgpr_write_b32 a21, v131
	v_addc_co_u32_e32 v131, vcc, v0, v133, vcc
	v_add_co_u32_e32 v132, vcc, s18, v132
	v_accvgpr_write_b32 a23, v131
	v_accvgpr_write_b32 a24, v132
	v_addc_co_u32_e32 v131, vcc, v129, v133, vcc
	v_lshlrev_b64 v[132:133], 1, v[144:145]
	v_accvgpr_write_b32 a22, v134
	v_add_co_u32_e32 v134, vcc, s16, v132
	v_accvgpr_write_b32 a25, v131
	v_addc_co_u32_e32 v131, vcc, v0, v133, vcc
	v_add_co_u32_e32 v132, vcc, s18, v132
	v_accvgpr_write_b32 a27, v131
	v_accvgpr_write_b32 a28, v132
	v_addc_co_u32_e32 v131, vcc, v129, v133, vcc
	v_lshlrev_b64 v[132:133], 1, v[146:147]
	v_accvgpr_write_b32 a26, v134
	v_add_co_u32_e32 v134, vcc, s16, v132
	v_accvgpr_write_b32 a29, v131
	v_addc_co_u32_e32 v131, vcc, v0, v133, vcc
	v_add_co_u32_e32 v132, vcc, s18, v132
	v_accvgpr_write_b32 a31, v131
	v_accvgpr_write_b32 a32, v132
	v_addc_co_u32_e32 v131, vcc, v129, v133, vcc
	v_lshlrev_b64 v[132:133], 1, v[148:149]
	v_accvgpr_write_b32 a30, v134
	v_add_co_u32_e32 v134, vcc, s16, v132
	v_accvgpr_write_b32 a33, v131
	v_addc_co_u32_e32 v131, vcc, v0, v133, vcc
	v_add_co_u32_e32 v132, vcc, s18, v132
	v_accvgpr_write_b32 a35, v131
	v_accvgpr_write_b32 a36, v132
	v_addc_co_u32_e32 v131, vcc, v129, v133, vcc
	v_lshlrev_b64 v[132:133], 1, v[150:151]
	v_accvgpr_write_b32 a34, v134
	v_add_co_u32_e32 v134, vcc, s16, v132
	v_accvgpr_write_b32 a37, v131
	v_addc_co_u32_e32 v131, vcc, v0, v133, vcc
	v_add_co_u32_e32 v132, vcc, s18, v132
	v_accvgpr_write_b32 a39, v131
	v_accvgpr_write_b32 a40, v132
	v_addc_co_u32_e32 v131, vcc, v129, v133, vcc
	v_lshlrev_b64 v[132:133], 1, v[152:153]
	v_accvgpr_write_b32 a38, v134
	v_add_co_u32_e32 v134, vcc, s16, v132
	v_accvgpr_write_b32 a41, v131
	v_addc_co_u32_e32 v131, vcc, v0, v133, vcc
	v_add_co_u32_e32 v132, vcc, s18, v132
	v_accvgpr_write_b32 a43, v131
	v_accvgpr_write_b32 a44, v132
	v_addc_co_u32_e32 v131, vcc, v129, v133, vcc
	v_lshlrev_b64 v[132:133], 1, v[154:155]
	v_accvgpr_write_b32 a42, v134
	v_add_co_u32_e32 v134, vcc, s16, v132
	v_accvgpr_write_b32 a45, v131
	v_addc_co_u32_e32 v131, vcc, v0, v133, vcc
	v_add_co_u32_e32 v132, vcc, s18, v132
	v_accvgpr_write_b32 a47, v131
	v_accvgpr_write_b32 a48, v132
	v_addc_co_u32_e32 v131, vcc, v129, v133, vcc
	v_lshlrev_b64 v[132:133], 1, v[156:157]
	v_accvgpr_write_b32 a46, v134
	v_add_co_u32_e32 v134, vcc, s16, v132
	v_accvgpr_write_b32 a49, v131
	v_addc_co_u32_e32 v131, vcc, v0, v133, vcc
	v_add_co_u32_e32 v132, vcc, s18, v132
	v_accvgpr_write_b32 a51, v131
	v_accvgpr_write_b32 a52, v132
	v_addc_co_u32_e32 v131, vcc, v129, v133, vcc
	v_lshlrev_b64 v[132:133], 1, v[158:159]
	v_accvgpr_write_b32 a50, v134
	v_add_co_u32_e32 v134, vcc, s16, v132
	v_accvgpr_write_b32 a53, v131
	v_addc_co_u32_e32 v131, vcc, v0, v133, vcc
	v_add_co_u32_e32 v132, vcc, s18, v132
	v_accvgpr_write_b32 a55, v131
	v_accvgpr_write_b32 a56, v132
	v_addc_co_u32_e32 v131, vcc, v129, v133, vcc
	v_lshlrev_b64 v[132:133], 1, v[160:161]
	v_accvgpr_write_b32 a54, v134
	v_add_co_u32_e32 v134, vcc, s16, v132
	v_accvgpr_write_b32 a57, v131
	v_addc_co_u32_e32 v131, vcc, v0, v133, vcc
	v_add_co_u32_e32 v132, vcc, s18, v132
	v_accvgpr_write_b32 a59, v131
	v_accvgpr_write_b32 a60, v132
	v_addc_co_u32_e32 v131, vcc, v129, v133, vcc
	v_lshlrev_b64 v[132:133], 1, v[162:163]
	v_accvgpr_write_b32 a58, v134
	v_add_co_u32_e32 v134, vcc, s16, v132
	v_accvgpr_write_b32 a61, v131
	v_addc_co_u32_e32 v131, vcc, v0, v133, vcc
	v_add_co_u32_e32 v132, vcc, s18, v132
	v_accvgpr_write_b32 a63, v131
	v_accvgpr_write_b32 a64, v132
	v_addc_co_u32_e32 v131, vcc, v129, v133, vcc
	v_lshlrev_b64 v[132:133], 1, v[164:165]
	v_accvgpr_write_b32 a62, v134
	v_add_co_u32_e32 v134, vcc, s16, v132
	v_accvgpr_write_b32 a65, v131
	v_addc_co_u32_e32 v131, vcc, v0, v133, vcc
	v_add_co_u32_e32 v132, vcc, s18, v132
	v_accvgpr_write_b32 a67, v131
	v_accvgpr_write_b32 a68, v132
	v_addc_co_u32_e32 v131, vcc, v129, v133, vcc
	v_lshlrev_b64 v[132:133], 1, v[166:167]
	v_accvgpr_write_b32 a66, v134
	v_add_co_u32_e32 v134, vcc, s16, v132
	v_accvgpr_write_b32 a69, v131
	v_addc_co_u32_e32 v131, vcc, v0, v133, vcc
	v_add_co_u32_e32 v132, vcc, s18, v132
	v_accvgpr_write_b32 a71, v131
	v_accvgpr_write_b32 a72, v132
	v_addc_co_u32_e32 v131, vcc, v129, v133, vcc
	v_lshlrev_b64 v[132:133], 1, v[168:169]
	v_accvgpr_write_b32 a70, v134
	v_add_co_u32_e32 v134, vcc, s16, v132
	v_accvgpr_write_b32 a73, v131
	v_addc_co_u32_e32 v131, vcc, v0, v133, vcc
	v_add_co_u32_e32 v132, vcc, s18, v132
	v_accvgpr_write_b32 a75, v131
	v_accvgpr_write_b32 a76, v132
	v_addc_co_u32_e32 v131, vcc, v129, v133, vcc
	v_lshlrev_b64 v[132:133], 1, v[170:171]
	v_accvgpr_write_b32 a74, v134
	v_add_co_u32_e32 v134, vcc, s16, v132
	v_accvgpr_write_b32 a77, v131
	v_addc_co_u32_e32 v131, vcc, v0, v133, vcc
	v_add_co_u32_e32 v132, vcc, s18, v132
	v_accvgpr_write_b32 a80, v132
	v_addc_co_u32_e32 v207, vcc, v129, v133, vcc
	v_lshlrev_b64 v[132:133], 1, v[172:173]
	v_accvgpr_write_b32 a78, v134
	v_add_co_u32_e32 v134, vcc, s16, v132
	v_accvgpr_write_b32 a79, v131
	v_addc_co_u32_e32 v131, vcc, v0, v133, vcc
	v_add_co_u32_e32 v214, vcc, s18, v132
	v_accvgpr_write_b32 a81, v131
	v_addc_co_u32_e32 v131, vcc, v129, v133, vcc
	v_lshlrev_b64 v[132:133], 1, v[174:175]
	v_add_co_u32_e32 v216, vcc, s16, v132
	v_accvgpr_write_b32 a83, v131
	v_addc_co_u32_e32 v131, vcc, v0, v133, vcc
	v_add_co_u32_e32 v218, vcc, s18, v132
	v_addc_co_u32_e32 v215, vcc, v129, v133, vcc
	v_lshlrev_b64 v[132:133], 1, v[176:177]
	v_add_co_u32_e32 v220, vcc, s16, v132
	v_addc_co_u32_e32 v217, vcc, v0, v133, vcc
	v_add_co_u32_e32 v222, vcc, s18, v132
	v_addc_co_u32_e32 v219, vcc, v129, v133, vcc
	v_lshlrev_b64 v[132:133], 1, v[178:179]
	v_add_co_u32_e32 v224, vcc, s16, v132
	;; [unrolled: 5-line block ×8, first 2 shown]
	v_addc_co_u32_e32 v245, vcc, v0, v133, vcc
	s_load_dword s0, s[4:5], 0x44
	v_add_co_u32_e32 v250, vcc, s18, v132
	v_addc_co_u32_e32 v247, vcc, v129, v133, vcc
	v_lshlrev_b64 v[132:133], 1, v[192:193]
	v_add_co_u32_e32 v252, vcc, s16, v132
	v_addc_co_u32_e32 v249, vcc, v0, v133, vcc
	v_and_b32_e32 v0, 0x3ff, v211
	v_add_co_u32_e32 v254, vcc, s18, v132
	v_accvgpr_write_b32 a84, v0
	v_add_u32_e32 v132, s7, v0
	s_waitcnt lgkmcnt(0)
	s_lshl_b32 s2, s0, 5
	v_mbcnt_lo_u32_b32 v0, -1, 0
	s_mul_i32 s0, s15, s2
	s_mul_hi_u32 s1, s14, s2
	v_mbcnt_hi_u32_b32 v0, -1, v0
	v_addc_co_u32_e32 v251, vcc, v129, v133, vcc
	v_mov_b32_e32 v133, 0
	s_add_i32 s1, s1, s0
	s_mul_i32 s0, s14, s2
	v_lshlrev_b32_e32 v0, 2, v0
	v_accvgpr_write_b32 a2, v194
	v_accvgpr_write_b32 a82, v134
	;; [unrolled: 1-line block ×4, first 2 shown]
	s_lshl_b64 s[16:17], s[0:1], 1
	s_mov_b64 s[18:19], 31
	v_and_b32_e32 v0, 0x100, v0
	v_mov_b32_e32 v134, 0
	v_mov_b32_e32 v135, v133
	s_mov_b64 s[26:27], s[24:25]
	v_mov_b32_e32 v253, v133
	v_accvgpr_write_b32 a87, v133
	v_lshlrev_b64 v[132:133], 1, v[132:133]
	s_branch .LBB74_151
.LBB74_148:                             ;   in Loop: Header=BB74_151 Depth=1
	s_or_b64 exec, exec, s[28:29]
.LBB74_149:                             ;   in Loop: Header=BB74_151 Depth=1
	s_or_b64 exec, exec, s[0:1]
	v_add_co_u32_e32 v136, vcc, v128, v132
	v_addc_co_u32_e32 v137, vcc, v1, v133, vcc
	global_load_ushort v131, v[136:137], off
	v_add_co_u32_e32 v136, vcc, v130, v132
	v_addc_co_u32_e32 v137, vcc, v127, v133, vcc
	s_waitcnt vmcnt(0)
	v_cvt_f32_f16_e32 v174, v131
	global_load_ushort v131, v[136:137], off
	v_add_co_u32_e32 v136, vcc, v2, v132
	v_addc_co_u32_e32 v137, vcc, v3, v133, vcc
	s_waitcnt vmcnt(0)
	v_cvt_f32_f16_e32 v175, v131
	;; [unrolled: 5-line block ×37, first 2 shown]
	global_load_ushort v131, v[136:137], off
	v_add_co_u32_e32 v136, vcc, v74, v132
	v_addc_co_u32_e32 v137, vcc, v75, v133, vcc
	global_load_ushort v136, v[136:137], off
	s_waitcnt vmcnt(1)
	v_cvt_f32_f16_e32 v131, v131
	s_waitcnt vmcnt(0)
	v_cvt_f32_f16_e32 v172, v136
	v_add_co_u32_e32 v136, vcc, v76, v132
	v_addc_co_u32_e32 v137, vcc, v77, v133, vcc
	global_load_ushort v136, v[136:137], off
	s_waitcnt vmcnt(0)
	v_cvt_f32_f16_e32 v173, v136
	v_add_co_u32_e32 v136, vcc, v78, v132
	v_addc_co_u32_e32 v137, vcc, v79, v133, vcc
	global_load_ushort v136, v[136:137], off
	;; [unrolled: 5-line block ×5, first 2 shown]
	s_waitcnt vmcnt(0)
	v_cvt_f32_f16_e32 v183, v136
	v_add_co_u32_e32 v136, vcc, v86, v132
	v_addc_co_u32_e32 v137, vcc, v87, v133, vcc
	v_add_co_u32_e32 v138, vcc, v88, v132
	v_addc_co_u32_e32 v139, vcc, v89, v133, vcc
	global_load_ushort v136, v[136:137], off
	s_waitcnt vmcnt(0)
	v_cvt_f32_f16_e32 v136, v136
	global_load_ushort v137, v[138:139], off
	v_add_co_u32_e32 v138, vcc, v90, v132
	v_addc_co_u32_e32 v139, vcc, v91, v133, vcc
	v_add_co_u32_e32 v140, vcc, v92, v132
	v_addc_co_u32_e32 v141, vcc, v93, v133, vcc
	global_load_ushort v138, v[138:139], off
	s_waitcnt vmcnt(1)
	v_cvt_f32_f16_e32 v137, v137
	global_load_ushort v139, v[140:141], off
	;; [unrolled: 8-line block ×5, first 2 shown]
	v_add_co_u32_e32 v148, vcc, v106, v132
	v_addc_co_u32_e32 v149, vcc, v107, v133, vcc
	v_add_co_u32_e32 v152, vcc, v108, v132
	v_addc_co_u32_e32 v153, vcc, v109, v133, vcc
	global_load_ushort v148, v[148:149], off
	v_cvt_f32_f16_e32 v140, v140
	global_load_ushort v149, v[152:153], off
	v_add_co_u32_e32 v152, vcc, v110, v132
	v_addc_co_u32_e32 v153, vcc, v111, v133, vcc
	v_add_co_u32_e32 v158, vcc, v112, v132
	v_addc_co_u32_e32 v159, vcc, v113, v133, vcc
	global_load_ushort v152, v[152:153], off
	s_waitcnt vmcnt(6)
	v_cvt_f32_f16_e32 v142, v142
	global_load_ushort v153, v[158:159], off
	v_add_co_u32_e32 v158, vcc, v114, v132
	v_addc_co_u32_e32 v159, vcc, v115, v133, vcc
	global_load_ushort v156, v[158:159], off
	v_add_co_u32_e32 v162, vcc, v116, v132
	v_addc_co_u32_e32 v163, vcc, v117, v133, vcc
	s_waitcnt vmcnt(7)
	v_cvt_f32_f16_e32 v143, v143
	s_waitcnt vmcnt(6)
	v_cvt_f32_f16_e32 v144, v144
	;; [unrolled: 2-line block ×8, first 2 shown]
	global_load_ushort v156, v[162:163], off
	v_add_co_u32_e32 v162, vcc, v118, v132
	v_addc_co_u32_e32 v163, vcc, v119, v133, vcc
	v_add_co_u32_e32 v200, vcc, v120, v132
	v_addc_co_u32_e32 v201, vcc, v121, v133, vcc
	s_waitcnt vmcnt(0)
	v_cvt_f32_f16_e32 v159, v156
	global_load_ushort v156, v[162:163], off
	s_waitcnt vmcnt(0)
	v_cvt_f32_f16_e32 v162, v156
	global_load_ushort v156, v[200:201], off
	v_add_co_u32_e32 v200, vcc, v122, v132
	v_addc_co_u32_e32 v201, vcc, v123, v133, vcc
	s_waitcnt vmcnt(0)
	v_cvt_f32_f16_e32 v163, v156
	global_load_ushort v156, v[200:201], off
	v_add_co_u32_e32 v200, vcc, v124, v132
	v_addc_co_u32_e32 v201, vcc, v125, v133, vcc
	global_load_ushort v199, v[200:201], off
	ds_bpermute_b32 v201, v0, v129
	s_waitcnt lgkmcnt(0)
	v_sub_f32_e32 v175, v175, v201
	ds_bpermute_b32 v201, v0, v129 offset:4
	v_mul_f32_e32 v175, v175, v174
	s_waitcnt lgkmcnt(0)
	v_sub_f32_e32 v179, v179, v201
	ds_bpermute_b32 v201, v0, v129 offset:8
	v_mul_f32_e32 v179, v179, v178
	;; [unrolled: 4-line block ×10, first 2 shown]
	s_waitcnt lgkmcnt(0)
	v_sub_f32_e32 v171, v171, v201
	v_mul_f32_e32 v171, v171, v198
	s_waitcnt vmcnt(1)
	v_cvt_f32_f16_e32 v156, v156
	s_waitcnt vmcnt(0)
	v_cvt_f32_f16_e32 v200, v199
	ds_bpermute_b32 v199, v0, v157
	s_waitcnt lgkmcnt(0)
	v_mul_f32_e32 v175, v175, v199
	ds_bpermute_b32 v199, v0, v157 offset:4
	v_pk_add_f32 v[134:135], v[134:135], v[174:175]
	ds_bpermute_b32 v174, v0, v129 offset:44
	s_waitcnt lgkmcnt(1)
	v_mul_f32_e32 v179, v179, v199
	ds_bpermute_b32 v199, v0, v157 offset:8
	s_waitcnt lgkmcnt(1)
	v_sub_f32_e32 v147, v147, v174
	ds_bpermute_b32 v174, v0, v129 offset:48
	v_mul_f32_e32 v147, v147, v146
	v_pk_add_f32 v[134:135], v[134:135], v[178:179]
	s_waitcnt lgkmcnt(1)
	v_mul_f32_e32 v181, v181, v199
	ds_bpermute_b32 v199, v0, v157 offset:12
	s_waitcnt lgkmcnt(1)
	v_sub_f32_e32 v151, v151, v174
	ds_bpermute_b32 v174, v0, v129 offset:52
	v_mul_f32_e32 v151, v151, v150
	v_pk_add_f32 v[134:135], v[134:135], v[180:181]
	s_waitcnt lgkmcnt(1)
	v_mul_f32_e32 v185, v185, v199
	ds_bpermute_b32 v199, v0, v157 offset:16
	s_waitcnt lgkmcnt(1)
	v_sub_f32_e32 v155, v155, v174
	ds_bpermute_b32 v174, v0, v129 offset:56
	v_mul_f32_e32 v155, v155, v154
	v_pk_add_f32 v[134:135], v[134:135], v[184:185]
	s_waitcnt lgkmcnt(1)
	v_mul_f32_e32 v187, v187, v199
	ds_bpermute_b32 v199, v0, v157 offset:20
	s_waitcnt lgkmcnt(1)
	v_sub_f32_e32 v161, v161, v174
	ds_bpermute_b32 v174, v0, v129 offset:60
	v_mul_f32_e32 v161, v161, v160
	v_pk_add_f32 v[134:135], v[134:135], v[186:187]
	s_waitcnt lgkmcnt(1)
	v_mul_f32_e32 v189, v189, v199
	ds_bpermute_b32 v199, v0, v157 offset:24
	s_waitcnt lgkmcnt(1)
	v_sub_f32_e32 v165, v165, v174
	ds_bpermute_b32 v174, v0, v129 offset:64
	v_mul_f32_e32 v165, v165, v164
	v_pk_add_f32 v[134:135], v[134:135], v[188:189]
	s_waitcnt lgkmcnt(1)
	v_mul_f32_e32 v191, v191, v199
	ds_bpermute_b32 v199, v0, v157 offset:28
	s_waitcnt lgkmcnt(1)
	v_sub_f32_e32 v167, v167, v174
	ds_bpermute_b32 v174, v0, v129 offset:68
	v_mul_f32_e32 v167, v167, v166
	v_pk_add_f32 v[134:135], v[134:135], v[190:191]
	s_waitcnt lgkmcnt(1)
	v_mul_f32_e32 v193, v193, v199
	ds_bpermute_b32 v199, v0, v157 offset:32
	s_waitcnt lgkmcnt(1)
	v_sub_f32_e32 v169, v169, v174
	ds_bpermute_b32 v174, v0, v129 offset:72
	v_mul_f32_e32 v169, v169, v168
	v_pk_add_f32 v[134:135], v[134:135], v[192:193]
	s_waitcnt lgkmcnt(1)
	v_mul_f32_e32 v195, v195, v199
	ds_bpermute_b32 v199, v0, v157 offset:36
	s_waitcnt lgkmcnt(1)
	v_sub_f32_e32 v131, v131, v174
	ds_bpermute_b32 v174, v0, v129 offset:76
	v_mul_f32_e32 v131, v131, v170
	v_pk_add_f32 v[134:135], v[134:135], v[194:195]
	s_waitcnt lgkmcnt(1)
	v_mul_f32_e32 v197, v197, v199
	ds_bpermute_b32 v199, v0, v157 offset:40
	s_waitcnt lgkmcnt(1)
	v_sub_f32_e32 v173, v173, v174
	ds_bpermute_b32 v174, v0, v129 offset:80
	v_mul_f32_e32 v173, v173, v172
	v_pk_add_f32 v[134:135], v[134:135], v[196:197]
	s_waitcnt lgkmcnt(1)
	v_mul_f32_e32 v199, v171, v199
	ds_bpermute_b32 v171, v0, v157 offset:44
	s_waitcnt lgkmcnt(1)
	v_sub_f32_e32 v174, v177, v174
	v_mul_f32_e32 v174, v174, v176
	v_pk_add_f32 v[134:135], v[134:135], v[198:199]
	s_waitcnt lgkmcnt(0)
	v_mul_f32_e32 v147, v147, v171
	ds_bpermute_b32 v171, v0, v157 offset:48
	v_pk_add_f32 v[134:135], v[134:135], v[146:147]
	ds_bpermute_b32 v146, v0, v129 offset:88
	s_waitcnt lgkmcnt(1)
	v_mul_f32_e32 v151, v151, v171
	ds_bpermute_b32 v171, v0, v157 offset:52
	s_waitcnt lgkmcnt(1)
	v_sub_f32_e32 v137, v137, v146
	ds_bpermute_b32 v146, v0, v129 offset:92
	v_mul_f32_e32 v137, v137, v136
	v_pk_add_f32 v[134:135], v[134:135], v[150:151]
	s_waitcnt lgkmcnt(1)
	v_mul_f32_e32 v155, v155, v171
	ds_bpermute_b32 v171, v0, v157 offset:56
	s_waitcnt lgkmcnt(1)
	v_sub_f32_e32 v139, v139, v146
	ds_bpermute_b32 v146, v0, v129 offset:96
	v_mul_f32_e32 v139, v139, v138
	v_pk_add_f32 v[134:135], v[134:135], v[154:155]
	;; [unrolled: 8-line block ×5, first 2 shown]
	s_waitcnt lgkmcnt(1)
	v_mul_f32_e32 v169, v169, v171
	ds_bpermute_b32 v171, v0, v157 offset:72
	s_waitcnt lgkmcnt(1)
	v_sub_f32_e32 v146, v149, v146
	v_mul_f32_e32 v146, v146, v148
	v_pk_add_f32 v[134:135], v[134:135], v[168:169]
	s_waitcnt lgkmcnt(0)
	v_mul_f32_e32 v171, v131, v171
	ds_bpermute_b32 v131, v0, v157 offset:76
	v_pk_add_f32 v[134:135], v[134:135], v[170:171]
	s_waitcnt lgkmcnt(0)
	v_mul_f32_e32 v173, v173, v131
	ds_bpermute_b32 v131, v0, v157 offset:80
	;; [unrolled: 4-line block ×3, first 2 shown]
	ds_bpermute_b32 v131, v0, v157 offset:84
	v_pk_add_f32 v[134:135], v[134:135], v[176:177]
	s_waitcnt lgkmcnt(1)
	v_sub_f32_e32 v174, v183, v174
	v_mul_f32_e32 v174, v174, v182
	s_waitcnt lgkmcnt(0)
	v_mul_f32_e32 v183, v174, v131
	ds_bpermute_b32 v131, v0, v157 offset:88
	v_pk_add_f32 v[134:135], v[134:135], v[182:183]
	s_waitcnt lgkmcnt(0)
	v_mul_f32_e32 v137, v137, v131
	ds_bpermute_b32 v131, v0, v157 offset:92
	v_pk_add_f32 v[134:135], v[134:135], v[136:137]
	;; [unrolled: 4-line block ×6, first 2 shown]
	s_waitcnt lgkmcnt(0)
	v_mul_f32_e32 v149, v146, v131
	ds_bpermute_b32 v146, v0, v129 offset:112
	ds_bpermute_b32 v131, v0, v157 offset:112
	v_pk_add_f32 v[134:135], v[134:135], v[148:149]
	s_waitcnt lgkmcnt(1)
	v_sub_f32_e32 v146, v153, v146
	v_mul_f32_e32 v146, v146, v152
	s_waitcnt lgkmcnt(0)
	v_mul_f32_e32 v153, v146, v131
	ds_bpermute_b32 v146, v0, v129 offset:116
	ds_bpermute_b32 v131, v0, v157 offset:116
	v_pk_add_f32 v[134:135], v[134:135], v[152:153]
	s_waitcnt lgkmcnt(1)
	v_sub_f32_e32 v146, v159, v146
	v_mul_f32_e32 v146, v146, v158
	s_waitcnt lgkmcnt(0)
	v_mul_f32_e32 v159, v146, v131
	ds_bpermute_b32 v146, v0, v129 offset:120
	ds_bpermute_b32 v131, v0, v157 offset:120
	;; [unrolled: 1-line block ×3, first 2 shown]
	v_pk_add_f32 v[134:135], v[134:135], v[158:159]
	s_waitcnt lgkmcnt(2)
	v_sub_f32_e32 v146, v163, v146
	v_mul_f32_e32 v146, v146, v162
	s_waitcnt lgkmcnt(1)
	v_mul_f32_e32 v163, v146, v131
	ds_bpermute_b32 v131, v0, v157 offset:124
	s_waitcnt lgkmcnt(1)
	v_sub_f32_e32 v129, v200, v129
	v_mul_f32_e32 v129, v129, v156
	v_pk_add_f32 v[134:135], v[134:135], v[162:163]
	s_waitcnt lgkmcnt(0)
	v_mul_f32_e32 v157, v129, v131
	v_pk_add_f32 v[138:139], v[134:135], v[156:157]
.LBB74_150:                             ;   in Loop: Header=BB74_151 Depth=1
	v_add_co_u32_e32 v126, vcc, s2, v126
	v_mov_b32_e32 v129, s3
	v_addc_co_u32_e32 v253, vcc, v253, v129, vcc
	v_add_co_u32_e32 v2, vcc, s16, v2
	v_mov_b32_e32 v129, s17
	v_addc_co_u32_e32 v3, vcc, v3, v129, vcc
	v_add_co_u32_e32 v4, vcc, s16, v4
	v_addc_co_u32_e32 v5, vcc, v5, v129, vcc
	v_add_co_u32_e32 v6, vcc, s16, v6
	v_addc_co_u32_e32 v7, vcc, v7, v129, vcc
	v_add_co_u32_e32 v8, vcc, s16, v8
	v_addc_co_u32_e32 v9, vcc, v9, v129, vcc
	v_add_co_u32_e32 v10, vcc, s16, v10
	v_addc_co_u32_e32 v11, vcc, v11, v129, vcc
	v_add_co_u32_e32 v12, vcc, s16, v12
	v_addc_co_u32_e32 v13, vcc, v13, v129, vcc
	v_add_co_u32_e32 v14, vcc, s16, v14
	v_addc_co_u32_e32 v15, vcc, v15, v129, vcc
	v_add_co_u32_e32 v16, vcc, s16, v16
	v_addc_co_u32_e32 v17, vcc, v17, v129, vcc
	v_add_co_u32_e32 v18, vcc, s16, v18
	v_addc_co_u32_e32 v19, vcc, v19, v129, vcc
	v_add_co_u32_e32 v20, vcc, s16, v20
	v_addc_co_u32_e32 v21, vcc, v21, v129, vcc
	v_add_co_u32_e32 v28, vcc, s16, v28
	v_addc_co_u32_e32 v29, vcc, v29, v129, vcc
	v_add_co_u32_e32 v40, vcc, s16, v40
	v_addc_co_u32_e32 v41, vcc, v41, v129, vcc
	v_add_co_u32_e32 v50, vcc, s16, v50
	v_addc_co_u32_e32 v51, vcc, v51, v129, vcc
	v_add_co_u32_e32 v54, vcc, s16, v54
	v_addc_co_u32_e32 v55, vcc, v55, v129, vcc
	v_add_co_u32_e32 v58, vcc, s16, v58
	v_addc_co_u32_e32 v59, vcc, v59, v129, vcc
	v_add_co_u32_e32 v62, vcc, s16, v62
	v_addc_co_u32_e32 v63, vcc, v63, v129, vcc
	v_add_co_u32_e32 v66, vcc, s16, v66
	v_addc_co_u32_e32 v67, vcc, v67, v129, vcc
	v_add_co_u32_e32 v70, vcc, s16, v70
	v_addc_co_u32_e32 v71, vcc, v71, v129, vcc
	v_add_co_u32_e32 v74, vcc, s16, v74
	v_addc_co_u32_e32 v75, vcc, v75, v129, vcc
	v_add_co_u32_e32 v78, vcc, s16, v78
	v_addc_co_u32_e32 v79, vcc, v79, v129, vcc
	v_add_co_u32_e32 v82, vcc, s16, v82
	v_addc_co_u32_e32 v83, vcc, v83, v129, vcc
	v_add_co_u32_e32 v86, vcc, s16, v86
	v_addc_co_u32_e32 v87, vcc, v87, v129, vcc
	v_add_co_u32_e32 v90, vcc, s16, v90
	v_addc_co_u32_e32 v91, vcc, v91, v129, vcc
	v_add_co_u32_e32 v94, vcc, s16, v94
	v_addc_co_u32_e32 v95, vcc, v95, v129, vcc
	v_add_co_u32_e32 v98, vcc, s16, v98
	v_addc_co_u32_e32 v99, vcc, v99, v129, vcc
	v_add_co_u32_e32 v102, vcc, s16, v102
	v_addc_co_u32_e32 v103, vcc, v103, v129, vcc
	v_add_co_u32_e32 v106, vcc, s16, v106
	v_addc_co_u32_e32 v107, vcc, v107, v129, vcc
	v_add_co_u32_e32 v110, vcc, s16, v110
	v_addc_co_u32_e32 v111, vcc, v111, v129, vcc
	v_add_co_u32_e32 v114, vcc, s16, v114
	v_addc_co_u32_e32 v115, vcc, v115, v129, vcc
	v_add_co_u32_e32 v118, vcc, s16, v118
	v_addc_co_u32_e32 v119, vcc, v119, v129, vcc
	v_add_co_u32_e32 v122, vcc, s16, v122
	v_addc_co_u32_e32 v123, vcc, v123, v129, vcc
	v_add_co_u32_e32 v128, vcc, s16, v128
	v_addc_co_u32_e32 v1, vcc, v1, v129, vcc
	v_add_co_u32_e32 v22, vcc, s16, v22
	v_addc_co_u32_e32 v23, vcc, v23, v129, vcc
	v_add_co_u32_e32 v24, vcc, s16, v24
	v_addc_co_u32_e32 v25, vcc, v25, v129, vcc
	v_add_co_u32_e32 v26, vcc, s16, v26
	v_addc_co_u32_e32 v27, vcc, v27, v129, vcc
	v_add_co_u32_e32 v30, vcc, s16, v30
	v_addc_co_u32_e32 v31, vcc, v31, v129, vcc
	v_add_co_u32_e32 v32, vcc, s16, v32
	v_addc_co_u32_e32 v33, vcc, v33, v129, vcc
	v_add_co_u32_e32 v34, vcc, s16, v34
	v_addc_co_u32_e32 v35, vcc, v35, v129, vcc
	v_add_co_u32_e32 v36, vcc, s16, v36
	v_addc_co_u32_e32 v37, vcc, v37, v129, vcc
	v_add_co_u32_e32 v38, vcc, s16, v38
	v_addc_co_u32_e32 v39, vcc, v39, v129, vcc
	v_add_co_u32_e32 v42, vcc, s16, v42
	v_addc_co_u32_e32 v43, vcc, v43, v129, vcc
	v_add_co_u32_e32 v44, vcc, s16, v44
	v_addc_co_u32_e32 v45, vcc, v45, v129, vcc
	v_add_co_u32_e32 v46, vcc, s16, v46
	v_addc_co_u32_e32 v47, vcc, v47, v129, vcc
	v_add_co_u32_e32 v48, vcc, s16, v48
	v_addc_co_u32_e32 v49, vcc, v49, v129, vcc
	v_add_co_u32_e32 v52, vcc, s16, v52
	v_addc_co_u32_e32 v53, vcc, v53, v129, vcc
	v_add_co_u32_e32 v56, vcc, s16, v56
	v_addc_co_u32_e32 v57, vcc, v57, v129, vcc
	v_add_co_u32_e32 v60, vcc, s16, v60
	v_addc_co_u32_e32 v61, vcc, v61, v129, vcc
	v_add_co_u32_e32 v64, vcc, s16, v64
	v_addc_co_u32_e32 v65, vcc, v65, v129, vcc
	v_add_co_u32_e32 v68, vcc, s16, v68
	v_addc_co_u32_e32 v69, vcc, v69, v129, vcc
	v_add_co_u32_e32 v72, vcc, s16, v72
	v_addc_co_u32_e32 v73, vcc, v73, v129, vcc
	v_add_co_u32_e32 v76, vcc, s16, v76
	v_addc_co_u32_e32 v77, vcc, v77, v129, vcc
	v_add_co_u32_e32 v80, vcc, s16, v80
	v_addc_co_u32_e32 v81, vcc, v81, v129, vcc
	v_add_co_u32_e32 v84, vcc, s16, v84
	v_addc_co_u32_e32 v85, vcc, v85, v129, vcc
	v_add_co_u32_e32 v88, vcc, s16, v88
	v_addc_co_u32_e32 v89, vcc, v89, v129, vcc
	v_add_co_u32_e32 v92, vcc, s16, v92
	v_addc_co_u32_e32 v93, vcc, v93, v129, vcc
	v_add_co_u32_e32 v96, vcc, s16, v96
	v_addc_co_u32_e32 v97, vcc, v97, v129, vcc
	v_add_co_u32_e32 v100, vcc, s16, v100
	v_addc_co_u32_e32 v101, vcc, v101, v129, vcc
	v_add_co_u32_e32 v104, vcc, s16, v104
	v_addc_co_u32_e32 v105, vcc, v105, v129, vcc
	v_add_co_u32_e32 v108, vcc, s16, v108
	v_addc_co_u32_e32 v109, vcc, v109, v129, vcc
	v_add_co_u32_e32 v112, vcc, s16, v112
	v_addc_co_u32_e32 v113, vcc, v113, v129, vcc
	v_add_co_u32_e32 v116, vcc, s16, v116
	v_addc_co_u32_e32 v117, vcc, v117, v129, vcc
	v_add_co_u32_e32 v120, vcc, s16, v120
	v_addc_co_u32_e32 v121, vcc, v121, v129, vcc
	v_add_co_u32_e32 v124, vcc, s16, v124
	v_addc_co_u32_e32 v125, vcc, v125, v129, vcc
	v_add_co_u32_e32 v130, vcc, s16, v130
	v_addc_co_u32_e32 v127, vcc, v127, v129, vcc
	v_accvgpr_read_b32 v134, a2
	v_add_co_u32_e32 v134, vcc, s16, v134
	v_accvgpr_read_b32 v131, a3
	v_accvgpr_write_b32 a2, v134
	v_addc_co_u32_e32 v131, vcc, v131, v129, vcc
	v_accvgpr_read_b32 v134, a4
	v_accvgpr_write_b32 a3, v131
	v_add_co_u32_e32 v134, vcc, s16, v134
	v_accvgpr_read_b32 v131, a5
	v_accvgpr_write_b32 a4, v134
	v_addc_co_u32_e32 v131, vcc, v131, v129, vcc
	v_accvgpr_read_b32 v134, a6
	v_accvgpr_write_b32 a5, v131
	;; [unrolled: 6-line block ×38, first 2 shown]
	v_add_co_u32_e32 v134, vcc, s16, v134
	v_accvgpr_read_b32 v131, a79
	v_accvgpr_write_b32 a78, v134
	v_addc_co_u32_e32 v131, vcc, v131, v129, vcc
	v_accvgpr_read_b32 v134, a80
	v_add_co_u32_e32 v134, vcc, s16, v134
	v_accvgpr_write_b32 a80, v134
	v_addc_co_u32_e32 v207, vcc, v207, v129, vcc
	v_accvgpr_read_b32 v134, a82
	v_accvgpr_write_b32 a79, v131
	v_add_co_u32_e32 v134, vcc, s16, v134
	v_accvgpr_read_b32 v131, a81
	v_addc_co_u32_e32 v131, vcc, v131, v129, vcc
	v_accvgpr_write_b32 a81, v131
	v_add_co_u32_e32 v214, vcc, s16, v214
	v_accvgpr_read_b32 v131, a83
	v_addc_co_u32_e32 v131, vcc, v131, v129, vcc
	v_accvgpr_write_b32 a83, v131
	v_add_co_u32_e32 v216, vcc, s16, v216
	v_accvgpr_read_b32 v131, a85
	v_addc_co_u32_e32 v131, vcc, v131, v129, vcc
	v_add_co_u32_e32 v218, vcc, s16, v218
	v_addc_co_u32_e32 v215, vcc, v215, v129, vcc
	v_add_co_u32_e32 v220, vcc, s16, v220
	v_addc_co_u32_e32 v217, vcc, v217, v129, vcc
	;; [unrolled: 2-line block ×18, first 2 shown]
	s_add_u32 s26, s26, s2
	v_add_co_u32_e32 v254, vcc, s16, v254
	s_addc_u32 s27, s27, 0
	v_accvgpr_write_b32 a82, v134
	v_addc_co_u32_e32 v251, vcc, v251, v129, vcc
	v_pk_mov_b32 v[134:135], s[12:13], s[12:13] op_sel:[0,1]
	s_add_u32 s18, s18, s2
	v_cmp_ge_i64_e32 vcc, s[26:27], v[134:135]
	v_accvgpr_write_b32 a85, v131
	s_addc_u32 s19, s19, 0
	v_mov_b32_e32 v134, v138
	v_mov_b32_e32 v135, v139
	s_cbranch_vccnz .LBB74_225
.LBB74_151:                             ; =>This Inner Loop Header: Depth=1
	s_add_u32 s0, s24, s18
	s_addc_u32 s1, 0, s19
	v_pk_mov_b32 v[136:137], s[12:13], s[12:13] op_sel:[0,1]
	v_cmp_ge_i64_e32 vcc, s[0:1], v[136:137]
	v_mov_b32_e32 v129, s25
	v_add_co_u32_e64 v136, s[0:1], s24, v126
	v_addc_co_u32_e64 v137, s[0:1], v129, v253, s[0:1]
	s_cbranch_vccz .LBB74_221
; %bb.152:                              ;   in Loop: Header=BB74_151 Depth=1
	s_load_dword s0, s[10:11], 0xc
	v_accvgpr_read_b32 v131, a1
	v_accvgpr_read_b32 v139, a84
	v_mov_b32_e32 v138, 0
	v_mov_b32_e32 v129, 0
	s_waitcnt lgkmcnt(0)
	s_and_b32 s0, s0, 0xffff
	v_mad_u32_u24 v131, v131, s0, v139
	v_and_b32_e32 v131, 63, v131
	v_cmp_gt_u32_e32 vcc, 32, v131
	v_mov_b32_e32 v201, 0
	s_and_saveexec_b64 s[0:1], vcc
	s_cbranch_execz .LBB74_156
; %bb.153:                              ;   in Loop: Header=BB74_151 Depth=1
	v_add_co_u32_e32 v140, vcc, v136, v131
	v_addc_co_u32_e32 v141, vcc, 0, v137, vcc
	v_cmp_gt_i64_e32 vcc, s[12:13], v[140:141]
	v_mov_b32_e32 v201, 0
	v_mov_b32_e32 v129, 0
	s_and_saveexec_b64 s[28:29], vcc
	s_cbranch_execz .LBB74_155
; %bb.154:                              ;   in Loop: Header=BB74_151 Depth=1
	v_lshlrev_b64 v[140:141], 2, v[140:141]
	v_mov_b32_e32 v129, s23
	v_add_co_u32_e32 v142, vcc, s22, v140
	v_addc_co_u32_e32 v143, vcc, v129, v141, vcc
	v_mov_b32_e32 v129, s21
	v_add_co_u32_e32 v140, vcc, s20, v140
	v_addc_co_u32_e32 v141, vcc, v129, v141, vcc
	global_load_dword v201, v[140:141], off
	global_load_dword v129, v[142:143], off
.LBB74_155:                             ;   in Loop: Header=BB74_151 Depth=1
	s_or_b64 exec, exec, s[28:29]
.LBB74_156:                             ;   in Loop: Header=BB74_151 Depth=1
	s_or_b64 exec, exec, s[0:1]
	v_cmp_gt_i64_e32 vcc, s[12:13], v[136:137]
	v_mov_b32_e32 v139, 0
	s_and_saveexec_b64 s[0:1], vcc
	s_cbranch_execz .LBB74_158
; %bb.157:                              ;   in Loop: Header=BB74_151 Depth=1
	v_add_co_u32_e32 v138, vcc, v128, v132
	v_addc_co_u32_e32 v139, vcc, v1, v133, vcc
	global_load_ushort v131, v[138:139], off
	v_add_co_u32_e32 v138, vcc, v130, v132
	v_addc_co_u32_e32 v139, vcc, v127, v133, vcc
	global_load_ushort v139, v[138:139], off
	s_waitcnt vmcnt(1)
	v_cvt_f32_f16_e32 v138, v131
	s_waitcnt vmcnt(0)
	v_cvt_f32_f16_e32 v139, v139
.LBB74_158:                             ;   in Loop: Header=BB74_151 Depth=1
	s_or_b64 exec, exec, s[0:1]
	v_add_co_u32_e32 v140, vcc, 1, v136
	v_addc_co_u32_e32 v141, vcc, 0, v137, vcc
	v_cmp_gt_i64_e32 vcc, s[12:13], v[140:141]
	v_mov_b32_e32 v140, 0
	v_mov_b32_e32 v142, 0
	v_mov_b32_e32 v143, 0
	s_and_saveexec_b64 s[0:1], vcc
	s_cbranch_execz .LBB74_160
; %bb.159:                              ;   in Loop: Header=BB74_151 Depth=1
	v_add_co_u32_e32 v142, vcc, v252, v132
	v_addc_co_u32_e32 v143, vcc, v249, v133, vcc
	global_load_ushort v131, v[142:143], off
	v_add_co_u32_e32 v142, vcc, v254, v132
	v_addc_co_u32_e32 v143, vcc, v251, v133, vcc
	global_load_ushort v141, v[142:143], off
	s_waitcnt vmcnt(1)
	v_cvt_f32_f16_e32 v142, v131
	s_waitcnt vmcnt(0)
	v_cvt_f32_f16_e32 v143, v141
.LBB74_160:                             ;   in Loop: Header=BB74_151 Depth=1
	s_or_b64 exec, exec, s[0:1]
	v_add_co_u32_e32 v144, vcc, 2, v136
	v_addc_co_u32_e32 v145, vcc, 0, v137, vcc
	v_cmp_gt_i64_e32 vcc, s[12:13], v[144:145]
	v_mov_b32_e32 v141, 0
	s_and_saveexec_b64 s[0:1], vcc
	s_cbranch_execz .LBB74_162
; %bb.161:                              ;   in Loop: Header=BB74_151 Depth=1
	v_add_co_u32_e32 v140, vcc, v248, v132
	v_addc_co_u32_e32 v141, vcc, v245, v133, vcc
	global_load_ushort v131, v[140:141], off
	v_add_co_u32_e32 v140, vcc, v250, v132
	v_addc_co_u32_e32 v141, vcc, v247, v133, vcc
	global_load_ushort v141, v[140:141], off
	s_waitcnt vmcnt(1)
	v_cvt_f32_f16_e32 v140, v131
	s_waitcnt vmcnt(0)
	v_cvt_f32_f16_e32 v141, v141
.LBB74_162:                             ;   in Loop: Header=BB74_151 Depth=1
	s_or_b64 exec, exec, s[0:1]
	v_add_co_u32_e32 v144, vcc, 3, v136
	v_addc_co_u32_e32 v145, vcc, 0, v137, vcc
	v_cmp_gt_i64_e32 vcc, s[12:13], v[144:145]
	v_mov_b32_e32 v148, 0
	v_mov_b32_e32 v150, 0
	v_mov_b32_e32 v147, 0
	s_and_saveexec_b64 s[0:1], vcc
	s_cbranch_execz .LBB74_164
; %bb.163:                              ;   in Loop: Header=BB74_151 Depth=1
	v_add_co_u32_e32 v144, vcc, v244, v132
	v_addc_co_u32_e32 v145, vcc, v241, v133, vcc
	global_load_ushort v131, v[144:145], off
	v_add_co_u32_e32 v144, vcc, v246, v132
	v_addc_co_u32_e32 v145, vcc, v243, v133, vcc
	global_load_ushort v144, v[144:145], off
	s_waitcnt vmcnt(1)
	v_cvt_f32_f16_e32 v150, v131
	s_waitcnt vmcnt(0)
	v_cvt_f32_f16_e32 v147, v144
.LBB74_164:                             ;   in Loop: Header=BB74_151 Depth=1
	s_or_b64 exec, exec, s[0:1]
	v_add_co_u32_e32 v144, vcc, 4, v136
	v_addc_co_u32_e32 v145, vcc, 0, v137, vcc
	;; [unrolled: 40-line block ×5, first 2 shown]
	v_cmp_gt_i64_e32 vcc, s[12:13], v[152:153]
	v_mov_b32_e32 v177, 0
	s_and_saveexec_b64 s[0:1], vcc
	s_cbranch_execz .LBB74_178
; %bb.177:                              ;   in Loop: Header=BB74_151 Depth=1
	v_add_co_u32_e32 v152, vcc, v216, v132
	v_accvgpr_read_b32 v131, a85
	v_addc_co_u32_e32 v153, vcc, v131, v133, vcc
	global_load_ushort v131, v[152:153], off
	v_add_co_u32_e32 v152, vcc, v218, v132
	v_addc_co_u32_e32 v153, vcc, v215, v133, vcc
	global_load_ushort v144, v[152:153], off
	s_waitcnt vmcnt(1)
	v_cvt_f32_f16_e32 v182, v131
	s_waitcnt vmcnt(0)
	v_cvt_f32_f16_e32 v177, v144
.LBB74_178:                             ;   in Loop: Header=BB74_151 Depth=1
	s_or_b64 exec, exec, s[0:1]
	v_add_co_u32_e32 v152, vcc, 11, v136
	v_addc_co_u32_e32 v153, vcc, 0, v137, vcc
	v_cmp_gt_i64_e32 vcc, s[12:13], v[152:153]
	v_mov_b32_e32 v144, 0
	v_mov_b32_e32 v146, 0
	;; [unrolled: 1-line block ×3, first 2 shown]
	s_and_saveexec_b64 s[0:1], vcc
	s_cbranch_execz .LBB74_180
; %bb.179:                              ;   in Loop: Header=BB74_151 Depth=1
	v_accvgpr_read_b32 v146, a82
	v_add_co_u32_e32 v152, vcc, v146, v132
	v_accvgpr_read_b32 v131, a81
	v_addc_co_u32_e32 v153, vcc, v131, v133, vcc
	global_load_ushort v131, v[152:153], off
	v_add_co_u32_e32 v152, vcc, v214, v132
	v_accvgpr_read_b32 v149, a83
	v_addc_co_u32_e32 v153, vcc, v149, v133, vcc
	global_load_ushort v149, v[152:153], off
	s_waitcnt vmcnt(1)
	v_cvt_f32_f16_e32 v146, v131
	s_waitcnt vmcnt(0)
	v_cvt_f32_f16_e32 v153, v149
.LBB74_180:                             ;   in Loop: Header=BB74_151 Depth=1
	s_or_b64 exec, exec, s[0:1]
	v_add_co_u32_e32 v162, vcc, 12, v136
	v_addc_co_u32_e32 v163, vcc, 0, v137, vcc
	v_cmp_gt_i64_e32 vcc, s[12:13], v[162:163]
	v_mov_b32_e32 v167, 0
	s_and_saveexec_b64 s[0:1], vcc
	s_cbranch_execz .LBB74_182
; %bb.181:                              ;   in Loop: Header=BB74_151 Depth=1
	v_accvgpr_read_b32 v144, a78
	v_add_co_u32_e32 v162, vcc, v144, v132
	v_accvgpr_read_b32 v131, a79
	v_addc_co_u32_e32 v163, vcc, v131, v133, vcc
	v_accvgpr_read_b32 v144, a80
	global_load_ushort v131, v[162:163], off
	v_add_co_u32_e32 v162, vcc, v144, v132
	v_addc_co_u32_e32 v163, vcc, v207, v133, vcc
	global_load_ushort v149, v[162:163], off
	s_waitcnt vmcnt(1)
	v_cvt_f32_f16_e32 v144, v131
	s_waitcnt vmcnt(0)
	v_cvt_f32_f16_e32 v167, v149
.LBB74_182:                             ;   in Loop: Header=BB74_151 Depth=1
	s_or_b64 exec, exec, s[0:1]
	v_add_co_u32_e32 v162, vcc, 13, v136
	v_addc_co_u32_e32 v163, vcc, 0, v137, vcc
	v_cmp_gt_i64_e32 vcc, s[12:13], v[162:163]
	v_mov_b32_e32 v154, 0
	v_mov_b32_e32 v156, 0
	v_mov_b32_e32 v163, 0
	s_and_saveexec_b64 s[0:1], vcc
	s_cbranch_execz .LBB74_184
; %bb.183:                              ;   in Loop: Header=BB74_151 Depth=1
	v_accvgpr_read_b32 v152, a74
	v_add_co_u32_e32 v162, vcc, v152, v132
	v_accvgpr_read_b32 v131, a75
	v_addc_co_u32_e32 v163, vcc, v131, v133, vcc
	v_accvgpr_read_b32 v152, a76
	global_load_ushort v131, v[162:163], off
	v_add_co_u32_e32 v162, vcc, v152, v132
	v_accvgpr_read_b32 v149, a77
	v_addc_co_u32_e32 v163, vcc, v149, v133, vcc
	global_load_ushort v149, v[162:163], off
	s_waitcnt vmcnt(1)
	v_cvt_f32_f16_e32 v156, v131
	s_waitcnt vmcnt(0)
	v_cvt_f32_f16_e32 v163, v149
.LBB74_184:                             ;   in Loop: Header=BB74_151 Depth=1
	s_or_b64 exec, exec, s[0:1]
	v_add_co_u32_e32 v174, vcc, 14, v136
	v_addc_co_u32_e32 v175, vcc, 0, v137, vcc
	v_cmp_gt_i64_e32 vcc, s[12:13], v[174:175]
	v_mov_b32_e32 v179, 0
	s_and_saveexec_b64 s[0:1], vcc
	s_cbranch_execz .LBB74_186
; %bb.185:                              ;   in Loop: Header=BB74_151 Depth=1
	v_accvgpr_read_b32 v152, a70
	v_add_co_u32_e32 v174, vcc, v152, v132
	v_accvgpr_read_b32 v131, a71
	v_addc_co_u32_e32 v175, vcc, v131, v133, vcc
	v_accvgpr_read_b32 v152, a72
	global_load_ushort v131, v[174:175], off
	v_add_co_u32_e32 v174, vcc, v152, v132
	v_accvgpr_read_b32 v149, a73
	v_addc_co_u32_e32 v175, vcc, v149, v133, vcc
	global_load_ushort v149, v[174:175], off
	s_waitcnt vmcnt(1)
	v_cvt_f32_f16_e32 v154, v131
	s_waitcnt vmcnt(0)
	v_cvt_f32_f16_e32 v179, v149
.LBB74_186:                             ;   in Loop: Header=BB74_151 Depth=1
	s_or_b64 exec, exec, s[0:1]
	v_add_co_u32_e32 v174, vcc, 15, v136
	v_addc_co_u32_e32 v175, vcc, 0, v137, vcc
	v_cmp_gt_i64_e32 vcc, s[12:13], v[174:175]
	v_mov_b32_e32 v164, 0
	v_mov_b32_e32 v168, 0
	v_mov_b32_e32 v175, 0
	s_and_saveexec_b64 s[0:1], vcc
	s_cbranch_execz .LBB74_188
; %bb.187:                              ;   in Loop: Header=BB74_151 Depth=1
	v_accvgpr_read_b32 v152, a66
	v_add_co_u32_e32 v174, vcc, v152, v132
	v_accvgpr_read_b32 v131, a67
	v_addc_co_u32_e32 v175, vcc, v131, v133, vcc
	v_accvgpr_read_b32 v152, a68
	global_load_ushort v131, v[174:175], off
	v_add_co_u32_e32 v174, vcc, v152, v132
	v_accvgpr_read_b32 v149, a69
	v_addc_co_u32_e32 v175, vcc, v149, v133, vcc
	global_load_ushort v149, v[174:175], off
	s_waitcnt vmcnt(1)
	v_cvt_f32_f16_e32 v168, v131
	s_waitcnt vmcnt(0)
	v_cvt_f32_f16_e32 v175, v149
.LBB74_188:                             ;   in Loop: Header=BB74_151 Depth=1
	s_or_b64 exec, exec, s[0:1]
	v_add_co_u32_e32 v184, vcc, 16, v136
	v_addc_co_u32_e32 v185, vcc, 0, v137, vcc
	v_cmp_gt_i64_e32 vcc, s[12:13], v[184:185]
	v_mov_b32_e32 v191, 0
	s_and_saveexec_b64 s[0:1], vcc
	s_cbranch_execz .LBB74_190
; %bb.189:                              ;   in Loop: Header=BB74_151 Depth=1
	v_accvgpr_read_b32 v152, a62
	v_add_co_u32_e32 v184, vcc, v152, v132
	v_accvgpr_read_b32 v131, a63
	v_addc_co_u32_e32 v185, vcc, v131, v133, vcc
	v_accvgpr_read_b32 v152, a64
	global_load_ushort v131, v[184:185], off
	v_add_co_u32_e32 v184, vcc, v152, v132
	v_accvgpr_read_b32 v149, a65
	v_addc_co_u32_e32 v185, vcc, v149, v133, vcc
	global_load_ushort v149, v[184:185], off
	s_waitcnt vmcnt(1)
	v_cvt_f32_f16_e32 v164, v131
	s_waitcnt vmcnt(0)
	v_cvt_f32_f16_e32 v191, v149
.LBB74_190:                             ;   in Loop: Header=BB74_151 Depth=1
	;; [unrolled: 48-line block ×9, first 2 shown]
	s_or_b64 exec, exec, s[0:1]
	v_add_co_u32_e32 v212, vcc, 31, v136
	v_addc_co_u32_e32 v213, vcc, 0, v137, vcc
	v_cmp_gt_i64_e32 vcc, s[12:13], v[212:213]
	v_mov_b32_e32 v200, 0
	v_mov_b32_e32 v255, 0
	s_and_saveexec_b64 s[0:1], vcc
	s_cbranch_execz .LBB74_220
; %bb.219:                              ;   in Loop: Header=BB74_151 Depth=1
	v_accvgpr_read_b32 v200, a2
	v_add_co_u32_e32 v212, vcc, v200, v132
	v_accvgpr_read_b32 v149, a3
	v_addc_co_u32_e32 v213, vcc, v149, v133, vcc
	v_accvgpr_read_b32 v200, a4
	global_load_ushort v149, v[212:213], off
	v_add_co_u32_e32 v212, vcc, v200, v132
	v_accvgpr_read_b32 v151, a5
	v_addc_co_u32_e32 v213, vcc, v151, v133, vcc
	global_load_ushort v151, v[212:213], off
	s_waitcnt vmcnt(1)
	v_cvt_f32_f16_e32 v200, v149
	s_waitcnt vmcnt(0)
	v_cvt_f32_f16_e32 v255, v151
.LBB74_220:                             ;   in Loop: Header=BB74_151 Depth=1
	s_or_b64 exec, exec, s[0:1]
	s_waitcnt vmcnt(1)
	ds_bpermute_b32 v151, v0, v201
	s_waitcnt vmcnt(0)
	ds_bpermute_b32 v149, v0, v129
	s_waitcnt lgkmcnt(1)
	v_sub_f32_e32 v139, v139, v151
	ds_bpermute_b32 v151, v0, v201 offset:4
	v_mul_f32_e32 v139, v138, v139
	s_waitcnt lgkmcnt(1)
	v_mul_f32_e32 v139, v139, v149
	ds_bpermute_b32 v149, v0, v129 offset:4
	v_pk_add_f32 v[138:139], v[134:135], v[138:139]
	s_waitcnt lgkmcnt(1)
	v_sub_f32_e32 v143, v143, v151
	ds_bpermute_b32 v151, v0, v201 offset:8
	v_mul_f32_e32 v143, v142, v143
	s_waitcnt lgkmcnt(1)
	v_mul_f32_e32 v143, v143, v149
	ds_bpermute_b32 v149, v0, v129 offset:8
	v_pk_add_f32 v[138:139], v[138:139], v[142:143]
	;; [unrolled: 8-line block ×3, first 2 shown]
	s_waitcnt lgkmcnt(1)
	v_sub_f32_e32 v147, v147, v151
	v_mul_f32_e32 v147, v150, v147
	ds_bpermute_b32 v141, v0, v201 offset:44
	s_waitcnt lgkmcnt(1)
	v_mul_f32_e32 v151, v147, v149
	ds_bpermute_b32 v149, v0, v201 offset:16
	ds_bpermute_b32 v147, v0, v129 offset:16
	ds_bpermute_b32 v140, v0, v129 offset:44
	s_waitcnt lgkmcnt(3)
	v_sub_f32_e32 v141, v153, v141
	v_mul_f32_e32 v141, v146, v141
	s_waitcnt lgkmcnt(2)
	v_sub_f32_e32 v145, v145, v149
	v_mul_f32_e32 v145, v148, v145
	s_waitcnt lgkmcnt(1)
	v_mul_f32_e32 v149, v145, v147
	ds_bpermute_b32 v147, v0, v201 offset:20
	ds_bpermute_b32 v145, v0, v129 offset:20
	v_pk_add_f32 v[138:139], v[138:139], v[150:151]
	v_pk_add_f32 v[138:139], v[138:139], v[148:149]
	s_waitcnt lgkmcnt(1)
	v_sub_f32_e32 v147, v157, v147
	v_mul_f32_e32 v147, v160, v147
	s_waitcnt lgkmcnt(0)
	v_mul_f32_e32 v161, v147, v145
	ds_bpermute_b32 v147, v0, v201 offset:24
	ds_bpermute_b32 v145, v0, v129 offset:24
	v_pk_add_f32 v[138:139], v[138:139], v[160:161]
	s_waitcnt lgkmcnt(1)
	v_sub_f32_e32 v147, v155, v147
	v_mul_f32_e32 v147, v158, v147
	s_waitcnt lgkmcnt(0)
	v_mul_f32_e32 v159, v147, v145
	ds_bpermute_b32 v147, v0, v201 offset:28
	ds_bpermute_b32 v145, v0, v129 offset:28
	;; [unrolled: 8-line block ×5, first 2 shown]
	v_pk_add_f32 v[138:139], v[138:139], v[186:187]
	s_waitcnt lgkmcnt(1)
	v_sub_f32_e32 v147, v177, v147
	v_mul_f32_e32 v147, v182, v147
	s_waitcnt lgkmcnt(0)
	v_mul_f32_e32 v183, v147, v145
	v_mul_f32_e32 v147, v141, v140
	ds_bpermute_b32 v141, v0, v201 offset:48
	ds_bpermute_b32 v140, v0, v129 offset:48
	v_pk_add_f32 v[138:139], v[138:139], v[182:183]
	v_pk_add_f32 v[138:139], v[138:139], v[146:147]
	s_waitcnt lgkmcnt(1)
	v_sub_f32_e32 v141, v167, v141
	v_mul_f32_e32 v141, v144, v141
	s_waitcnt lgkmcnt(0)
	v_mul_f32_e32 v145, v141, v140
	ds_bpermute_b32 v141, v0, v201 offset:52
	ds_bpermute_b32 v140, v0, v129 offset:52
	v_pk_add_f32 v[138:139], v[138:139], v[144:145]
	s_waitcnt lgkmcnt(1)
	v_sub_f32_e32 v141, v163, v141
	v_mul_f32_e32 v141, v156, v141
	s_waitcnt lgkmcnt(0)
	v_mul_f32_e32 v157, v141, v140
	ds_bpermute_b32 v141, v0, v201 offset:56
	ds_bpermute_b32 v140, v0, v129 offset:56
	;; [unrolled: 8-line block ×18, first 2 shown]
	ds_bpermute_b32 v129, v0, v129 offset:124
	v_pk_add_f32 v[138:139], v[138:139], v[196:197]
	s_waitcnt lgkmcnt(2)
	v_sub_f32_e32 v140, v205, v140
	v_mul_f32_e32 v140, v194, v140
	s_waitcnt lgkmcnt(1)
	v_mul_f32_e32 v195, v140, v131
	ds_bpermute_b32 v131, v0, v201 offset:124
	v_pk_add_f32 v[138:139], v[138:139], v[194:195]
	s_waitcnt lgkmcnt(0)
	v_sub_f32_e32 v131, v255, v131
	v_mul_f32_e32 v131, v200, v131
	v_mul_f32_e32 v201, v131, v129
	v_pk_add_f32 v[138:139], v[138:139], v[200:201]
	s_branch .LBB74_150
.LBB74_221:                             ;   in Loop: Header=BB74_151 Depth=1
                                        ; implicit-def: $vgpr138_vgpr139
	s_cbranch_execz .LBB74_150
; %bb.222:                              ;   in Loop: Header=BB74_151 Depth=1
	s_load_dword s0, s[10:11], 0x0
	v_accvgpr_read_b32 v129, a87
	v_accvgpr_read_b32 v131, a1
	;; [unrolled: 1-line block ×3, first 2 shown]
	v_mov_b32_e32 v157, 0
	s_waitcnt lgkmcnt(0)
	s_cmp_lt_u32 s6, s0
	s_cselect_b32 s0, 12, 18
	s_add_u32 s0, s10, s0
	s_addc_u32 s1, s11, 0
	global_load_ushort v129, v129, s[0:1]
	s_waitcnt vmcnt(0)
	v_mad_u32_u24 v129, v131, v129, v138
	v_and_b32_e32 v131, 63, v129
	v_cmp_gt_u32_e32 vcc, 32, v131
	v_mov_b32_e32 v129, 0
	s_and_saveexec_b64 s[0:1], vcc
	s_cbranch_execz .LBB74_149
; %bb.223:                              ;   in Loop: Header=BB74_151 Depth=1
	v_add_co_u32_e32 v136, vcc, v136, v131
	v_addc_co_u32_e32 v137, vcc, 0, v137, vcc
	v_cmp_gt_i64_e32 vcc, s[12:13], v[136:137]
	v_mov_b32_e32 v129, 0
	v_mov_b32_e32 v157, 0
	s_and_saveexec_b64 s[28:29], vcc
	s_cbranch_execz .LBB74_148
; %bb.224:                              ;   in Loop: Header=BB74_151 Depth=1
	v_lshlrev_b64 v[136:137], 2, v[136:137]
	v_mov_b32_e32 v129, s23
	v_add_co_u32_e32 v138, vcc, s22, v136
	v_addc_co_u32_e32 v139, vcc, v129, v137, vcc
	v_mov_b32_e32 v129, s21
	v_add_co_u32_e32 v136, vcc, s20, v136
	v_addc_co_u32_e32 v137, vcc, v129, v137, vcc
	global_load_dword v129, v[136:137], off
	global_load_dword v157, v[138:139], off
	s_branch .LBB74_148
.LBB74_225:
	v_accvgpr_read_b32 v211, a0
.LBB74_226:
	s_mov_b32 s7, 0
	s_lshl_b64 s[0:1], s[6:7], 6
	v_and_b32_e32 v0, 0x3ff, v211
	v_or_b32_e32 v4, s0, v0
	v_mov_b32_e32 v5, s1
	v_cmp_gt_i64_e32 vcc, s[14:15], v[4:5]
	s_and_saveexec_b64 s[0:1], vcc
	s_cbranch_execz .LBB74_231
; %bb.227:
	s_load_dword s6, s[4:5], 0x4c
	s_load_dwordx4 s[0:3], s[4:5], 0x30
	v_bfe_u32 v0, v211, 10, 10
	v_mov_b32_e32 v1, 0
	v_mov_b32_e32 v2, s8
	s_waitcnt lgkmcnt(0)
	s_lshr_b32 s4, s6, 16
	v_mad_u64_u32 v[2:3], s[4:5], s4, v2, v[0:1]
	s_cmp_eq_u64 s[0:1], 0
	v_mul_lo_u32 v3, v3, s14
	v_mul_lo_u32 v6, v2, s15
	v_lshlrev_b64 v[0:1], 1, v[4:5]
	s_cbranch_scc1 .LBB74_229
; %bb.228:
	v_mad_u64_u32 v[4:5], s[4:5], v2, s14, 0
	v_add3_u32 v5, v5, v6, v3
	v_lshlrev_b64 v[4:5], 1, v[4:5]
	v_cvt_f16_f32_e32 v7, v139
	v_mov_b32_e32 v8, s1
	v_add_co_u32_e32 v4, vcc, s0, v4
	v_addc_co_u32_e32 v5, vcc, v8, v5, vcc
	v_add_co_u32_e32 v4, vcc, v4, v0
	v_addc_co_u32_e32 v5, vcc, v5, v1, vcc
	global_store_short v[4:5], v7, off
.LBB74_229:
	s_cmp_eq_u64 s[2:3], 0
	s_cbranch_scc1 .LBB74_231
; %bb.230:
	v_mad_u64_u32 v[4:5], s[0:1], v2, s14, 0
	v_add3_u32 v5, v5, v6, v3
	v_lshlrev_b64 v[2:3], 1, v[4:5]
	v_cvt_f16_f32_e32 v7, v138
	v_mov_b32_e32 v4, s3
	v_add_co_u32_e32 v2, vcc, s2, v2
	v_addc_co_u32_e32 v3, vcc, v4, v3, vcc
	v_add_co_u32_e32 v0, vcc, v2, v0
	v_addc_co_u32_e32 v1, vcc, v3, v1, vcc
	global_store_short v[0:1], v7, off
.LBB74_231:
	s_endpgm
	.section	.rodata,"a",@progbits
	.p2align	6, 0x0
	.amdhsa_kernel _ZN2at6native12_GLOBAL__N_135GammaBetaBackwardCUDAKernelTemplateIN3c104HalfEfLj64ELj1ELj32ELb1ELb0ELb0EEEvllPKT_S7_PKT0_SA_PS5_SB_
		.amdhsa_group_segment_fixed_size 0
		.amdhsa_private_segment_fixed_size 0
		.amdhsa_kernarg_size 320
		.amdhsa_user_sgpr_count 6
		.amdhsa_user_sgpr_private_segment_buffer 1
		.amdhsa_user_sgpr_dispatch_ptr 0
		.amdhsa_user_sgpr_queue_ptr 0
		.amdhsa_user_sgpr_kernarg_segment_ptr 1
		.amdhsa_user_sgpr_dispatch_id 0
		.amdhsa_user_sgpr_flat_scratch_init 0
		.amdhsa_user_sgpr_kernarg_preload_length 0
		.amdhsa_user_sgpr_kernarg_preload_offset 0
		.amdhsa_user_sgpr_private_segment_size 0
		.amdhsa_uses_dynamic_stack 0
		.amdhsa_system_sgpr_private_segment_wavefront_offset 0
		.amdhsa_system_sgpr_workgroup_id_x 1
		.amdhsa_system_sgpr_workgroup_id_y 1
		.amdhsa_system_sgpr_workgroup_id_z 0
		.amdhsa_system_sgpr_workgroup_info 0
		.amdhsa_system_vgpr_workitem_id 1
		.amdhsa_next_free_vgpr 344
		.amdhsa_next_free_sgpr 38
		.amdhsa_accum_offset 256
		.amdhsa_reserve_vcc 1
		.amdhsa_reserve_flat_scratch 0
		.amdhsa_float_round_mode_32 0
		.amdhsa_float_round_mode_16_64 0
		.amdhsa_float_denorm_mode_32 3
		.amdhsa_float_denorm_mode_16_64 3
		.amdhsa_dx10_clamp 1
		.amdhsa_ieee_mode 1
		.amdhsa_fp16_overflow 0
		.amdhsa_tg_split 0
		.amdhsa_exception_fp_ieee_invalid_op 0
		.amdhsa_exception_fp_denorm_src 0
		.amdhsa_exception_fp_ieee_div_zero 0
		.amdhsa_exception_fp_ieee_overflow 0
		.amdhsa_exception_fp_ieee_underflow 0
		.amdhsa_exception_fp_ieee_inexact 0
		.amdhsa_exception_int_div_zero 0
	.end_amdhsa_kernel
	.section	.text._ZN2at6native12_GLOBAL__N_135GammaBetaBackwardCUDAKernelTemplateIN3c104HalfEfLj64ELj1ELj32ELb1ELb0ELb0EEEvllPKT_S7_PKT0_SA_PS5_SB_,"axG",@progbits,_ZN2at6native12_GLOBAL__N_135GammaBetaBackwardCUDAKernelTemplateIN3c104HalfEfLj64ELj1ELj32ELb1ELb0ELb0EEEvllPKT_S7_PKT0_SA_PS5_SB_,comdat
.Lfunc_end74:
	.size	_ZN2at6native12_GLOBAL__N_135GammaBetaBackwardCUDAKernelTemplateIN3c104HalfEfLj64ELj1ELj32ELb1ELb0ELb0EEEvllPKT_S7_PKT0_SA_PS5_SB_, .Lfunc_end74-_ZN2at6native12_GLOBAL__N_135GammaBetaBackwardCUDAKernelTemplateIN3c104HalfEfLj64ELj1ELj32ELb1ELb0ELb0EEEvllPKT_S7_PKT0_SA_PS5_SB_
                                        ; -- End function
	.section	.AMDGPU.csdata,"",@progbits
; Kernel info:
; codeLenInByte = 26644
; NumSgprs: 42
; NumVgprs: 256
; NumAgprs: 88
; TotalNumVgprs: 344
; ScratchSize: 0
; MemoryBound: 0
; FloatMode: 240
; IeeeMode: 1
; LDSByteSize: 0 bytes/workgroup (compile time only)
; SGPRBlocks: 5
; VGPRBlocks: 42
; NumSGPRsForWavesPerEU: 42
; NumVGPRsForWavesPerEU: 344
; AccumOffset: 256
; Occupancy: 1
; WaveLimiterHint : 0
; COMPUTE_PGM_RSRC2:SCRATCH_EN: 0
; COMPUTE_PGM_RSRC2:USER_SGPR: 6
; COMPUTE_PGM_RSRC2:TRAP_HANDLER: 0
; COMPUTE_PGM_RSRC2:TGID_X_EN: 1
; COMPUTE_PGM_RSRC2:TGID_Y_EN: 1
; COMPUTE_PGM_RSRC2:TGID_Z_EN: 0
; COMPUTE_PGM_RSRC2:TIDIG_COMP_CNT: 1
; COMPUTE_PGM_RSRC3_GFX90A:ACCUM_OFFSET: 63
; COMPUTE_PGM_RSRC3_GFX90A:TG_SPLIT: 0
	.section	.text._ZN2at6native12_GLOBAL__N_135GammaBetaBackwardCUDAKernelTemplateIN3c104HalfEfLj64ELj1ELj8ELb1ELb1ELb0EEEvllPKT_S7_PKT0_SA_PS5_SB_,"axG",@progbits,_ZN2at6native12_GLOBAL__N_135GammaBetaBackwardCUDAKernelTemplateIN3c104HalfEfLj64ELj1ELj8ELb1ELb1ELb0EEEvllPKT_S7_PKT0_SA_PS5_SB_,comdat
	.globl	_ZN2at6native12_GLOBAL__N_135GammaBetaBackwardCUDAKernelTemplateIN3c104HalfEfLj64ELj1ELj8ELb1ELb1ELb0EEEvllPKT_S7_PKT0_SA_PS5_SB_ ; -- Begin function _ZN2at6native12_GLOBAL__N_135GammaBetaBackwardCUDAKernelTemplateIN3c104HalfEfLj64ELj1ELj8ELb1ELb1ELb0EEEvllPKT_S7_PKT0_SA_PS5_SB_
	.p2align	8
	.type	_ZN2at6native12_GLOBAL__N_135GammaBetaBackwardCUDAKernelTemplateIN3c104HalfEfLj64ELj1ELj8ELb1ELb1ELb0EEEvllPKT_S7_PKT0_SA_PS5_SB_,@function
_ZN2at6native12_GLOBAL__N_135GammaBetaBackwardCUDAKernelTemplateIN3c104HalfEfLj64ELj1ELj8ELb1ELb1ELb0EEEvllPKT_S7_PKT0_SA_PS5_SB_: ; @_ZN2at6native12_GLOBAL__N_135GammaBetaBackwardCUDAKernelTemplateIN3c104HalfEfLj64ELj1ELj8ELb1ELb1ELb0EEEvllPKT_S7_PKT0_SA_PS5_SB_
; %bb.0:
	s_load_dwordx4 s[16:19], s[4:5], 0x0
	s_lshl_b32 s24, s7, 3
	s_mov_b32 s25, 0
	s_mov_b32 s2, s7
	v_bfe_u32 v10, v0, 10, 10
	s_waitcnt lgkmcnt(0)
	v_pk_mov_b32 v[2:3], s[16:17], s[16:17] op_sel:[0,1]
	v_cmp_lt_i64_e32 vcc, s[24:25], v[2:3]
	s_cbranch_vccnz .LBB75_2
; %bb.1:
	s_add_u32 s26, s4, 64
	s_addc_u32 s27, s5, 0
	s_mov_b64 s[0:1], 0
	v_bfe_u32 v2, v0, 10, 10
	s_branch .LBB75_3
.LBB75_2:
	s_mov_b64 s[0:1], -1
                                        ; implicit-def: $sgpr26_sgpr27
                                        ; implicit-def: $vgpr2
.LBB75_3:
	s_load_dwordx4 s[20:23], s[4:5], 0x30
	v_and_b32_e32 v11, 0x3ff, v0
	s_andn2_b64 vcc, exec, s[0:1]
	v_mov_b32_e32 v4, s25
	s_cbranch_vccnz .LBB75_11
; %bb.4:
	s_load_dword s0, s[4:5], 0x4c
	s_load_dword s3, s[4:5], 0x44
	s_load_dwordx8 s[8:15], s[4:5], 0x10
	v_mbcnt_lo_u32_b32 v2, -1, 0
	s_add_u32 s26, s4, 64
	v_mbcnt_hi_u32_b32 v2, -1, v2
	s_addc_u32 s27, s5, 0
	s_waitcnt lgkmcnt(0)
	s_and_b32 s0, s0, 0xffff
	v_lshlrev_b32_e32 v1, 3, v10
	v_lshlrev_b32_e32 v2, 2, v2
	v_mad_u32_u24 v0, v10, s0, v11
	v_and_b32_e32 v12, 0x100, v2
	v_mov_b32_e32 v2, s25
	v_add_co_u32_e32 v6, vcc, s24, v1
	v_and_b32_e32 v0, 63, v0
	v_addc_co_u32_e32 v7, vcc, 0, v2, vcc
	v_cmp_gt_u32_e64 s[0:1], 8, v0
	v_add_co_u32_e32 v0, vcc, v6, v0
	s_lshl_b32 s4, s3, 3
	v_addc_co_u32_e32 v1, vcc, 0, v7, vcc
	v_mul_lo_u32 v8, s19, v6
	v_mul_lo_u32 v9, s18, v7
	v_mad_u64_u32 v[6:7], s[30:31], s18, v6, 0
	v_mov_b32_e32 v5, 0
	v_lshl_add_u32 v4, s6, 6, v11
	v_add3_u32 v7, v7, v9, v8
	s_mul_i32 s3, s19, s4
	s_mul_hi_u32 s7, s18, s4
	s_mov_b32 s5, 0
	v_lshlrev_b64 v[6:7], 1, v[6:7]
	v_lshlrev_b64 v[8:9], 1, v[4:5]
	s_add_i32 s31, s7, s3
	s_mul_i32 s30, s18, s4
	s_lshl_b64 s[28:29], s[4:5], 2
	v_add_co_u32_e32 v6, vcc, v6, v8
	s_lshl_b64 s[30:31], s[30:31], 1
	s_lshl_b64 s[34:35], s[18:19], 1
	v_or_b32_e32 v13, 4, v12
	v_or_b32_e32 v14, 8, v12
	;; [unrolled: 1-line block ×7, first 2 shown]
	v_lshlrev_b64 v[2:3], 2, v[0:1]
	v_addc_co_u32_e32 v7, vcc, v7, v9, vcc
	v_mov_b32_e32 v20, s9
	v_mov_b32_e32 v21, s11
	;; [unrolled: 1-line block ×6, first 2 shown]
	v_pk_mov_b32 v[8:9], s[16:17], s[16:17] op_sel:[0,1]
	v_mov_b32_e32 v4, v5
	s_branch .LBB75_7
.LBB75_5:                               ;   in Loop: Header=BB75_7 Depth=1
	s_or_b64 exec, exec, s[38:39]
.LBB75_6:                               ;   in Loop: Header=BB75_7 Depth=1
	s_or_b64 exec, exec, s[36:37]
	v_add_co_u32_e32 v28, vcc, s8, v6
	v_addc_co_u32_e32 v29, vcc, v20, v7, vcc
	v_add_co_u32_e32 v30, vcc, s10, v6
	v_addc_co_u32_e32 v31, vcc, v21, v7, vcc
	global_load_ushort v32, v[28:29], off
	v_add_co_u32_e32 v28, vcc, s34, v28
	v_addc_co_u32_e32 v29, vcc, v29, v22, vcc
	global_load_ushort v33, v[30:31], off
	;; [unrolled: 3-line block ×14, first 2 shown]
	global_load_ushort v46, v[28:29], off
	v_add_co_u32_e32 v28, vcc, s34, v30
	v_addc_co_u32_e32 v29, vcc, v31, v22, vcc
	global_load_ushort v29, v[28:29], off
	v_add_co_u32_e32 v2, vcc, s28, v2
	v_addc_co_u32_e32 v3, vcc, v3, v23, vcc
	v_add_co_u32_e32 v0, vcc, s4, v0
	v_addc_co_u32_e32 v1, vcc, v1, v24, vcc
	s_waitcnt vmcnt(15)
	v_cvt_f32_f16_e32 v28, v32
	s_add_u32 s24, s24, s4
	v_add_co_u32_e32 v6, vcc, s30, v6
	s_addc_u32 s25, s25, 0
	s_waitcnt vmcnt(14)
	v_cvt_f32_f16_e32 v31, v33
	v_addc_co_u32_e32 v7, vcc, v7, v25, vcc
	v_cmp_lt_i64_e32 vcc, s[24:25], v[8:9]
	s_and_b64 vcc, exec, vcc
	s_waitcnt vmcnt(13)
	v_cvt_f32_f16_e32 v30, v34
	s_waitcnt vmcnt(12)
	v_cvt_f32_f16_e32 v33, v35
	;; [unrolled: 2-line block ×10, first 2 shown]
	ds_bpermute_b32 v43, v12, v27
	s_waitcnt vmcnt(3)
	v_cvt_f32_f16_e32 v40, v44
	s_waitcnt vmcnt(2)
	v_cvt_f32_f16_e32 v44, v45
	ds_bpermute_b32 v45, v12, v26
	s_waitcnt vmcnt(1)
	v_cvt_f32_f16_e32 v42, v46
	s_waitcnt vmcnt(0)
	v_cvt_f32_f16_e32 v46, v29
	s_waitcnt lgkmcnt(1)
	v_sub_f32_e32 v29, v31, v43
	ds_bpermute_b32 v31, v13, v27
	v_mul_f32_e32 v29, v29, v28
	s_waitcnt lgkmcnt(1)
	v_mul_f32_e32 v29, v29, v45
	ds_bpermute_b32 v43, v13, v26
	ds_bpermute_b32 v45, v14, v27
	s_waitcnt lgkmcnt(2)
	v_sub_f32_e32 v31, v33, v31
	ds_bpermute_b32 v33, v14, v26
	v_mul_f32_e32 v31, v31, v30
	s_waitcnt lgkmcnt(2)
	v_mul_f32_e32 v31, v31, v43
	s_waitcnt lgkmcnt(1)
	v_sub_f32_e32 v35, v35, v45
	ds_bpermute_b32 v43, v15, v27
	v_mul_f32_e32 v35, v35, v32
	s_waitcnt lgkmcnt(1)
	v_mul_f32_e32 v33, v35, v33
	ds_bpermute_b32 v35, v15, v26
	ds_bpermute_b32 v45, v16, v27
	s_waitcnt lgkmcnt(2)
	v_sub_f32_e32 v37, v37, v43
	ds_bpermute_b32 v43, v16, v26
	v_mul_f32_e32 v37, v37, v34
	s_waitcnt lgkmcnt(2)
	v_mul_f32_e32 v35, v37, v35
	s_waitcnt lgkmcnt(1)
	v_sub_f32_e32 v37, v39, v45
	ds_bpermute_b32 v39, v17, v27
	v_mul_f32_e32 v37, v37, v36
	s_waitcnt lgkmcnt(1)
	v_mul_f32_e32 v37, v37, v43
	ds_bpermute_b32 v43, v17, v26
	ds_bpermute_b32 v45, v18, v27
	ds_bpermute_b32 v27, v19, v27
	s_waitcnt lgkmcnt(3)
	v_sub_f32_e32 v39, v41, v39
	ds_bpermute_b32 v41, v18, v26
	v_pk_add_f32 v[4:5], v[4:5], v[28:29]
	v_pk_add_f32 v[4:5], v[4:5], v[30:31]
	ds_bpermute_b32 v26, v19, v26
	v_mul_f32_e32 v39, v39, v38
	v_pk_add_f32 v[4:5], v[4:5], v[32:33]
	s_waitcnt lgkmcnt(4)
	v_mul_f32_e32 v39, v39, v43
	s_waitcnt lgkmcnt(3)
	v_sub_f32_e32 v43, v44, v45
	v_pk_add_f32 v[4:5], v[4:5], v[34:35]
	v_mul_f32_e32 v43, v43, v40
	v_pk_add_f32 v[4:5], v[4:5], v[36:37]
	s_waitcnt lgkmcnt(2)
	v_sub_f32_e32 v27, v46, v27
	s_waitcnt lgkmcnt(1)
	v_mul_f32_e32 v41, v43, v41
	v_pk_add_f32 v[4:5], v[4:5], v[38:39]
	v_mul_f32_e32 v27, v27, v42
	v_pk_add_f32 v[4:5], v[4:5], v[40:41]
	s_waitcnt lgkmcnt(0)
	v_mul_f32_e32 v43, v27, v26
	v_pk_add_f32 v[4:5], v[4:5], v[42:43]
	s_cbranch_vccz .LBB75_10
.LBB75_7:                               ; =>This Inner Loop Header: Depth=1
	v_mov_b32_e32 v26, 0
	v_mov_b32_e32 v27, 0
	s_and_saveexec_b64 s[36:37], s[0:1]
	s_cbranch_execz .LBB75_6
; %bb.8:                                ;   in Loop: Header=BB75_7 Depth=1
	v_cmp_gt_i64_e32 vcc, s[16:17], v[0:1]
	v_mov_b32_e32 v27, 0
	v_mov_b32_e32 v26, 0
	s_and_saveexec_b64 s[38:39], vcc
	s_cbranch_execz .LBB75_5
; %bb.9:                                ;   in Loop: Header=BB75_7 Depth=1
	v_mov_b32_e32 v26, s15
	v_add_co_u32_e32 v28, vcc, s14, v2
	v_addc_co_u32_e32 v29, vcc, v26, v3, vcc
	v_mov_b32_e32 v26, s13
	v_add_co_u32_e32 v30, vcc, s12, v2
	v_addc_co_u32_e32 v31, vcc, v26, v3, vcc
	global_load_dword v27, v[30:31], off
	global_load_dword v26, v[28:29], off
	s_branch .LBB75_5
.LBB75_10:
	v_cvt_f16_f32_e32 v0, v5
	v_cvt_f16_f32_e32 v1, v4
	v_mov_b32_e32 v2, v10
	v_pack_b32_f16 v4, v1, v0
.LBB75_11:
	s_mov_b32 s7, 0
	s_lshl_b64 s[0:1], s[6:7], 6
	v_mov_b32_e32 v1, s1
	s_load_dword s1, s[26:27], 0xc
	v_mov_b32_e32 v3, 0
	v_add_co_u32_e32 v0, vcc, s0, v11
	v_mov_b32_e32 v5, s2
	s_waitcnt lgkmcnt(0)
	s_lshr_b32 s0, s1, 16
	v_addc_co_u32_e32 v1, vcc, 0, v1, vcc
	v_mad_u64_u32 v[2:3], s[0:1], s0, v5, v[2:3]
	s_cmp_eq_u64 s[20:21], 0
	v_mul_lo_u32 v3, v3, s18
	v_mul_lo_u32 v5, v2, s19
	v_lshlrev_b64 v[0:1], 1, v[0:1]
	s_cbranch_scc1 .LBB75_13
; %bb.12:
	v_mad_u64_u32 v[6:7], s[0:1], v2, s18, 0
	v_add3_u32 v7, v7, v5, v3
	v_lshlrev_b64 v[6:7], 1, v[6:7]
	v_mov_b32_e32 v8, s21
	v_add_co_u32_e32 v6, vcc, s20, v6
	v_addc_co_u32_e32 v7, vcc, v8, v7, vcc
	v_add_co_u32_e32 v6, vcc, v6, v0
	v_addc_co_u32_e32 v7, vcc, v7, v1, vcc
	global_store_short_d16_hi v[6:7], v4, off
.LBB75_13:
	s_cmp_eq_u64 s[22:23], 0
	s_cbranch_scc1 .LBB75_15
; %bb.14:
	v_mad_u64_u32 v[6:7], s[0:1], v2, s18, 0
	v_add3_u32 v7, v7, v5, v3
	v_lshlrev_b64 v[2:3], 1, v[6:7]
	v_mov_b32_e32 v5, s23
	v_add_co_u32_e32 v2, vcc, s22, v2
	v_addc_co_u32_e32 v3, vcc, v5, v3, vcc
	v_add_co_u32_e32 v0, vcc, v2, v0
	v_addc_co_u32_e32 v1, vcc, v3, v1, vcc
	global_store_short v[0:1], v4, off
.LBB75_15:
	s_endpgm
	.section	.rodata,"a",@progbits
	.p2align	6, 0x0
	.amdhsa_kernel _ZN2at6native12_GLOBAL__N_135GammaBetaBackwardCUDAKernelTemplateIN3c104HalfEfLj64ELj1ELj8ELb1ELb1ELb0EEEvllPKT_S7_PKT0_SA_PS5_SB_
		.amdhsa_group_segment_fixed_size 0
		.amdhsa_private_segment_fixed_size 0
		.amdhsa_kernarg_size 320
		.amdhsa_user_sgpr_count 6
		.amdhsa_user_sgpr_private_segment_buffer 1
		.amdhsa_user_sgpr_dispatch_ptr 0
		.amdhsa_user_sgpr_queue_ptr 0
		.amdhsa_user_sgpr_kernarg_segment_ptr 1
		.amdhsa_user_sgpr_dispatch_id 0
		.amdhsa_user_sgpr_flat_scratch_init 0
		.amdhsa_user_sgpr_kernarg_preload_length 0
		.amdhsa_user_sgpr_kernarg_preload_offset 0
		.amdhsa_user_sgpr_private_segment_size 0
		.amdhsa_uses_dynamic_stack 0
		.amdhsa_system_sgpr_private_segment_wavefront_offset 0
		.amdhsa_system_sgpr_workgroup_id_x 1
		.amdhsa_system_sgpr_workgroup_id_y 1
		.amdhsa_system_sgpr_workgroup_id_z 0
		.amdhsa_system_sgpr_workgroup_info 0
		.amdhsa_system_vgpr_workitem_id 1
		.amdhsa_next_free_vgpr 47
		.amdhsa_next_free_sgpr 40
		.amdhsa_accum_offset 48
		.amdhsa_reserve_vcc 1
		.amdhsa_reserve_flat_scratch 0
		.amdhsa_float_round_mode_32 0
		.amdhsa_float_round_mode_16_64 0
		.amdhsa_float_denorm_mode_32 3
		.amdhsa_float_denorm_mode_16_64 3
		.amdhsa_dx10_clamp 1
		.amdhsa_ieee_mode 1
		.amdhsa_fp16_overflow 0
		.amdhsa_tg_split 0
		.amdhsa_exception_fp_ieee_invalid_op 0
		.amdhsa_exception_fp_denorm_src 0
		.amdhsa_exception_fp_ieee_div_zero 0
		.amdhsa_exception_fp_ieee_overflow 0
		.amdhsa_exception_fp_ieee_underflow 0
		.amdhsa_exception_fp_ieee_inexact 0
		.amdhsa_exception_int_div_zero 0
	.end_amdhsa_kernel
	.section	.text._ZN2at6native12_GLOBAL__N_135GammaBetaBackwardCUDAKernelTemplateIN3c104HalfEfLj64ELj1ELj8ELb1ELb1ELb0EEEvllPKT_S7_PKT0_SA_PS5_SB_,"axG",@progbits,_ZN2at6native12_GLOBAL__N_135GammaBetaBackwardCUDAKernelTemplateIN3c104HalfEfLj64ELj1ELj8ELb1ELb1ELb0EEEvllPKT_S7_PKT0_SA_PS5_SB_,comdat
.Lfunc_end75:
	.size	_ZN2at6native12_GLOBAL__N_135GammaBetaBackwardCUDAKernelTemplateIN3c104HalfEfLj64ELj1ELj8ELb1ELb1ELb0EEEvllPKT_S7_PKT0_SA_PS5_SB_, .Lfunc_end75-_ZN2at6native12_GLOBAL__N_135GammaBetaBackwardCUDAKernelTemplateIN3c104HalfEfLj64ELj1ELj8ELb1ELb1ELb0EEEvllPKT_S7_PKT0_SA_PS5_SB_
                                        ; -- End function
	.section	.AMDGPU.csdata,"",@progbits
; Kernel info:
; codeLenInByte = 1488
; NumSgprs: 44
; NumVgprs: 47
; NumAgprs: 0
; TotalNumVgprs: 47
; ScratchSize: 0
; MemoryBound: 0
; FloatMode: 240
; IeeeMode: 1
; LDSByteSize: 0 bytes/workgroup (compile time only)
; SGPRBlocks: 5
; VGPRBlocks: 5
; NumSGPRsForWavesPerEU: 44
; NumVGPRsForWavesPerEU: 47
; AccumOffset: 48
; Occupancy: 8
; WaveLimiterHint : 0
; COMPUTE_PGM_RSRC2:SCRATCH_EN: 0
; COMPUTE_PGM_RSRC2:USER_SGPR: 6
; COMPUTE_PGM_RSRC2:TRAP_HANDLER: 0
; COMPUTE_PGM_RSRC2:TGID_X_EN: 1
; COMPUTE_PGM_RSRC2:TGID_Y_EN: 1
; COMPUTE_PGM_RSRC2:TGID_Z_EN: 0
; COMPUTE_PGM_RSRC2:TIDIG_COMP_CNT: 1
; COMPUTE_PGM_RSRC3_GFX90A:ACCUM_OFFSET: 11
; COMPUTE_PGM_RSRC3_GFX90A:TG_SPLIT: 0
	.section	.text._ZN2at6native12_GLOBAL__N_135GammaBetaBackwardCUDAKernelTemplateIN3c104HalfEfLj64ELj1ELj8ELb1ELb0ELb0EEEvllPKT_S7_PKT0_SA_PS5_SB_,"axG",@progbits,_ZN2at6native12_GLOBAL__N_135GammaBetaBackwardCUDAKernelTemplateIN3c104HalfEfLj64ELj1ELj8ELb1ELb0ELb0EEEvllPKT_S7_PKT0_SA_PS5_SB_,comdat
	.globl	_ZN2at6native12_GLOBAL__N_135GammaBetaBackwardCUDAKernelTemplateIN3c104HalfEfLj64ELj1ELj8ELb1ELb0ELb0EEEvllPKT_S7_PKT0_SA_PS5_SB_ ; -- Begin function _ZN2at6native12_GLOBAL__N_135GammaBetaBackwardCUDAKernelTemplateIN3c104HalfEfLj64ELj1ELj8ELb1ELb0ELb0EEEvllPKT_S7_PKT0_SA_PS5_SB_
	.p2align	8
	.type	_ZN2at6native12_GLOBAL__N_135GammaBetaBackwardCUDAKernelTemplateIN3c104HalfEfLj64ELj1ELj8ELb1ELb0ELb0EEEvllPKT_S7_PKT0_SA_PS5_SB_,@function
_ZN2at6native12_GLOBAL__N_135GammaBetaBackwardCUDAKernelTemplateIN3c104HalfEfLj64ELj1ELj8ELb1ELb0ELb0EEEvllPKT_S7_PKT0_SA_PS5_SB_: ; @_ZN2at6native12_GLOBAL__N_135GammaBetaBackwardCUDAKernelTemplateIN3c104HalfEfLj64ELj1ELj8ELb1ELb0ELb0EEEvllPKT_S7_PKT0_SA_PS5_SB_
; %bb.0:
	s_load_dwordx8 s[12:19], s[4:5], 0x0
	s_load_dwordx4 s[28:31], s[4:5], 0x20
	s_mov_b32 s8, s7
	s_lshl_b32 s7, s6, 6
	s_mov_b32 s20, 0
	s_or_b32 s0, s7, 63
	s_mov_b32 s1, s20
	s_waitcnt lgkmcnt(0)
	v_pk_mov_b32 v[2:3], s[14:15], s[14:15] op_sel:[0,1]
	v_cmp_ge_i64_e32 vcc, s[0:1], v[2:3]
	s_lshl_b32 s34, s8, 3
	s_mov_b32 s35, s20
	v_pk_mov_b32 v[2:3], s[12:13], s[12:13] op_sel:[0,1]
	v_cmp_lt_i64_e64 s[0:1], s[34:35], v[2:3]
	v_cndmask_b32_e64 v1, 0, 1, s[0:1]
	v_cmp_ne_u32_e64 s[0:1], 1, v1
	s_cbranch_vccz .LBB76_48
; %bb.1:
	v_mov_b32_e32 v27, 0
	s_and_b64 vcc, exec, s[0:1]
	v_mov_b32_e32 v26, v27
	s_cbranch_vccnz .LBB76_49
; %bb.2:
	v_and_b32_e32 v63, 0x3ff, v0
	v_bfe_u32 v66, v0, 10, 10
	v_add_u32_e32 v2, s7, v63
	v_mov_b32_e32 v3, 0
	v_lshlrev_b32_e32 v28, 3, v66
	v_cmp_gt_i64_e64 s[2:3], s[14:15], v[2:3]
	v_lshlrev_b64 v[30:31], 1, v[2:3]
	v_mov_b32_e32 v2, s35
	v_add_co_u32_e32 v6, vcc, s34, v28
	v_addc_co_u32_e32 v2, vcc, 0, v2, vcc
	v_add_co_u32_e32 v4, vcc, 7, v6
	v_addc_co_u32_e32 v5, vcc, 0, v2, vcc
	v_mul_lo_u32 v7, s15, v4
	v_mul_lo_u32 v8, s14, v5
	v_mad_u64_u32 v[4:5], s[10:11], s14, v4, 0
	s_load_dword s9, s[4:5], 0x44
	v_add3_u32 v5, v5, v8, v7
	v_lshlrev_b64 v[4:5], 1, v[4:5]
	v_mov_b32_e32 v7, s17
	v_add_co_u32_e32 v32, vcc, s16, v4
	v_addc_co_u32_e32 v29, vcc, v7, v5, vcc
	s_add_u32 s36, s4, 64
	v_mov_b32_e32 v8, s19
	v_add_co_u32_e32 v34, vcc, s18, v4
	s_addc_u32 s37, s5, 0
	s_waitcnt lgkmcnt(0)
	s_lshl_b32 s9, s9, 3
	v_addc_co_u32_e32 v33, vcc, v8, v5, vcc
	s_mul_i32 s10, s15, s9
	s_mul_hi_u32 s11, s14, s9
	v_add_co_u32_e32 v4, vcc, 6, v6
	s_add_i32 s11, s11, s10
	s_mul_i32 s10, s14, s9
	v_addc_co_u32_e32 v5, vcc, 0, v2, vcc
	s_lshl_b64 s[40:41], s[10:11], 1
	v_mul_lo_u32 v9, s15, v4
	v_mul_lo_u32 v10, s14, v5
	v_mad_u64_u32 v[4:5], s[10:11], s14, v4, 0
	v_add3_u32 v5, v5, v10, v9
	v_lshlrev_b64 v[4:5], 1, v[4:5]
	v_add_co_u32_e32 v36, vcc, s16, v4
	v_addc_co_u32_e32 v35, vcc, v7, v5, vcc
	v_add_co_u32_e32 v38, vcc, s18, v4
	v_addc_co_u32_e32 v37, vcc, v8, v5, vcc
	v_add_co_u32_e32 v4, vcc, 5, v6
	v_addc_co_u32_e32 v5, vcc, 0, v2, vcc
	v_mul_lo_u32 v9, s15, v4
	v_mul_lo_u32 v10, s14, v5
	v_mad_u64_u32 v[4:5], s[10:11], s14, v4, 0
	v_add3_u32 v5, v5, v10, v9
	v_lshlrev_b64 v[4:5], 1, v[4:5]
	v_add_co_u32_e32 v40, vcc, s16, v4
	v_addc_co_u32_e32 v39, vcc, v7, v5, vcc
	v_add_co_u32_e32 v42, vcc, s18, v4
	v_addc_co_u32_e32 v41, vcc, v8, v5, vcc
	v_add_co_u32_e32 v4, vcc, 4, v6
	v_addc_co_u32_e32 v5, vcc, 0, v2, vcc
	;; [unrolled: 11-line block ×4, first 2 shown]
	v_mul_lo_u32 v9, s15, v4
	v_mul_lo_u32 v10, s14, v5
	v_mad_u64_u32 v[4:5], s[10:11], s14, v4, 0
	v_add3_u32 v5, v5, v10, v9
	v_lshlrev_b64 v[4:5], 1, v[4:5]
	v_add_co_u32_e32 v52, vcc, s16, v4
	v_addc_co_u32_e32 v51, vcc, v7, v5, vcc
	v_add_co_u32_e32 v54, vcc, s18, v4
	v_addc_co_u32_e32 v53, vcc, v8, v5, vcc
	v_pk_mov_b32 v[4:5], s[14:15], s[14:15] op_sel:[0,1]
	v_mad_u64_u32 v[4:5], s[10:11], s14, v6, v[4:5]
	v_mul_lo_u32 v2, s14, v2
	v_mul_lo_u32 v9, s15, v6
	v_add3_u32 v5, v9, v5, v2
	v_lshlrev_b64 v[4:5], 1, v[4:5]
	v_add_co_u32_e32 v56, vcc, s16, v4
	v_addc_co_u32_e32 v55, vcc, v7, v5, vcc
	v_add_co_u32_e32 v58, vcc, s18, v4
	v_addc_co_u32_e32 v57, vcc, v8, v5, vcc
	v_mad_u64_u32 v[4:5], s[10:11], s14, v6, 0
	v_add3_u32 v5, v5, v2, v9
	v_lshlrev_b64 v[4:5], 1, v[4:5]
	v_add_co_u32_e32 v60, vcc, s16, v4
	v_mbcnt_lo_u32_b32 v2, -1, 0
	v_addc_co_u32_e32 v59, vcc, v7, v5, vcc
	v_mbcnt_hi_u32_b32 v2, -1, v2
	v_add_co_u32_e32 v62, vcc, s18, v4
	v_lshlrev_b32_e32 v2, 2, v2
	v_mov_b32_e32 v1, v3
	s_mov_b32 s33, s20
	s_mov_b64 s[38:39], 7
	v_addc_co_u32_e32 v61, vcc, v8, v5, vcc
	v_and_b32_e32 v67, 0x100, v2
	s_mov_b64 s[42:43], s[34:35]
	v_mov_b32_e32 v26, v3
	v_mov_b32_e32 v27, v3
	s_branch .LBB76_5
.LBB76_3:                               ;   in Loop: Header=BB76_5 Depth=1
	s_or_b64 exec, exec, s[10:11]
	s_waitcnt vmcnt(1)
	ds_bpermute_b32 v2, v67, v69
	ds_bpermute_b32 v4, v67, v69 offset:4
	s_waitcnt vmcnt(0)
	ds_bpermute_b32 v5, v67, v68
	ds_bpermute_b32 v6, v67, v68 offset:4
	ds_bpermute_b32 v8, v67, v68 offset:12
	s_waitcnt lgkmcnt(4)
	v_sub_f32_e32 v2, v10, v2
	v_mul_f32_e32 v2, v18, v2
	s_waitcnt lgkmcnt(3)
	v_sub_f32_e32 v4, v11, v4
	s_waitcnt lgkmcnt(2)
	v_mul_f32_e32 v5, v2, v5
	ds_bpermute_b32 v2, v67, v69 offset:8
	v_mul_f32_e32 v4, v19, v4
	s_waitcnt lgkmcnt(2)
	v_mul_f32_e32 v7, v4, v6
	ds_bpermute_b32 v4, v67, v68 offset:8
	ds_bpermute_b32 v6, v67, v69 offset:12
	s_waitcnt lgkmcnt(2)
	v_sub_f32_e32 v2, v12, v2
	v_mul_f32_e32 v2, v20, v2
	v_mov_b32_e32 v10, v21
	s_waitcnt lgkmcnt(1)
	v_mul_f32_e32 v9, v2, v4
	s_waitcnt lgkmcnt(0)
	v_sub_f32_e32 v2, v13, v6
	ds_bpermute_b32 v4, v67, v69 offset:16
	v_mul_f32_e32 v2, v21, v2
	v_mul_f32_e32 v11, v2, v8
	ds_bpermute_b32 v2, v67, v68 offset:16
	ds_bpermute_b32 v6, v67, v69 offset:20
	;; [unrolled: 1-line block ×3, first 2 shown]
	s_waitcnt lgkmcnt(3)
	v_sub_f32_e32 v4, v14, v4
	v_mul_f32_e32 v4, v22, v4
	s_waitcnt lgkmcnt(2)
	v_mul_f32_e32 v13, v4, v2
	s_waitcnt lgkmcnt(1)
	v_sub_f32_e32 v2, v15, v6
	v_mul_f32_e32 v2, v23, v2
	s_waitcnt lgkmcnt(0)
	v_mul_f32_e32 v15, v2, v8
	v_mov_b32_e32 v4, v18
	ds_bpermute_b32 v2, v67, v69 offset:24
	v_pk_add_f32 v[4:5], v[26:27], v[4:5]
	v_mov_b32_e32 v6, v19
	v_pk_add_f32 v[4:5], v[6:7], v[4:5]
	ds_bpermute_b32 v7, v67, v68 offset:24
	v_mov_b32_e32 v8, v20
	v_pk_add_f32 v[4:5], v[8:9], v[4:5]
	v_pk_add_f32 v[4:5], v[10:11], v[4:5]
	v_mov_b32_e32 v12, v22
	s_waitcnt lgkmcnt(1)
	v_sub_f32_e32 v8, v16, v2
	v_pk_add_f32 v[4:5], v[12:13], v[4:5]
	v_mov_b32_e32 v14, v23
	v_mul_f32_e32 v8, v24, v8
	v_pk_add_f32 v[4:5], v[14:15], v[4:5]
	s_waitcnt lgkmcnt(0)
	v_mul_f32_e32 v9, v8, v7
	v_mov_b32_e32 v8, v24
	ds_bpermute_b32 v2, v67, v68 offset:28
	ds_bpermute_b32 v6, v67, v69 offset:28
	v_pk_add_f32 v[4:5], v[8:9], v[4:5]
.LBB76_4:                               ;   in Loop: Header=BB76_5 Depth=1
	s_waitcnt lgkmcnt(0)
	v_sub_f32_e32 v6, v17, v6
	v_mul_f32_e32 v6, v25, v6
	v_mul_f32_e32 v7, v6, v2
	v_mov_b32_e32 v2, s41
	v_add_co_u32_e32 v32, vcc, s40, v32
	v_addc_co_u32_e32 v29, vcc, v29, v2, vcc
	v_add_co_u32_e32 v34, vcc, s40, v34
	v_addc_co_u32_e32 v33, vcc, v33, v2, vcc
	;; [unrolled: 2-line block ×13, first 2 shown]
	v_add_co_u32_e32 v58, vcc, s40, v58
	v_mov_b32_e32 v6, v25
	v_addc_co_u32_e32 v57, vcc, v57, v2, vcc
	v_pk_add_f32 v[26:27], v[4:5], v[6:7]
	v_mov_b32_e32 v4, s33
	v_add_co_u32_e32 v28, vcc, s9, v28
	v_addc_co_u32_e32 v1, vcc, v1, v4, vcc
	v_add_co_u32_e32 v60, vcc, s40, v60
	v_addc_co_u32_e32 v59, vcc, v59, v2, vcc
	s_add_u32 s42, s42, s9
	v_add_co_u32_e32 v62, vcc, s40, v62
	s_addc_u32 s43, s43, 0
	v_addc_co_u32_e32 v61, vcc, v61, v2, vcc
	v_pk_mov_b32 v[4:5], s[12:13], s[12:13] op_sel:[0,1]
	s_add_u32 s38, s38, s9
	v_cmp_lt_i64_e32 vcc, s[42:43], v[4:5]
	s_addc_u32 s39, s39, 0
	s_cbranch_vccz .LBB76_49
.LBB76_5:                               ; =>This Inner Loop Header: Depth=1
	s_add_u32 s10, s34, s38
	s_addc_u32 s11, 0, s39
	v_pk_mov_b32 v[4:5], s[12:13], s[12:13] op_sel:[0,1]
	v_cmp_ge_i64_e32 vcc, s[10:11], v[4:5]
	v_mov_b32_e32 v2, s35
	v_add_co_u32_e64 v64, s[10:11], s34, v28
	v_addc_co_u32_e64 v65, s[10:11], v2, v1, s[10:11]
	s_cbranch_vccz .LBB76_27
; %bb.6:                                ;   in Loop: Header=BB76_5 Depth=1
	s_load_dword s10, s[36:37], 0xc
	v_mov_b32_e32 v68, 0
	v_mov_b32_e32 v69, 0
	s_waitcnt lgkmcnt(0)
	s_and_b32 s10, s10, 0xffff
	v_mad_u32_u24 v2, v66, s10, v63
	v_and_b32_e32 v2, 63, v2
	v_cmp_gt_u32_e32 vcc, 8, v2
	s_and_saveexec_b64 s[10:11], vcc
	s_cbranch_execz .LBB76_10
; %bb.7:                                ;   in Loop: Header=BB76_5 Depth=1
	v_add_co_u32_e32 v4, vcc, v64, v2
	v_addc_co_u32_e32 v5, vcc, 0, v65, vcc
	v_cmp_gt_i64_e32 vcc, s[12:13], v[4:5]
	v_mov_b32_e32 v69, 0
	v_mov_b32_e32 v68, 0
	s_and_saveexec_b64 s[22:23], vcc
	s_cbranch_execz .LBB76_9
; %bb.8:                                ;   in Loop: Header=BB76_5 Depth=1
	v_lshlrev_b64 v[4:5], 2, v[4:5]
	v_mov_b32_e32 v2, s31
	v_add_co_u32_e32 v6, vcc, s30, v4
	v_addc_co_u32_e32 v7, vcc, v2, v5, vcc
	v_mov_b32_e32 v2, s29
	v_add_co_u32_e32 v4, vcc, s28, v4
	v_addc_co_u32_e32 v5, vcc, v2, v5, vcc
	global_load_dword v69, v[4:5], off
	global_load_dword v68, v[6:7], off
.LBB76_9:                               ;   in Loop: Header=BB76_5 Depth=1
	s_or_b64 exec, exec, s[22:23]
.LBB76_10:                              ;   in Loop: Header=BB76_5 Depth=1
	s_or_b64 exec, exec, s[10:11]
	s_mov_b32 s21, s20
	s_mov_b32 s22, s20
	;; [unrolled: 1-line block ×7, first 2 shown]
	v_pk_mov_b32 v[10:11], s[20:21], s[20:21] op_sel:[0,1]
	v_pk_mov_b32 v[16:17], s[26:27], s[26:27] op_sel:[0,1]
	v_cmp_gt_i64_e32 vcc, s[12:13], v[64:65]
	v_pk_mov_b32 v[12:13], s[22:23], s[22:23] op_sel:[0,1]
	v_pk_mov_b32 v[14:15], s[24:25], s[24:25] op_sel:[0,1]
	;; [unrolled: 1-line block ×3, first 2 shown]
	s_and_b64 s[44:45], s[2:3], vcc
	v_pk_mov_b32 v[22:23], v[14:15], v[14:15] op_sel:[0,1]
	v_pk_mov_b32 v[20:21], v[12:13], v[12:13] op_sel:[0,1]
	;; [unrolled: 1-line block ×3, first 2 shown]
	s_and_saveexec_b64 s[10:11], s[44:45]
	s_cbranch_execz .LBB76_12
; %bb.11:                               ;   in Loop: Header=BB76_5 Depth=1
	v_add_co_u32_e32 v4, vcc, v60, v30
	v_addc_co_u32_e32 v5, vcc, v59, v31, vcc
	global_load_ushort v2, v[4:5], off
	v_add_co_u32_e32 v4, vcc, v62, v30
	v_addc_co_u32_e32 v5, vcc, v61, v31, vcc
	global_load_ushort v10, v[4:5], off
	v_mov_b32_e32 v8, v3
	v_mov_b32_e32 v9, v3
	;; [unrolled: 1-line block ×13, first 2 shown]
	s_waitcnt vmcnt(1)
	v_cvt_f32_f16_e32 v2, v2
	v_pk_mov_b32 v[24:25], v[8:9], v[8:9] op_sel:[0,1]
	v_pk_mov_b32 v[22:23], v[6:7], v[6:7] op_sel:[0,1]
	;; [unrolled: 1-line block ×4, first 2 shown]
	s_waitcnt vmcnt(0)
	v_cvt_f32_f16_e32 v10, v10
.LBB76_12:                              ;   in Loop: Header=BB76_5 Depth=1
	s_or_b64 exec, exec, s[10:11]
	v_add_co_u32_e32 v4, vcc, 1, v64
	v_addc_co_u32_e32 v5, vcc, 0, v65, vcc
	v_cmp_gt_i64_e32 vcc, s[12:13], v[4:5]
	s_and_b64 s[22:23], s[2:3], vcc
	s_and_saveexec_b64 s[10:11], s[22:23]
	s_cbranch_execz .LBB76_14
; %bb.13:                               ;   in Loop: Header=BB76_5 Depth=1
	v_add_co_u32_e32 v4, vcc, v56, v30
	v_addc_co_u32_e32 v5, vcc, v55, v31, vcc
	global_load_ushort v2, v[4:5], off
	v_add_co_u32_e32 v4, vcc, v58, v30
	v_addc_co_u32_e32 v5, vcc, v57, v31, vcc
	global_load_ushort v4, v[4:5], off
	s_waitcnt vmcnt(1)
	v_cvt_f32_f16_e32 v19, v2
	s_waitcnt vmcnt(0)
	v_cvt_f32_f16_e32 v11, v4
.LBB76_14:                              ;   in Loop: Header=BB76_5 Depth=1
	s_or_b64 exec, exec, s[10:11]
	v_add_co_u32_e32 v4, vcc, 2, v64
	v_addc_co_u32_e32 v5, vcc, 0, v65, vcc
	v_cmp_gt_i64_e32 vcc, s[12:13], v[4:5]
	s_and_b64 s[22:23], s[2:3], vcc
	s_and_saveexec_b64 s[10:11], s[22:23]
	s_cbranch_execz .LBB76_16
; %bb.15:                               ;   in Loop: Header=BB76_5 Depth=1
	v_add_co_u32_e32 v4, vcc, v52, v30
	v_addc_co_u32_e32 v5, vcc, v51, v31, vcc
	global_load_ushort v2, v[4:5], off
	v_add_co_u32_e32 v4, vcc, v54, v30
	v_addc_co_u32_e32 v5, vcc, v53, v31, vcc
	global_load_ushort v4, v[4:5], off
	s_waitcnt vmcnt(1)
	v_cvt_f32_f16_e32 v20, v2
	s_waitcnt vmcnt(0)
	v_cvt_f32_f16_e32 v12, v4
.LBB76_16:                              ;   in Loop: Header=BB76_5 Depth=1
	;; [unrolled: 19-line block ×7, first 2 shown]
	s_or_b64 exec, exec, s[10:11]
	s_waitcnt vmcnt(1)
	ds_bpermute_b32 v2, v67, v69
	ds_bpermute_b32 v4, v67, v69 offset:4
	s_waitcnt vmcnt(0)
	ds_bpermute_b32 v5, v67, v68
	ds_bpermute_b32 v6, v67, v68 offset:4
	ds_bpermute_b32 v8, v67, v68 offset:12
	s_waitcnt lgkmcnt(4)
	v_sub_f32_e32 v2, v10, v2
	v_mul_f32_e32 v2, v18, v2
	s_waitcnt lgkmcnt(3)
	v_sub_f32_e32 v4, v11, v4
	s_waitcnt lgkmcnt(2)
	v_mul_f32_e32 v5, v2, v5
	ds_bpermute_b32 v2, v67, v69 offset:8
	v_mul_f32_e32 v4, v19, v4
	s_waitcnt lgkmcnt(2)
	v_mul_f32_e32 v7, v4, v6
	ds_bpermute_b32 v4, v67, v68 offset:8
	ds_bpermute_b32 v6, v67, v69 offset:12
	s_waitcnt lgkmcnt(2)
	v_sub_f32_e32 v2, v12, v2
	v_mul_f32_e32 v2, v20, v2
	v_mov_b32_e32 v10, v21
	s_waitcnt lgkmcnt(1)
	v_mul_f32_e32 v9, v2, v4
	s_waitcnt lgkmcnt(0)
	v_sub_f32_e32 v2, v13, v6
	ds_bpermute_b32 v4, v67, v69 offset:16
	v_mul_f32_e32 v2, v21, v2
	v_mul_f32_e32 v11, v2, v8
	ds_bpermute_b32 v2, v67, v68 offset:16
	ds_bpermute_b32 v6, v67, v69 offset:20
	ds_bpermute_b32 v8, v67, v68 offset:20
	s_waitcnt lgkmcnt(3)
	v_sub_f32_e32 v4, v14, v4
	v_mul_f32_e32 v4, v22, v4
	s_waitcnt lgkmcnt(2)
	v_mul_f32_e32 v13, v4, v2
	s_waitcnt lgkmcnt(1)
	v_sub_f32_e32 v2, v15, v6
	v_mul_f32_e32 v2, v23, v2
	s_waitcnt lgkmcnt(0)
	v_mul_f32_e32 v15, v2, v8
	ds_bpermute_b32 v2, v67, v69 offset:24
	v_mov_b32_e32 v4, v18
	v_pk_add_f32 v[4:5], v[26:27], v[4:5]
	v_mov_b32_e32 v6, v19
	v_pk_add_f32 v[4:5], v[6:7], v[4:5]
	ds_bpermute_b32 v7, v67, v68 offset:24
	v_mov_b32_e32 v8, v20
	s_waitcnt lgkmcnt(1)
	v_sub_f32_e32 v2, v16, v2
	v_pk_add_f32 v[4:5], v[8:9], v[4:5]
	v_mul_f32_e32 v8, v24, v2
	ds_bpermute_b32 v2, v67, v68 offset:28
	ds_bpermute_b32 v6, v67, v69 offset:28
	v_pk_add_f32 v[4:5], v[10:11], v[4:5]
	v_mov_b32_e32 v12, v22
	v_pk_add_f32 v[4:5], v[12:13], v[4:5]
	v_mov_b32_e32 v14, v23
	v_pk_add_f32 v[4:5], v[14:15], v[4:5]
	s_waitcnt lgkmcnt(2)
	v_mul_f32_e32 v9, v8, v7
	v_mov_b32_e32 v8, v24
	v_pk_add_f32 v[4:5], v[8:9], v[4:5]
	s_branch .LBB76_4
.LBB76_27:                              ;   in Loop: Header=BB76_5 Depth=1
                                        ; implicit-def: $vgpr4_vgpr5
                                        ; implicit-def: $vgpr2
                                        ; implicit-def: $vgpr10_vgpr11_vgpr12_vgpr13_vgpr14_vgpr15_vgpr16_vgpr17
                                        ; implicit-def: $vgpr18_vgpr19_vgpr20_vgpr21_vgpr22_vgpr23_vgpr24_vgpr25
                                        ; implicit-def: $vgpr6
	s_cbranch_execz .LBB76_4
; %bb.28:                               ;   in Loop: Header=BB76_5 Depth=1
	s_load_dword s10, s[36:37], 0x0
	v_mov_b32_e32 v68, 0
	v_mov_b32_e32 v69, 0
	s_waitcnt lgkmcnt(0)
	s_cmp_lt_u32 s6, s10
	s_cselect_b32 s10, 12, 18
	s_add_u32 s10, s36, s10
	s_addc_u32 s11, s37, 0
	global_load_ushort v2, v3, s[10:11]
	s_waitcnt vmcnt(0)
	v_mad_u32_u24 v2, v66, v2, v63
	v_and_b32_e32 v2, 63, v2
	v_cmp_gt_u32_e32 vcc, 8, v2
	s_and_saveexec_b64 s[10:11], vcc
	s_cbranch_execz .LBB76_32
; %bb.29:                               ;   in Loop: Header=BB76_5 Depth=1
	v_add_co_u32_e32 v4, vcc, v64, v2
	v_addc_co_u32_e32 v5, vcc, 0, v65, vcc
	v_cmp_gt_i64_e32 vcc, s[12:13], v[4:5]
	v_mov_b32_e32 v69, 0
	v_mov_b32_e32 v68, 0
	s_and_saveexec_b64 s[22:23], vcc
	s_cbranch_execz .LBB76_31
; %bb.30:                               ;   in Loop: Header=BB76_5 Depth=1
	v_lshlrev_b64 v[4:5], 2, v[4:5]
	v_mov_b32_e32 v2, s31
	v_add_co_u32_e32 v6, vcc, s30, v4
	v_addc_co_u32_e32 v7, vcc, v2, v5, vcc
	v_mov_b32_e32 v2, s29
	v_add_co_u32_e32 v4, vcc, s28, v4
	v_addc_co_u32_e32 v5, vcc, v2, v5, vcc
	global_load_dword v69, v[4:5], off
	global_load_dword v68, v[6:7], off
.LBB76_31:                              ;   in Loop: Header=BB76_5 Depth=1
	s_or_b64 exec, exec, s[22:23]
.LBB76_32:                              ;   in Loop: Header=BB76_5 Depth=1
	s_or_b64 exec, exec, s[10:11]
	s_mov_b32 s21, s20
	s_mov_b32 s22, s20
	;; [unrolled: 1-line block ×7, first 2 shown]
	v_pk_mov_b32 v[10:11], s[20:21], s[20:21] op_sel:[0,1]
	v_pk_mov_b32 v[16:17], s[26:27], s[26:27] op_sel:[0,1]
	;; [unrolled: 1-line block ×8, first 2 shown]
	s_and_saveexec_b64 s[10:11], s[2:3]
	s_cbranch_execnz .LBB76_40
; %bb.33:                               ;   in Loop: Header=BB76_5 Depth=1
	s_or_b64 exec, exec, s[10:11]
	s_and_saveexec_b64 s[10:11], s[2:3]
	s_cbranch_execnz .LBB76_41
.LBB76_34:                              ;   in Loop: Header=BB76_5 Depth=1
	s_or_b64 exec, exec, s[10:11]
	s_and_saveexec_b64 s[10:11], s[2:3]
	s_cbranch_execnz .LBB76_42
.LBB76_35:                              ;   in Loop: Header=BB76_5 Depth=1
	s_or_b64 exec, exec, s[10:11]
	s_and_saveexec_b64 s[10:11], s[2:3]
	s_cbranch_execnz .LBB76_43
.LBB76_36:                              ;   in Loop: Header=BB76_5 Depth=1
	s_or_b64 exec, exec, s[10:11]
	s_and_saveexec_b64 s[10:11], s[2:3]
	s_cbranch_execnz .LBB76_44
.LBB76_37:                              ;   in Loop: Header=BB76_5 Depth=1
	s_or_b64 exec, exec, s[10:11]
	s_and_saveexec_b64 s[10:11], s[2:3]
	s_cbranch_execnz .LBB76_45
.LBB76_38:                              ;   in Loop: Header=BB76_5 Depth=1
	s_or_b64 exec, exec, s[10:11]
	s_and_saveexec_b64 s[10:11], s[2:3]
	s_cbranch_execnz .LBB76_46
.LBB76_39:                              ;   in Loop: Header=BB76_5 Depth=1
	s_or_b64 exec, exec, s[10:11]
	s_and_saveexec_b64 s[10:11], s[2:3]
	s_cbranch_execz .LBB76_3
	s_branch .LBB76_47
.LBB76_40:                              ;   in Loop: Header=BB76_5 Depth=1
	v_add_co_u32_e32 v4, vcc, v60, v30
	v_addc_co_u32_e32 v5, vcc, v59, v31, vcc
	global_load_ushort v2, v[4:5], off
	v_add_co_u32_e32 v4, vcc, v62, v30
	v_addc_co_u32_e32 v5, vcc, v61, v31, vcc
	global_load_ushort v10, v[4:5], off
	v_mov_b32_e32 v8, v3
	v_mov_b32_e32 v9, v3
	;; [unrolled: 1-line block ×13, first 2 shown]
	s_waitcnt vmcnt(1)
	v_cvt_f32_f16_e32 v2, v2
	v_pk_mov_b32 v[24:25], v[8:9], v[8:9] op_sel:[0,1]
	v_pk_mov_b32 v[22:23], v[6:7], v[6:7] op_sel:[0,1]
	;; [unrolled: 1-line block ×4, first 2 shown]
	s_waitcnt vmcnt(0)
	v_cvt_f32_f16_e32 v10, v10
	s_or_b64 exec, exec, s[10:11]
	s_and_saveexec_b64 s[10:11], s[2:3]
	s_cbranch_execz .LBB76_34
.LBB76_41:                              ;   in Loop: Header=BB76_5 Depth=1
	v_add_co_u32_e32 v4, vcc, v56, v30
	v_addc_co_u32_e32 v5, vcc, v55, v31, vcc
	global_load_ushort v2, v[4:5], off
	v_add_co_u32_e32 v4, vcc, v58, v30
	v_addc_co_u32_e32 v5, vcc, v57, v31, vcc
	global_load_ushort v4, v[4:5], off
	s_waitcnt vmcnt(1)
	v_cvt_f32_f16_e32 v19, v2
	s_waitcnt vmcnt(0)
	v_cvt_f32_f16_e32 v11, v4
	s_or_b64 exec, exec, s[10:11]
	s_and_saveexec_b64 s[10:11], s[2:3]
	s_cbranch_execz .LBB76_35
.LBB76_42:                              ;   in Loop: Header=BB76_5 Depth=1
	v_add_co_u32_e32 v4, vcc, v52, v30
	v_addc_co_u32_e32 v5, vcc, v51, v31, vcc
	global_load_ushort v2, v[4:5], off
	v_add_co_u32_e32 v4, vcc, v54, v30
	v_addc_co_u32_e32 v5, vcc, v53, v31, vcc
	global_load_ushort v4, v[4:5], off
	s_waitcnt vmcnt(1)
	v_cvt_f32_f16_e32 v20, v2
	s_waitcnt vmcnt(0)
	v_cvt_f32_f16_e32 v12, v4
	s_or_b64 exec, exec, s[10:11]
	s_and_saveexec_b64 s[10:11], s[2:3]
	s_cbranch_execz .LBB76_36
.LBB76_43:                              ;   in Loop: Header=BB76_5 Depth=1
	v_add_co_u32_e32 v4, vcc, v48, v30
	v_addc_co_u32_e32 v5, vcc, v47, v31, vcc
	global_load_ushort v2, v[4:5], off
	v_add_co_u32_e32 v4, vcc, v50, v30
	v_addc_co_u32_e32 v5, vcc, v49, v31, vcc
	global_load_ushort v4, v[4:5], off
	s_waitcnt vmcnt(1)
	v_cvt_f32_f16_e32 v21, v2
	s_waitcnt vmcnt(0)
	v_cvt_f32_f16_e32 v13, v4
	s_or_b64 exec, exec, s[10:11]
	s_and_saveexec_b64 s[10:11], s[2:3]
	s_cbranch_execz .LBB76_37
.LBB76_44:                              ;   in Loop: Header=BB76_5 Depth=1
	v_add_co_u32_e32 v4, vcc, v44, v30
	v_addc_co_u32_e32 v5, vcc, v43, v31, vcc
	global_load_ushort v2, v[4:5], off
	v_add_co_u32_e32 v4, vcc, v46, v30
	v_addc_co_u32_e32 v5, vcc, v45, v31, vcc
	global_load_ushort v4, v[4:5], off
	s_waitcnt vmcnt(1)
	v_cvt_f32_f16_e32 v22, v2
	s_waitcnt vmcnt(0)
	v_cvt_f32_f16_e32 v14, v4
	s_or_b64 exec, exec, s[10:11]
	s_and_saveexec_b64 s[10:11], s[2:3]
	s_cbranch_execz .LBB76_38
.LBB76_45:                              ;   in Loop: Header=BB76_5 Depth=1
	v_add_co_u32_e32 v4, vcc, v40, v30
	v_addc_co_u32_e32 v5, vcc, v39, v31, vcc
	global_load_ushort v2, v[4:5], off
	v_add_co_u32_e32 v4, vcc, v42, v30
	v_addc_co_u32_e32 v5, vcc, v41, v31, vcc
	global_load_ushort v4, v[4:5], off
	s_waitcnt vmcnt(1)
	v_cvt_f32_f16_e32 v23, v2
	s_waitcnt vmcnt(0)
	v_cvt_f32_f16_e32 v15, v4
	s_or_b64 exec, exec, s[10:11]
	s_and_saveexec_b64 s[10:11], s[2:3]
	s_cbranch_execz .LBB76_39
.LBB76_46:                              ;   in Loop: Header=BB76_5 Depth=1
	v_add_co_u32_e32 v4, vcc, v36, v30
	v_addc_co_u32_e32 v5, vcc, v35, v31, vcc
	global_load_ushort v2, v[4:5], off
	v_add_co_u32_e32 v4, vcc, v38, v30
	v_addc_co_u32_e32 v5, vcc, v37, v31, vcc
	global_load_ushort v4, v[4:5], off
	s_waitcnt vmcnt(1)
	v_cvt_f32_f16_e32 v24, v2
	s_waitcnt vmcnt(0)
	v_cvt_f32_f16_e32 v16, v4
	s_or_b64 exec, exec, s[10:11]
	s_and_saveexec_b64 s[10:11], s[2:3]
	s_cbranch_execz .LBB76_3
.LBB76_47:                              ;   in Loop: Header=BB76_5 Depth=1
	v_add_co_u32_e32 v4, vcc, v32, v30
	v_addc_co_u32_e32 v5, vcc, v29, v31, vcc
	global_load_ushort v2, v[4:5], off
	v_add_co_u32_e32 v4, vcc, v34, v30
	v_addc_co_u32_e32 v5, vcc, v33, v31, vcc
	global_load_ushort v4, v[4:5], off
	s_waitcnt vmcnt(1)
	v_cvt_f32_f16_e32 v25, v2
	s_waitcnt vmcnt(0)
	v_cvt_f32_f16_e32 v17, v4
	s_branch .LBB76_3
.LBB76_48:
                                        ; implicit-def: $vgpr27
	s_branch .LBB76_50
.LBB76_49:
	s_cbranch_execnz .LBB76_81
.LBB76_50:
	v_mov_b32_e32 v27, 0
	s_mov_b32 s20, 0
	s_and_b64 vcc, exec, s[0:1]
	v_mov_b32_e32 v26, v27
	s_cbranch_vccnz .LBB76_81
; %bb.51:
	v_bfe_u32 v89, v0, 10, 10
	s_add_u32 s2, s4, 64
	s_addc_u32 s3, s5, 0
	v_lshlrev_b32_e32 v1, 4, v89
	s_lshl_b64 s[0:1], s[34:35], 1
	v_mov_b32_e32 v2, s1
	v_add_co_u32_e32 v1, vcc, s0, v1
	v_addc_co_u32_e32 v4, vcc, 0, v2, vcc
	v_add_co_u32_e32 v6, vcc, 2, v1
	v_addc_co_u32_e32 v5, vcc, 0, v4, vcc
	v_add_co_u32_e32 v9, vcc, 4, v1
	v_mul_lo_u32 v7, s14, v5
	v_addc_co_u32_e32 v5, vcc, 0, v4, vcc
	v_add_co_u32_e32 v12, vcc, 6, v1
	v_mul_lo_u32 v10, s14, v5
	;; [unrolled: 3-line block ×5, first 2 shown]
	v_addc_co_u32_e32 v5, vcc, 0, v4, vcc
	v_add_co_u32_e32 v24, vcc, 14, v1
	v_lshlrev_b32_e32 v28, 3, v89
	v_addc_co_u32_e32 v1, vcc, 0, v4, vcc
	v_mul_lo_u32 v25, s14, v1
	v_mov_b32_e32 v1, s35
	v_add_co_u32_e32 v27, vcc, s34, v28
	v_pk_mov_b32 v[2:3], s[16:17], s[16:17] op_sel:[0,1]
	v_addc_co_u32_e32 v45, vcc, 0, v1, vcc
	v_mad_u64_u32 v[30:31], s[0:1], s14, v6, v[2:3]
	v_mad_u64_u32 v[32:33], s[0:1], s14, v9, v[2:3]
	;; [unrolled: 1-line block ×7, first 2 shown]
	v_mul_lo_u32 v61, s15, v27
	v_mul_lo_u32 v62, s14, v45
	v_mad_u64_u32 v[2:3], s[0:1], s14, v27, 0
	v_add3_u32 v3, v3, v62, v61
	v_lshlrev_b64 v[2:3], 1, v[2:3]
	v_mul_lo_u32 v22, s14, v5
	v_mov_b32_e32 v83, s17
	v_add_co_u32_e32 v44, vcc, s16, v2
	v_pk_mov_b32 v[4:5], s[18:19], s[18:19] op_sel:[0,1]
	v_mul_lo_u32 v17, s15, v15
	v_addc_co_u32_e32 v1, vcc, v83, v3, vcc
	v_mad_u64_u32 v[52:53], s[0:1], s14, v15, v[4:5]
	v_add3_u32 v37, v17, v37, v16
	v_add3_u32 v53, v17, v53, v16
	v_mov_b32_e32 v16, s19
	v_add_co_u32_e32 v60, vcc, s18, v2
	v_addc_co_u32_e32 v29, vcc, v16, v3, vcc
	v_add_co_u32_e32 v2, vcc, 7, v27
	v_addc_co_u32_e32 v3, vcc, 0, v45, vcc
	v_mad_u64_u32 v[46:47], s[0:1], s14, v6, v[4:5]
	v_mad_u64_u32 v[48:49], s[0:1], s14, v9, v[4:5]
	;; [unrolled: 1-line block ×6, first 2 shown]
	v_mul_lo_u32 v4, s15, v2
	v_mul_lo_u32 v5, s14, v3
	v_mad_u64_u32 v[2:3], s[0:1], s14, v2, 0
	v_add3_u32 v3, v3, v5, v4
	v_add_co_u32_e32 v4, vcc, 6, v27
	v_mul_lo_u32 v8, s15, v6
	v_addc_co_u32_e32 v5, vcc, 0, v45, vcc
	v_add3_u32 v31, v8, v31, v7
	v_add3_u32 v47, v8, v47, v7
	v_mul_lo_u32 v6, s15, v4
	v_mul_lo_u32 v7, s14, v5
	v_mad_u64_u32 v[4:5], s[0:1], s14, v4, 0
	v_add3_u32 v5, v5, v7, v6
	v_add_co_u32_e32 v6, vcc, 5, v27
	v_addc_co_u32_e32 v7, vcc, 0, v45, vcc
	v_mul_lo_u32 v11, s15, v9
	v_mul_lo_u32 v8, s15, v6
	;; [unrolled: 1-line block ×3, first 2 shown]
	v_mad_u64_u32 v[6:7], s[0:1], s14, v6, 0
	v_add3_u32 v7, v7, v9, v8
	v_add_co_u32_e32 v8, vcc, 4, v27
	v_addc_co_u32_e32 v9, vcc, 0, v45, vcc
	v_add3_u32 v33, v11, v33, v10
	v_add3_u32 v49, v11, v49, v10
	v_mul_lo_u32 v10, s15, v8
	v_mul_lo_u32 v11, s14, v9
	v_mad_u64_u32 v[8:9], s[0:1], s14, v8, 0
	v_add3_u32 v9, v9, v11, v10
	v_add_co_u32_e32 v10, vcc, 3, v27
	v_mul_lo_u32 v14, s15, v12
	v_addc_co_u32_e32 v11, vcc, 0, v45, vcc
	v_add3_u32 v35, v14, v35, v13
	v_add3_u32 v51, v14, v51, v13
	v_mul_lo_u32 v12, s15, v10
	v_mul_lo_u32 v13, s14, v11
	v_mad_u64_u32 v[10:11], s[0:1], s14, v10, 0
	v_add3_u32 v11, v11, v13, v12
	v_add_co_u32_e32 v12, vcc, 2, v27
	v_addc_co_u32_e32 v13, vcc, 0, v45, vcc
	v_mul_lo_u32 v14, s15, v12
	v_mul_lo_u32 v15, s14, v13
	v_mad_u64_u32 v[12:13], s[0:1], s14, v12, 0
	v_add3_u32 v13, v13, v15, v14
	v_pk_mov_b32 v[14:15], s[14:15], s[14:15] op_sel:[0,1]
	v_lshlrev_b64 v[2:3], 1, v[2:3]
	v_mad_u64_u32 v[14:15], s[0:1], s14, v27, v[14:15]
	v_add3_u32 v15, v61, v15, v62
	v_add_co_u32_e32 v62, vcc, s16, v2
	v_addc_co_u32_e32 v45, vcc, v83, v3, vcc
	v_add_co_u32_e32 v64, vcc, s18, v2
	v_addc_co_u32_e32 v61, vcc, v16, v3, vcc
	v_lshlrev_b64 v[2:3], 1, v[4:5]
	v_add_co_u32_e32 v66, vcc, s16, v2
	v_addc_co_u32_e32 v63, vcc, v83, v3, vcc
	v_add_co_u32_e32 v68, vcc, s18, v2
	v_addc_co_u32_e32 v65, vcc, v16, v3, vcc
	v_lshlrev_b64 v[2:3], 1, v[6:7]
	v_add_co_u32_e32 v70, vcc, s16, v2
	v_addc_co_u32_e32 v67, vcc, v83, v3, vcc
	v_add_co_u32_e32 v72, vcc, s18, v2
	v_addc_co_u32_e32 v69, vcc, v16, v3, vcc
	v_lshlrev_b64 v[2:3], 1, v[8:9]
	v_add_co_u32_e32 v74, vcc, s16, v2
	v_addc_co_u32_e32 v71, vcc, v83, v3, vcc
	v_add_co_u32_e32 v76, vcc, s18, v2
	v_addc_co_u32_e32 v73, vcc, v16, v3, vcc
	v_lshlrev_b64 v[2:3], 1, v[10:11]
	v_add_co_u32_e32 v78, vcc, s16, v2
	v_addc_co_u32_e32 v75, vcc, v83, v3, vcc
	v_add_co_u32_e32 v80, vcc, s18, v2
	v_addc_co_u32_e32 v77, vcc, v16, v3, vcc
	v_lshlrev_b64 v[2:3], 1, v[12:13]
	v_add_co_u32_e32 v82, vcc, s16, v2
	v_addc_co_u32_e32 v79, vcc, v83, v3, vcc
	s_load_dword s0, s[4:5], 0x44
	v_add_co_u32_e32 v84, vcc, s18, v2
	v_addc_co_u32_e32 v81, vcc, v16, v3, vcc
	v_lshlrev_b64 v[2:3], 1, v[14:15]
	v_add_co_u32_e32 v86, vcc, s16, v2
	v_addc_co_u32_e32 v83, vcc, v83, v3, vcc
	v_and_b32_e32 v96, 0x3ff, v0
	v_add_co_u32_e32 v88, vcc, s18, v2
	v_add_u32_e32 v2, s7, v96
	s_waitcnt lgkmcnt(0)
	s_lshl_b32 s7, s0, 3
	v_mbcnt_lo_u32_b32 v4, -1, 0
	s_mul_i32 s0, s15, s7
	s_mul_hi_u32 s1, s14, s7
	v_mbcnt_hi_u32_b32 v4, -1, v4
	v_mul_lo_u32 v20, s15, v18
	v_mul_lo_u32 v23, s15, v21
	;; [unrolled: 1-line block ×3, first 2 shown]
	v_addc_co_u32_e32 v85, vcc, v16, v3, vcc
	v_mov_b32_e32 v3, 0
	s_add_i32 s1, s1, s0
	s_mul_i32 s0, s14, s7
	v_lshlrev_b32_e32 v4, 2, v4
	v_add3_u32 v39, v20, v39, v19
	v_add3_u32 v41, v23, v41, v22
	;; [unrolled: 1-line block ×6, first 2 shown]
	s_mov_b32 s9, s20
	s_lshl_b64 s[10:11], s[0:1], 1
	s_mov_b64 s[16:17], 7
	v_and_b32_e32 v97, 0x100, v4
	s_mov_b64 s[18:19], s[34:35]
	v_mov_b32_e32 v26, v3
	v_mov_b32_e32 v27, v3
	;; [unrolled: 1-line block ×3, first 2 shown]
	v_lshlrev_b64 v[90:91], 1, v[2:3]
	s_branch .LBB76_55
.LBB76_52:                              ;   in Loop: Header=BB76_55 Depth=1
	s_or_b64 exec, exec, s[22:23]
.LBB76_53:                              ;   in Loop: Header=BB76_55 Depth=1
	s_or_b64 exec, exec, s[0:1]
	v_add_co_u32_e32 v4, vcc, v44, v90
	v_addc_co_u32_e32 v5, vcc, v1, v91, vcc
	global_load_ushort v7, v[4:5], off
	v_add_co_u32_e32 v4, vcc, v60, v90
	v_addc_co_u32_e32 v5, vcc, v29, v91, vcc
	global_load_ushort v8, v[4:5], off
	;; [unrolled: 3-line block ×16, first 2 shown]
	s_waitcnt vmcnt(16)
	ds_bpermute_b32 v24, v97, v2 offset:8
	s_waitcnt vmcnt(15)
	v_cvt_f32_f16_e32 v4, v7
	s_waitcnt vmcnt(14)
	v_cvt_f32_f16_e32 v7, v8
	;; [unrolled: 2-line block ×13, first 2 shown]
	ds_bpermute_b32 v19, v97, v6
	s_waitcnt vmcnt(2)
	v_cvt_f32_f16_e32 v22, v20
	s_waitcnt vmcnt(1)
	v_cvt_f32_f16_e32 v20, v21
	ds_bpermute_b32 v21, v97, v2
	s_waitcnt vmcnt(0)
	v_cvt_f32_f16_e32 v23, v5
	s_waitcnt lgkmcnt(1)
	v_sub_f32_e32 v5, v7, v19
	ds_bpermute_b32 v7, v97, v6 offset:4
	v_mul_f32_e32 v5, v5, v4
	s_waitcnt lgkmcnt(1)
	v_mul_f32_e32 v5, v5, v21
	ds_bpermute_b32 v19, v97, v2 offset:4
	ds_bpermute_b32 v21, v97, v6 offset:8
	s_waitcnt lgkmcnt(2)
	v_sub_f32_e32 v7, v9, v7
	v_mul_f32_e32 v7, v7, v8
	v_pk_add_f32 v[4:5], v[92:93], v[4:5]
	s_waitcnt lgkmcnt(1)
	v_mul_f32_e32 v9, v7, v19
	s_waitcnt lgkmcnt(0)
	v_sub_f32_e32 v7, v11, v21
	ds_bpermute_b32 v19, v97, v6 offset:12
	v_mul_f32_e32 v7, v7, v10
	v_mul_f32_e32 v11, v7, v24
	ds_bpermute_b32 v7, v97, v2 offset:12
	ds_bpermute_b32 v21, v97, v6 offset:16
	s_waitcnt lgkmcnt(2)
	v_sub_f32_e32 v13, v13, v19
	ds_bpermute_b32 v19, v97, v2 offset:16
	v_mul_f32_e32 v13, v13, v12
	s_waitcnt lgkmcnt(2)
	v_mul_f32_e32 v13, v13, v7
	s_waitcnt lgkmcnt(1)
	v_sub_f32_e32 v7, v15, v21
	ds_bpermute_b32 v21, v97, v6 offset:20
	v_mul_f32_e32 v7, v7, v14
	s_waitcnt lgkmcnt(1)
	v_mul_f32_e32 v15, v7, v19
	ds_bpermute_b32 v7, v97, v2 offset:20
	ds_bpermute_b32 v19, v97, v6 offset:24
	;; [unrolled: 1-line block ×3, first 2 shown]
	s_waitcnt lgkmcnt(3)
	v_sub_f32_e32 v17, v17, v21
	ds_bpermute_b32 v21, v97, v2 offset:24
	v_pk_add_f32 v[4:5], v[4:5], v[8:9]
	ds_bpermute_b32 v2, v97, v2 offset:28
	v_mul_f32_e32 v17, v17, v16
	v_pk_add_f32 v[4:5], v[4:5], v[10:11]
	s_waitcnt lgkmcnt(4)
	v_mul_f32_e32 v17, v17, v7
	s_waitcnt lgkmcnt(3)
	v_sub_f32_e32 v7, v22, v19
	v_pk_add_f32 v[4:5], v[4:5], v[12:13]
	v_mul_f32_e32 v7, v7, v18
	v_pk_add_f32 v[4:5], v[4:5], v[14:15]
	s_waitcnt lgkmcnt(2)
	v_sub_f32_e32 v6, v23, v6
	s_waitcnt lgkmcnt(1)
	v_mul_f32_e32 v19, v7, v21
	v_pk_add_f32 v[4:5], v[4:5], v[16:17]
	v_mul_f32_e32 v6, v6, v20
	v_pk_add_f32 v[4:5], v[4:5], v[18:19]
	s_waitcnt lgkmcnt(0)
	v_mul_f32_e32 v21, v6, v2
	v_pk_add_f32 v[26:27], v[4:5], v[20:21]
.LBB76_54:                              ;   in Loop: Header=BB76_55 Depth=1
	v_mov_b32_e32 v2, s9
	v_add_co_u32_e32 v28, vcc, s7, v28
	v_addc_co_u32_e32 v87, vcc, v87, v2, vcc
	v_mov_b32_e32 v2, s11
	v_add_co_u32_e32 v30, vcc, s10, v30
	v_addc_co_u32_e32 v31, vcc, v31, v2, vcc
	v_add_co_u32_e32 v32, vcc, s10, v32
	v_addc_co_u32_e32 v33, vcc, v33, v2, vcc
	;; [unrolled: 2-line block ×29, first 2 shown]
	s_add_u32 s18, s18, s7
	v_add_co_u32_e32 v88, vcc, s10, v88
	s_addc_u32 s19, s19, 0
	v_addc_co_u32_e32 v85, vcc, v85, v2, vcc
	v_pk_mov_b32 v[4:5], s[12:13], s[12:13] op_sel:[0,1]
	s_add_u32 s16, s16, s7
	v_cmp_ge_i64_e32 vcc, s[18:19], v[4:5]
	s_addc_u32 s17, s17, 0
	s_cbranch_vccnz .LBB76_81
.LBB76_55:                              ; =>This Inner Loop Header: Depth=1
	s_add_u32 s0, s34, s16
	s_addc_u32 s1, 0, s17
	v_pk_mov_b32 v[4:5], s[12:13], s[12:13] op_sel:[0,1]
	v_cmp_ge_i64_e32 vcc, s[0:1], v[4:5]
	v_mov_b32_e32 v2, s35
	v_add_co_u32_e64 v94, s[0:1], s34, v28
	v_mov_b32_e32 v92, v26
	v_mov_b32_e32 v93, v27
	v_addc_co_u32_e64 v95, s[0:1], v2, v87, s[0:1]
	s_cbranch_vccz .LBB76_77
; %bb.56:                               ;   in Loop: Header=BB76_55 Depth=1
	s_load_dword s0, s[2:3], 0xc
	v_mov_b32_e32 v26, 0
	v_mov_b32_e32 v27, 0
	s_waitcnt lgkmcnt(0)
	s_and_b32 s0, s0, 0xffff
	v_mad_u32_u24 v2, v89, s0, v96
	v_and_b32_e32 v2, 63, v2
	v_cmp_gt_u32_e32 vcc, 8, v2
	s_and_saveexec_b64 s[0:1], vcc
	s_cbranch_execz .LBB76_60
; %bb.57:                               ;   in Loop: Header=BB76_55 Depth=1
	v_add_co_u32_e32 v4, vcc, v94, v2
	v_addc_co_u32_e32 v5, vcc, 0, v95, vcc
	v_cmp_gt_i64_e32 vcc, s[12:13], v[4:5]
	v_mov_b32_e32 v27, 0
	v_mov_b32_e32 v26, 0
	s_and_saveexec_b64 s[22:23], vcc
	s_cbranch_execz .LBB76_59
; %bb.58:                               ;   in Loop: Header=BB76_55 Depth=1
	v_lshlrev_b64 v[4:5], 2, v[4:5]
	v_mov_b32_e32 v2, s31
	v_add_co_u32_e32 v6, vcc, s30, v4
	v_addc_co_u32_e32 v7, vcc, v2, v5, vcc
	v_mov_b32_e32 v2, s29
	v_add_co_u32_e32 v4, vcc, s28, v4
	v_addc_co_u32_e32 v5, vcc, v2, v5, vcc
	global_load_dword v27, v[4:5], off
	global_load_dword v26, v[6:7], off
.LBB76_59:                              ;   in Loop: Header=BB76_55 Depth=1
	s_or_b64 exec, exec, s[22:23]
.LBB76_60:                              ;   in Loop: Header=BB76_55 Depth=1
	s_or_b64 exec, exec, s[0:1]
	s_mov_b32 s21, s20
	s_mov_b32 s22, s20
	;; [unrolled: 1-line block ×7, first 2 shown]
	v_pk_mov_b32 v[10:11], s[20:21], s[20:21] op_sel:[0,1]
	v_pk_mov_b32 v[16:17], s[26:27], s[26:27] op_sel:[0,1]
	;; [unrolled: 1-line block ×5, first 2 shown]
	v_cmp_gt_i64_e32 vcc, s[12:13], v[94:95]
	v_pk_mov_b32 v[22:23], v[14:15], v[14:15] op_sel:[0,1]
	v_pk_mov_b32 v[20:21], v[12:13], v[12:13] op_sel:[0,1]
	v_pk_mov_b32 v[18:19], v[10:11], v[10:11] op_sel:[0,1]
	s_and_saveexec_b64 s[0:1], vcc
	s_cbranch_execz .LBB76_62
; %bb.61:                               ;   in Loop: Header=BB76_55 Depth=1
	v_add_co_u32_e32 v4, vcc, v44, v90
	v_addc_co_u32_e32 v5, vcc, v1, v91, vcc
	global_load_ushort v2, v[4:5], off
	v_add_co_u32_e32 v4, vcc, v60, v90
	v_addc_co_u32_e32 v5, vcc, v29, v91, vcc
	global_load_ushort v10, v[4:5], off
	v_mov_b32_e32 v8, v3
	v_mov_b32_e32 v9, v3
	;; [unrolled: 1-line block ×13, first 2 shown]
	s_waitcnt vmcnt(1)
	v_cvt_f32_f16_e32 v2, v2
	v_pk_mov_b32 v[24:25], v[8:9], v[8:9] op_sel:[0,1]
	v_pk_mov_b32 v[22:23], v[6:7], v[6:7] op_sel:[0,1]
	;; [unrolled: 1-line block ×4, first 2 shown]
	s_waitcnt vmcnt(0)
	v_cvt_f32_f16_e32 v10, v10
.LBB76_62:                              ;   in Loop: Header=BB76_55 Depth=1
	s_or_b64 exec, exec, s[0:1]
	v_add_co_u32_e32 v4, vcc, 1, v94
	v_addc_co_u32_e32 v5, vcc, 0, v95, vcc
	v_cmp_gt_i64_e32 vcc, s[12:13], v[4:5]
	s_and_saveexec_b64 s[0:1], vcc
	s_cbranch_execz .LBB76_64
; %bb.63:                               ;   in Loop: Header=BB76_55 Depth=1
	v_add_co_u32_e32 v4, vcc, v86, v90
	v_addc_co_u32_e32 v5, vcc, v83, v91, vcc
	global_load_ushort v2, v[4:5], off
	v_add_co_u32_e32 v4, vcc, v88, v90
	v_addc_co_u32_e32 v5, vcc, v85, v91, vcc
	global_load_ushort v4, v[4:5], off
	s_waitcnt vmcnt(1)
	v_cvt_f32_f16_e32 v19, v2
	s_waitcnt vmcnt(0)
	v_cvt_f32_f16_e32 v11, v4
.LBB76_64:                              ;   in Loop: Header=BB76_55 Depth=1
	s_or_b64 exec, exec, s[0:1]
	v_add_co_u32_e32 v4, vcc, 2, v94
	v_addc_co_u32_e32 v5, vcc, 0, v95, vcc
	v_cmp_gt_i64_e32 vcc, s[12:13], v[4:5]
	s_and_saveexec_b64 s[0:1], vcc
	s_cbranch_execz .LBB76_66
; %bb.65:                               ;   in Loop: Header=BB76_55 Depth=1
	v_add_co_u32_e32 v4, vcc, v82, v90
	v_addc_co_u32_e32 v5, vcc, v79, v91, vcc
	global_load_ushort v2, v[4:5], off
	v_add_co_u32_e32 v4, vcc, v84, v90
	v_addc_co_u32_e32 v5, vcc, v81, v91, vcc
	global_load_ushort v4, v[4:5], off
	s_waitcnt vmcnt(1)
	v_cvt_f32_f16_e32 v20, v2
	s_waitcnt vmcnt(0)
	v_cvt_f32_f16_e32 v12, v4
.LBB76_66:                              ;   in Loop: Header=BB76_55 Depth=1
	;; [unrolled: 18-line block ×7, first 2 shown]
	s_or_b64 exec, exec, s[0:1]
	s_waitcnt vmcnt(1)
	ds_bpermute_b32 v2, v97, v27
	s_waitcnt vmcnt(0)
	ds_bpermute_b32 v4, v97, v26
	ds_bpermute_b32 v7, v97, v27 offset:4
	ds_bpermute_b32 v6, v97, v26 offset:4
	;; [unrolled: 1-line block ×3, first 2 shown]
	s_waitcnt lgkmcnt(4)
	v_sub_f32_e32 v2, v10, v2
	v_mul_f32_e32 v2, v18, v2
	s_waitcnt lgkmcnt(3)
	v_mul_f32_e32 v5, v2, v4
	ds_bpermute_b32 v4, v97, v26 offset:8
	s_waitcnt lgkmcnt(3)
	v_sub_f32_e32 v2, v11, v7
	v_mul_f32_e32 v2, v19, v2
	s_waitcnt lgkmcnt(2)
	v_mul_f32_e32 v7, v2, v6
	s_waitcnt lgkmcnt(1)
	v_sub_f32_e32 v2, v12, v8
	ds_bpermute_b32 v6, v97, v27 offset:12
	v_mul_f32_e32 v2, v20, v2
	s_waitcnt lgkmcnt(1)
	v_mul_f32_e32 v9, v2, v4
	ds_bpermute_b32 v2, v97, v26 offset:12
	ds_bpermute_b32 v4, v97, v27 offset:16
	;; [unrolled: 1-line block ×3, first 2 shown]
	s_waitcnt lgkmcnt(3)
	v_sub_f32_e32 v6, v13, v6
	v_mul_f32_e32 v6, v21, v6
	s_waitcnt lgkmcnt(2)
	v_mul_f32_e32 v11, v6, v2
	s_waitcnt lgkmcnt(1)
	v_sub_f32_e32 v2, v14, v4
	ds_bpermute_b32 v4, v97, v27 offset:20
	v_mul_f32_e32 v2, v22, v2
	s_waitcnt lgkmcnt(1)
	v_mul_f32_e32 v13, v2, v8
	ds_bpermute_b32 v2, v97, v26 offset:20
	ds_bpermute_b32 v6, v97, v27 offset:24
	;; [unrolled: 1-line block ×3, first 2 shown]
	s_waitcnt lgkmcnt(3)
	v_sub_f32_e32 v4, v15, v4
	v_mul_f32_e32 v4, v23, v4
	s_waitcnt lgkmcnt(2)
	v_mul_f32_e32 v15, v4, v2
	s_waitcnt lgkmcnt(1)
	v_sub_f32_e32 v2, v16, v6
	v_mul_f32_e32 v2, v24, v2
	s_waitcnt lgkmcnt(0)
	v_mul_f32_e32 v99, v2, v8
	v_mov_b32_e32 v4, v18
	ds_bpermute_b32 v2, v97, v27 offset:28
	v_pk_add_f32 v[4:5], v[92:93], v[4:5]
	v_mov_b32_e32 v6, v19
	v_pk_add_f32 v[4:5], v[6:7], v[4:5]
	v_mov_b32_e32 v8, v20
	ds_bpermute_b32 v6, v97, v26 offset:28
	v_pk_add_f32 v[4:5], v[8:9], v[4:5]
	v_mov_b32_e32 v10, v21
	v_pk_add_f32 v[4:5], v[10:11], v[4:5]
	v_mov_b32_e32 v12, v22
	;; [unrolled: 2-line block ×3, first 2 shown]
	s_waitcnt lgkmcnt(1)
	v_sub_f32_e32 v2, v17, v2
	v_pk_add_f32 v[4:5], v[14:15], v[4:5]
	v_mov_b32_e32 v98, v24
	v_mul_f32_e32 v2, v25, v2
	v_pk_add_f32 v[4:5], v[98:99], v[4:5]
	s_waitcnt lgkmcnt(0)
	v_mul_f32_e32 v7, v2, v6
	v_mov_b32_e32 v6, v25
	v_pk_add_f32 v[26:27], v[6:7], v[4:5]
	s_branch .LBB76_54
.LBB76_77:                              ;   in Loop: Header=BB76_55 Depth=1
                                        ; implicit-def: $vgpr27
	s_cbranch_execz .LBB76_54
; %bb.78:                               ;   in Loop: Header=BB76_55 Depth=1
	s_load_dword s0, s[2:3], 0x0
	v_mov_b32_e32 v2, 0
	v_mov_b32_e32 v6, 0
	s_waitcnt lgkmcnt(0)
	s_cmp_lt_u32 s6, s0
	s_cselect_b32 s0, 12, 18
	s_add_u32 s0, s2, s0
	s_addc_u32 s1, s3, 0
	global_load_ushort v4, v3, s[0:1]
	s_waitcnt vmcnt(0)
	v_mad_u32_u24 v4, v89, v4, v96
	v_and_b32_e32 v4, 63, v4
	v_cmp_gt_u32_e32 vcc, 8, v4
	s_and_saveexec_b64 s[0:1], vcc
	s_cbranch_execz .LBB76_53
; %bb.79:                               ;   in Loop: Header=BB76_55 Depth=1
	v_add_co_u32_e32 v4, vcc, v94, v4
	v_addc_co_u32_e32 v5, vcc, 0, v95, vcc
	v_cmp_gt_i64_e32 vcc, s[12:13], v[4:5]
	v_mov_b32_e32 v6, 0
	v_mov_b32_e32 v2, 0
	s_and_saveexec_b64 s[22:23], vcc
	s_cbranch_execz .LBB76_52
; %bb.80:                               ;   in Loop: Header=BB76_55 Depth=1
	v_lshlrev_b64 v[4:5], 2, v[4:5]
	v_mov_b32_e32 v2, s31
	v_add_co_u32_e32 v8, vcc, s30, v4
	v_addc_co_u32_e32 v9, vcc, v2, v5, vcc
	v_mov_b32_e32 v2, s29
	v_add_co_u32_e32 v4, vcc, s28, v4
	v_addc_co_u32_e32 v5, vcc, v2, v5, vcc
	global_load_dword v6, v[4:5], off
	global_load_dword v2, v[8:9], off
	s_branch .LBB76_52
.LBB76_81:
	s_mov_b32 s7, 0
	s_lshl_b64 s[0:1], s[6:7], 6
	v_and_b32_e32 v1, 0x3ff, v0
	v_or_b32_e32 v4, s0, v1
	v_mov_b32_e32 v5, s1
	v_cmp_gt_i64_e32 vcc, s[14:15], v[4:5]
	s_and_saveexec_b64 s[0:1], vcc
	s_cbranch_execz .LBB76_86
; %bb.82:
	s_load_dword s6, s[4:5], 0x4c
	s_load_dwordx4 s[0:3], s[4:5], 0x30
	v_bfe_u32 v0, v0, 10, 10
	v_mov_b32_e32 v1, 0
	v_mov_b32_e32 v2, s8
	s_waitcnt lgkmcnt(0)
	s_lshr_b32 s4, s6, 16
	v_mad_u64_u32 v[2:3], s[4:5], s4, v2, v[0:1]
	s_cmp_eq_u64 s[0:1], 0
	v_mul_lo_u32 v3, v3, s14
	v_mul_lo_u32 v6, v2, s15
	v_lshlrev_b64 v[0:1], 1, v[4:5]
	s_cbranch_scc1 .LBB76_84
; %bb.83:
	v_mad_u64_u32 v[4:5], s[4:5], v2, s14, 0
	v_add3_u32 v5, v5, v6, v3
	v_lshlrev_b64 v[4:5], 1, v[4:5]
	v_cvt_f16_f32_e32 v7, v27
	v_mov_b32_e32 v8, s1
	v_add_co_u32_e32 v4, vcc, s0, v4
	v_addc_co_u32_e32 v5, vcc, v8, v5, vcc
	v_add_co_u32_e32 v4, vcc, v4, v0
	v_addc_co_u32_e32 v5, vcc, v5, v1, vcc
	global_store_short v[4:5], v7, off
.LBB76_84:
	s_cmp_eq_u64 s[2:3], 0
	s_cbranch_scc1 .LBB76_86
; %bb.85:
	v_mad_u64_u32 v[4:5], s[0:1], v2, s14, 0
	v_add3_u32 v5, v5, v6, v3
	v_lshlrev_b64 v[2:3], 1, v[4:5]
	v_cvt_f16_f32_e32 v7, v26
	v_mov_b32_e32 v4, s3
	v_add_co_u32_e32 v2, vcc, s2, v2
	v_addc_co_u32_e32 v3, vcc, v4, v3, vcc
	v_add_co_u32_e32 v0, vcc, v2, v0
	v_addc_co_u32_e32 v1, vcc, v3, v1, vcc
	global_store_short v[0:1], v7, off
.LBB76_86:
	s_endpgm
	.section	.rodata,"a",@progbits
	.p2align	6, 0x0
	.amdhsa_kernel _ZN2at6native12_GLOBAL__N_135GammaBetaBackwardCUDAKernelTemplateIN3c104HalfEfLj64ELj1ELj8ELb1ELb0ELb0EEEvllPKT_S7_PKT0_SA_PS5_SB_
		.amdhsa_group_segment_fixed_size 0
		.amdhsa_private_segment_fixed_size 0
		.amdhsa_kernarg_size 320
		.amdhsa_user_sgpr_count 6
		.amdhsa_user_sgpr_private_segment_buffer 1
		.amdhsa_user_sgpr_dispatch_ptr 0
		.amdhsa_user_sgpr_queue_ptr 0
		.amdhsa_user_sgpr_kernarg_segment_ptr 1
		.amdhsa_user_sgpr_dispatch_id 0
		.amdhsa_user_sgpr_flat_scratch_init 0
		.amdhsa_user_sgpr_kernarg_preload_length 0
		.amdhsa_user_sgpr_kernarg_preload_offset 0
		.amdhsa_user_sgpr_private_segment_size 0
		.amdhsa_uses_dynamic_stack 0
		.amdhsa_system_sgpr_private_segment_wavefront_offset 0
		.amdhsa_system_sgpr_workgroup_id_x 1
		.amdhsa_system_sgpr_workgroup_id_y 1
		.amdhsa_system_sgpr_workgroup_id_z 0
		.amdhsa_system_sgpr_workgroup_info 0
		.amdhsa_system_vgpr_workitem_id 1
		.amdhsa_next_free_vgpr 100
		.amdhsa_next_free_sgpr 46
		.amdhsa_accum_offset 100
		.amdhsa_reserve_vcc 1
		.amdhsa_reserve_flat_scratch 0
		.amdhsa_float_round_mode_32 0
		.amdhsa_float_round_mode_16_64 0
		.amdhsa_float_denorm_mode_32 3
		.amdhsa_float_denorm_mode_16_64 3
		.amdhsa_dx10_clamp 1
		.amdhsa_ieee_mode 1
		.amdhsa_fp16_overflow 0
		.amdhsa_tg_split 0
		.amdhsa_exception_fp_ieee_invalid_op 0
		.amdhsa_exception_fp_denorm_src 0
		.amdhsa_exception_fp_ieee_div_zero 0
		.amdhsa_exception_fp_ieee_overflow 0
		.amdhsa_exception_fp_ieee_underflow 0
		.amdhsa_exception_fp_ieee_inexact 0
		.amdhsa_exception_int_div_zero 0
	.end_amdhsa_kernel
	.section	.text._ZN2at6native12_GLOBAL__N_135GammaBetaBackwardCUDAKernelTemplateIN3c104HalfEfLj64ELj1ELj8ELb1ELb0ELb0EEEvllPKT_S7_PKT0_SA_PS5_SB_,"axG",@progbits,_ZN2at6native12_GLOBAL__N_135GammaBetaBackwardCUDAKernelTemplateIN3c104HalfEfLj64ELj1ELj8ELb1ELb0ELb0EEEvllPKT_S7_PKT0_SA_PS5_SB_,comdat
.Lfunc_end76:
	.size	_ZN2at6native12_GLOBAL__N_135GammaBetaBackwardCUDAKernelTemplateIN3c104HalfEfLj64ELj1ELj8ELb1ELb0ELb0EEEvllPKT_S7_PKT0_SA_PS5_SB_, .Lfunc_end76-_ZN2at6native12_GLOBAL__N_135GammaBetaBackwardCUDAKernelTemplateIN3c104HalfEfLj64ELj1ELj8ELb1ELb0ELb0EEEvllPKT_S7_PKT0_SA_PS5_SB_
                                        ; -- End function
	.section	.AMDGPU.csdata,"",@progbits
; Kernel info:
; codeLenInByte = 7404
; NumSgprs: 50
; NumVgprs: 100
; NumAgprs: 0
; TotalNumVgprs: 100
; ScratchSize: 0
; MemoryBound: 0
; FloatMode: 240
; IeeeMode: 1
; LDSByteSize: 0 bytes/workgroup (compile time only)
; SGPRBlocks: 6
; VGPRBlocks: 12
; NumSGPRsForWavesPerEU: 50
; NumVGPRsForWavesPerEU: 100
; AccumOffset: 100
; Occupancy: 4
; WaveLimiterHint : 0
; COMPUTE_PGM_RSRC2:SCRATCH_EN: 0
; COMPUTE_PGM_RSRC2:USER_SGPR: 6
; COMPUTE_PGM_RSRC2:TRAP_HANDLER: 0
; COMPUTE_PGM_RSRC2:TGID_X_EN: 1
; COMPUTE_PGM_RSRC2:TGID_Y_EN: 1
; COMPUTE_PGM_RSRC2:TGID_Z_EN: 0
; COMPUTE_PGM_RSRC2:TIDIG_COMP_CNT: 1
; COMPUTE_PGM_RSRC3_GFX90A:ACCUM_OFFSET: 24
; COMPUTE_PGM_RSRC3_GFX90A:TG_SPLIT: 0
	.section	.text._ZN2at6native12_GLOBAL__N_135GammaBetaBackwardCUDAKernelTemplateIN3c104HalfEfLj64ELj8ELj64ELb0ELb1ELb0EEEvllPKT_S7_PKT0_SA_PS5_SB_,"axG",@progbits,_ZN2at6native12_GLOBAL__N_135GammaBetaBackwardCUDAKernelTemplateIN3c104HalfEfLj64ELj8ELj64ELb0ELb1ELb0EEEvllPKT_S7_PKT0_SA_PS5_SB_,comdat
	.globl	_ZN2at6native12_GLOBAL__N_135GammaBetaBackwardCUDAKernelTemplateIN3c104HalfEfLj64ELj8ELj64ELb0ELb1ELb0EEEvllPKT_S7_PKT0_SA_PS5_SB_ ; -- Begin function _ZN2at6native12_GLOBAL__N_135GammaBetaBackwardCUDAKernelTemplateIN3c104HalfEfLj64ELj8ELj64ELb0ELb1ELb0EEEvllPKT_S7_PKT0_SA_PS5_SB_
	.p2align	8
	.type	_ZN2at6native12_GLOBAL__N_135GammaBetaBackwardCUDAKernelTemplateIN3c104HalfEfLj64ELj8ELj64ELb0ELb1ELb0EEEvllPKT_S7_PKT0_SA_PS5_SB_,@function
_ZN2at6native12_GLOBAL__N_135GammaBetaBackwardCUDAKernelTemplateIN3c104HalfEfLj64ELj8ELj64ELb0ELb1ELb0EEEvllPKT_S7_PKT0_SA_PS5_SB_: ; @_ZN2at6native12_GLOBAL__N_135GammaBetaBackwardCUDAKernelTemplateIN3c104HalfEfLj64ELj8ELj64ELb0ELb1ELb0EEEvllPKT_S7_PKT0_SA_PS5_SB_
; %bb.0:
	s_load_dwordx4 s[20:23], s[4:5], 0x0
	s_lshl_b32 s2, s7, 6
	s_mov_b32 s3, 0
	v_bfe_u32 v12, v0, 10, 10
	s_waitcnt lgkmcnt(0)
	v_pk_mov_b32 v[2:3], s[20:21], s[20:21] op_sel:[0,1]
	v_cmp_lt_i64_e32 vcc, s[2:3], v[2:3]
	s_cbranch_vccnz .LBB77_2
; %bb.1:
	s_mov_b64 s[0:1], 0
	v_bfe_u32 v4, v0, 10, 10
	s_branch .LBB77_3
.LBB77_2:
	s_mov_b64 s[0:1], -1
                                        ; implicit-def: $vgpr4
.LBB77_3:
	s_load_dwordx4 s[16:19], s[4:5], 0x30
	v_and_b32_e32 v10, 0x3ff, v0
	s_andn2_b64 vcc, exec, s[0:1]
	v_mov_b32_e32 v1, s3
	v_mbcnt_lo_u32_b32 v11, -1, 0
	v_mov_b32_e32 v0, s3
	s_cbranch_vccnz .LBB77_11
; %bb.4:
	s_load_dword s0, s[4:5], 0x4c
	s_load_dword s7, s[4:5], 0x44
	s_load_dwordx8 s[8:15], s[4:5], 0x10
	v_mbcnt_hi_u32_b32 v4, -1, v11
	v_lshlrev_b32_e32 v2, 3, v12
	s_waitcnt lgkmcnt(0)
	s_and_b32 s0, s0, 0xffff
	v_lshlrev_b32_e32 v4, 2, v4
	v_mad_u32_u24 v0, v12, s0, v10
	v_and_b32_e32 v13, 0x100, v4
	v_mov_b32_e32 v4, s3
	v_add_co_u32_e32 v6, vcc, s2, v2
	v_and_b32_e32 v3, 63, v0
	v_addc_co_u32_e32 v7, vcc, 0, v4, vcc
	v_add_co_u32_e32 v2, vcc, v6, v3
	v_cmp_gt_u32_e64 s[0:1], 8, v3
	s_lshl_b32 s4, s7, 6
	v_addc_co_u32_e32 v3, vcc, 0, v7, vcc
	v_mul_lo_u32 v8, s23, v6
	v_mul_lo_u32 v9, s22, v7
	v_mad_u64_u32 v[6:7], s[26:27], s22, v6, 0
	v_mov_b32_e32 v1, 0
	v_lshl_add_u32 v0, s6, 6, v10
	v_add3_u32 v7, v7, v9, v8
	s_mul_i32 s7, s23, s4
	s_mul_hi_u32 s26, s22, s4
	s_mov_b32 s5, 0
	v_lshlrev_b64 v[6:7], 1, v[6:7]
	v_lshlrev_b64 v[8:9], 1, v[0:1]
	s_add_i32 s27, s26, s7
	s_mul_i32 s26, s22, s4
	s_lshl_b64 s[24:25], s[4:5], 2
	v_add_co_u32_e32 v6, vcc, v6, v8
	s_lshl_b64 s[26:27], s[26:27], 1
	s_lshl_b64 s[22:23], s[22:23], 1
	v_or_b32_e32 v14, 4, v13
	v_or_b32_e32 v15, 8, v13
	;; [unrolled: 1-line block ×7, first 2 shown]
	v_lshlrev_b64 v[4:5], 2, v[2:3]
	v_addc_co_u32_e32 v7, vcc, v7, v9, vcc
	v_mov_b32_e32 v21, s9
	v_mov_b32_e32 v22, s11
	;; [unrolled: 1-line block ×6, first 2 shown]
	v_pk_mov_b32 v[8:9], s[20:21], s[20:21] op_sel:[0,1]
	v_mov_b32_e32 v0, v1
	s_branch .LBB77_7
.LBB77_5:                               ;   in Loop: Header=BB77_7 Depth=1
	s_or_b64 exec, exec, s[30:31]
.LBB77_6:                               ;   in Loop: Header=BB77_7 Depth=1
	s_or_b64 exec, exec, s[28:29]
	v_add_co_u32_e32 v30, vcc, s8, v6
	v_addc_co_u32_e32 v31, vcc, v21, v7, vcc
	v_add_co_u32_e32 v32, vcc, s10, v6
	v_addc_co_u32_e32 v33, vcc, v22, v7, vcc
	global_load_ushort v29, v[30:31], off
	v_add_co_u32_e32 v30, vcc, s22, v30
	v_addc_co_u32_e32 v31, vcc, v31, v23, vcc
	global_load_ushort v34, v[32:33], off
	v_add_co_u32_e32 v32, vcc, s22, v32
	v_addc_co_u32_e32 v33, vcc, v33, v23, vcc
	global_load_ushort v35, v[30:31], off
	v_add_co_u32_e32 v30, vcc, s22, v30
	v_addc_co_u32_e32 v31, vcc, v31, v23, vcc
	global_load_ushort v36, v[32:33], off
	v_add_co_u32_e32 v32, vcc, s22, v32
	v_addc_co_u32_e32 v33, vcc, v33, v23, vcc
	global_load_ushort v37, v[30:31], off
	v_add_co_u32_e32 v30, vcc, s22, v30
	v_addc_co_u32_e32 v31, vcc, v31, v23, vcc
	global_load_ushort v38, v[32:33], off
	v_add_co_u32_e32 v32, vcc, s22, v32
	v_addc_co_u32_e32 v33, vcc, v33, v23, vcc
	global_load_ushort v39, v[30:31], off
	v_add_co_u32_e32 v30, vcc, s22, v30
	v_addc_co_u32_e32 v31, vcc, v31, v23, vcc
	global_load_ushort v40, v[32:33], off
	v_add_co_u32_e32 v32, vcc, s22, v32
	v_addc_co_u32_e32 v33, vcc, v33, v23, vcc
	global_load_ushort v41, v[30:31], off
	v_add_co_u32_e32 v30, vcc, s22, v30
	v_addc_co_u32_e32 v31, vcc, v31, v23, vcc
	global_load_ushort v42, v[32:33], off
	v_add_co_u32_e32 v32, vcc, s22, v32
	v_addc_co_u32_e32 v33, vcc, v33, v23, vcc
	global_load_ushort v43, v[30:31], off
	v_add_co_u32_e32 v30, vcc, s22, v30
	v_addc_co_u32_e32 v31, vcc, v31, v23, vcc
	global_load_ushort v44, v[32:33], off
	v_add_co_u32_e32 v32, vcc, s22, v32
	v_addc_co_u32_e32 v33, vcc, v33, v23, vcc
	global_load_ushort v45, v[30:31], off
	global_load_ushort v46, v[32:33], off
	v_add_co_u32_e32 v30, vcc, s22, v30
	v_addc_co_u32_e32 v31, vcc, v31, v23, vcc
	global_load_ushort v47, v[30:31], off
	v_add_co_u32_e32 v30, vcc, s22, v32
	v_addc_co_u32_e32 v31, vcc, v33, v23, vcc
	;; [unrolled: 3-line block ×3, first 2 shown]
	v_add_co_u32_e32 v2, vcc, s4, v2
	v_addc_co_u32_e32 v3, vcc, v3, v25, vcc
	s_waitcnt vmcnt(15)
	v_cvt_f32_f16_e32 v30, v29
	s_add_u32 s2, s2, s4
	v_add_co_u32_e32 v6, vcc, s26, v6
	s_addc_u32 s3, s3, 0
	s_waitcnt vmcnt(14)
	v_cvt_f32_f16_e32 v29, v34
	v_addc_co_u32_e32 v7, vcc, v7, v26, vcc
	v_cmp_lt_i64_e32 vcc, s[2:3], v[8:9]
	s_and_b64 vcc, exec, vcc
	s_waitcnt vmcnt(13)
	v_cvt_f32_f16_e32 v32, v35
	s_waitcnt vmcnt(12)
	v_cvt_f32_f16_e32 v33, v36
	;; [unrolled: 2-line block ×9, first 2 shown]
	ds_bpermute_b32 v43, v13, v28
	s_waitcnt vmcnt(4)
	v_cvt_f32_f16_e32 v41, v44
	s_waitcnt lgkmcnt(0)
	v_sub_f32_e32 v29, v29, v43
	ds_bpermute_b32 v43, v14, v28
	v_mul_f32_e32 v29, v29, v30
	s_waitcnt vmcnt(3)
	v_cvt_f32_f16_e32 v42, v45
	s_waitcnt vmcnt(2)
	v_cvt_f32_f16_e32 v45, v46
	ds_bpermute_b32 v46, v13, v27
	s_waitcnt lgkmcnt(1)
	v_sub_f32_e32 v33, v33, v43
	ds_bpermute_b32 v43, v15, v27
	v_mul_f32_e32 v33, v33, v32
	s_waitcnt vmcnt(1)
	v_cvt_f32_f16_e32 v44, v47
	s_waitcnt vmcnt(0)
	v_cvt_f32_f16_e32 v47, v31
	s_waitcnt lgkmcnt(1)
	v_mul_f32_e32 v31, v29, v46
	ds_bpermute_b32 v29, v14, v27
	ds_bpermute_b32 v46, v15, v28
	v_pk_add_f32 v[0:1], v[0:1], v[30:31]
	s_waitcnt lgkmcnt(1)
	v_mul_f32_e32 v33, v33, v29
	s_waitcnt lgkmcnt(0)
	v_sub_f32_e32 v29, v35, v46
	ds_bpermute_b32 v46, v16, v28
	v_mul_f32_e32 v29, v29, v34
	v_mul_f32_e32 v35, v29, v43
	ds_bpermute_b32 v29, v16, v27
	ds_bpermute_b32 v43, v17, v28
	s_waitcnt lgkmcnt(2)
	v_sub_f32_e32 v37, v37, v46
	ds_bpermute_b32 v46, v17, v27
	v_mul_f32_e32 v37, v37, v36
	s_waitcnt lgkmcnt(2)
	v_mul_f32_e32 v37, v37, v29
	s_waitcnt lgkmcnt(1)
	v_sub_f32_e32 v29, v39, v43
	ds_bpermute_b32 v43, v18, v28
	v_mul_f32_e32 v29, v29, v38
	s_waitcnt lgkmcnt(1)
	v_mul_f32_e32 v39, v29, v46
	ds_bpermute_b32 v29, v18, v27
	ds_bpermute_b32 v46, v19, v28
	;; [unrolled: 1-line block ×3, first 2 shown]
	s_waitcnt lgkmcnt(3)
	v_sub_f32_e32 v41, v41, v43
	ds_bpermute_b32 v43, v19, v27
	v_pk_add_f32 v[0:1], v[0:1], v[32:33]
	ds_bpermute_b32 v27, v20, v27
	v_mul_f32_e32 v41, v41, v40
	v_pk_add_f32 v[0:1], v[0:1], v[34:35]
	s_waitcnt lgkmcnt(4)
	v_mul_f32_e32 v41, v41, v29
	s_waitcnt lgkmcnt(3)
	v_sub_f32_e32 v29, v45, v46
	v_pk_add_f32 v[0:1], v[0:1], v[36:37]
	v_mul_f32_e32 v29, v29, v42
	v_pk_add_f32 v[0:1], v[0:1], v[38:39]
	s_waitcnt lgkmcnt(2)
	v_sub_f32_e32 v28, v47, v28
	s_waitcnt lgkmcnt(1)
	v_mul_f32_e32 v43, v29, v43
	v_pk_add_f32 v[0:1], v[0:1], v[40:41]
	v_mul_f32_e32 v28, v28, v44
	v_pk_add_f32 v[0:1], v[0:1], v[42:43]
	s_waitcnt lgkmcnt(0)
	v_mul_f32_e32 v45, v28, v27
	v_pk_add_f32 v[0:1], v[0:1], v[44:45]
	s_cbranch_vccz .LBB77_10
.LBB77_7:                               ; =>This Inner Loop Header: Depth=1
	v_mov_b32_e32 v27, 0
	v_mov_b32_e32 v28, 0
	s_and_saveexec_b64 s[28:29], s[0:1]
	s_cbranch_execz .LBB77_6
; %bb.8:                                ;   in Loop: Header=BB77_7 Depth=1
	v_cmp_gt_i64_e32 vcc, s[20:21], v[2:3]
	v_mov_b32_e32 v28, 0
	v_mov_b32_e32 v27, 0
	s_and_saveexec_b64 s[30:31], vcc
	s_cbranch_execz .LBB77_5
; %bb.9:                                ;   in Loop: Header=BB77_7 Depth=1
	v_mov_b32_e32 v27, s15
	v_add_co_u32_e32 v30, vcc, s14, v4
	v_addc_co_u32_e32 v31, vcc, v27, v5, vcc
	v_mov_b32_e32 v27, s13
	v_add_co_u32_e32 v32, vcc, s12, v4
	v_addc_co_u32_e32 v33, vcc, v27, v5, vcc
	global_load_dword v28, v[32:33], off
	global_load_dword v27, v[30:31], off
	s_branch .LBB77_5
.LBB77_10:
	v_mov_b32_e32 v4, v12
.LBB77_11:
	s_movk_i32 s0, 0x41
	v_mad_u32_u24 v2, v4, s0, v10
	v_lshl_add_u32 v2, v2, 2, 0
	v_lshrrev_b32_e32 v5, 6, v10
	ds_write_b32 v2, v1
	ds_write_b32 v2, v0 offset:2080
	v_add_u32_e32 v0, v5, v4
	s_mov_b32 s7, 0
	v_cmp_gt_u32_e32 vcc, 64, v0
	s_waitcnt lgkmcnt(0)
	s_barrier
	s_and_saveexec_b64 s[0:1], vcc
	s_cbranch_execz .LBB77_21
; %bb.12:
	v_and_b32_e32 v1, 63, v10
	v_cmp_gt_u32_e64 s[0:1], 8, v1
	v_mul_u32_u24_e32 v12, 0x41, v1
	v_mbcnt_hi_u32_b32 v1, -1, v11
	v_and_b32_e32 v2, 64, v1
	v_add_u32_e32 v2, 64, v2
	v_xor_b32_e32 v3, 4, v1
	v_cmp_lt_i32_e32 vcc, v3, v2
	v_cndmask_b32_e32 v3, v1, v3, vcc
	v_lshlrev_b32_e32 v6, 2, v3
	v_xor_b32_e32 v3, 2, v1
	v_cmp_lt_i32_e32 vcc, v3, v2
	v_cndmask_b32_e32 v3, v1, v3, vcc
	v_lshlrev_b32_e32 v7, 2, v3
	v_xor_b32_e32 v3, 1, v1
	s_lshl_b64 s[4:5], s[6:7], 6
	v_cmp_lt_i32_e32 vcc, v3, v2
	v_cndmask_b32_e32 v1, v1, v3, vcc
	v_add_u32_e32 v9, -8, v0
	v_or_b32_e32 v0, s4, v5
	v_lshlrev_b32_e32 v8, 2, v1
	v_mov_b32_e32 v1, s5
	v_add_co_u32_e32 v0, vcc, v0, v4
	v_addc_co_u32_e32 v1, vcc, 0, v1, vcc
	v_lshlrev_b64 v[2:3], 1, v[0:1]
	v_mov_b32_e32 v1, s19
	v_add_co_u32_e32 v0, vcc, s18, v2
	s_cmp_lg_u64 s[16:17], 0
	v_addc_co_u32_e32 v1, vcc, v1, v3, vcc
	v_cmp_eq_u32_e64 s[2:3], 0, v10
	s_cselect_b64 s[6:7], -1, 0
	s_cmp_lg_u64 s[18:19], 0
	v_mov_b32_e32 v10, s17
	v_add_co_u32_e32 v2, vcc, s16, v2
	v_add3_u32 v4, v12, v4, v5
	v_addc_co_u32_e32 v3, vcc, v10, v3, vcc
	v_lshl_add_u32 v10, v4, 2, 0
	v_cndmask_b32_e64 v4, 0, 1, s[6:7]
	s_cselect_b64 s[6:7], -1, 0
	v_cmp_ne_u32_e64 s[4:5], 1, v4
	v_cndmask_b32_e64 v4, 0, 1, s[6:7]
	s_mov_b64 s[8:9], 0
	v_cmp_ne_u32_e64 s[6:7], 1, v4
                                        ; implicit-def: $vgpr4
	s_branch .LBB77_14
.LBB77_13:                              ;   in Loop: Header=BB77_14 Depth=1
	s_or_b64 exec, exec, s[10:11]
	v_add_co_u32_e32 v0, vcc, 16, v0
	v_addc_co_u32_e32 v1, vcc, 0, v1, vcc
	v_add_co_u32_e32 v2, vcc, 16, v2
	v_add_u32_e32 v9, 8, v9
	v_addc_co_u32_e32 v3, vcc, 0, v3, vcc
	v_cmp_lt_u32_e32 vcc, 55, v9
	s_or_b64 s[8:9], vcc, s[8:9]
	v_add_u32_e32 v10, 32, v10
	s_andn2_b64 exec, exec, s[8:9]
	s_cbranch_execz .LBB77_21
.LBB77_14:                              ; =>This Inner Loop Header: Depth=1
	s_and_saveexec_b64 s[10:11], s[0:1]
	s_cbranch_execz .LBB77_16
; %bb.15:                               ;   in Loop: Header=BB77_14 Depth=1
	ds_read_b32 v5, v10
	ds_read_b32 v4, v10 offset:2080
.LBB77_16:                              ;   in Loop: Header=BB77_14 Depth=1
	s_or_b64 exec, exec, s[10:11]
	s_waitcnt lgkmcnt(1)
	ds_bpermute_b32 v13, v6, v5
	s_waitcnt lgkmcnt(1)
	ds_bpermute_b32 v12, v6, v4
	s_waitcnt lgkmcnt(0)
	v_pk_add_f32 v[4:5], v[4:5], v[12:13]
	ds_bpermute_b32 v13, v7, v5
	ds_bpermute_b32 v12, v7, v4
	s_waitcnt lgkmcnt(0)
	v_pk_add_f32 v[4:5], v[4:5], v[12:13]
	ds_bpermute_b32 v13, v8, v5
	ds_bpermute_b32 v12, v8, v4
	s_waitcnt lgkmcnt(0)
	v_pk_add_f32 v[4:5], v[4:5], v[12:13]
	s_and_saveexec_b64 s[10:11], s[2:3]
	s_cbranch_execz .LBB77_13
; %bb.17:                               ;   in Loop: Header=BB77_14 Depth=1
	s_and_b64 vcc, exec, s[4:5]
	s_cbranch_vccnz .LBB77_19
; %bb.18:                               ;   in Loop: Header=BB77_14 Depth=1
	v_cvt_f16_f32_e32 v11, v5
	global_store_short v[2:3], v11, off
.LBB77_19:                              ;   in Loop: Header=BB77_14 Depth=1
	s_and_b64 vcc, exec, s[6:7]
	s_cbranch_vccnz .LBB77_13
; %bb.20:                               ;   in Loop: Header=BB77_14 Depth=1
	v_cvt_f16_f32_e32 v11, v4
	global_store_short v[0:1], v11, off
	s_branch .LBB77_13
.LBB77_21:
	s_endpgm
	.section	.rodata,"a",@progbits
	.p2align	6, 0x0
	.amdhsa_kernel _ZN2at6native12_GLOBAL__N_135GammaBetaBackwardCUDAKernelTemplateIN3c104HalfEfLj64ELj8ELj64ELb0ELb1ELb0EEEvllPKT_S7_PKT0_SA_PS5_SB_
		.amdhsa_group_segment_fixed_size 0
		.amdhsa_private_segment_fixed_size 0
		.amdhsa_kernarg_size 320
		.amdhsa_user_sgpr_count 6
		.amdhsa_user_sgpr_private_segment_buffer 1
		.amdhsa_user_sgpr_dispatch_ptr 0
		.amdhsa_user_sgpr_queue_ptr 0
		.amdhsa_user_sgpr_kernarg_segment_ptr 1
		.amdhsa_user_sgpr_dispatch_id 0
		.amdhsa_user_sgpr_flat_scratch_init 0
		.amdhsa_user_sgpr_kernarg_preload_length 0
		.amdhsa_user_sgpr_kernarg_preload_offset 0
		.amdhsa_user_sgpr_private_segment_size 0
		.amdhsa_uses_dynamic_stack 0
		.amdhsa_system_sgpr_private_segment_wavefront_offset 0
		.amdhsa_system_sgpr_workgroup_id_x 1
		.amdhsa_system_sgpr_workgroup_id_y 1
		.amdhsa_system_sgpr_workgroup_id_z 0
		.amdhsa_system_sgpr_workgroup_info 0
		.amdhsa_system_vgpr_workitem_id 1
		.amdhsa_next_free_vgpr 48
		.amdhsa_next_free_sgpr 32
		.amdhsa_accum_offset 48
		.amdhsa_reserve_vcc 1
		.amdhsa_reserve_flat_scratch 0
		.amdhsa_float_round_mode_32 0
		.amdhsa_float_round_mode_16_64 0
		.amdhsa_float_denorm_mode_32 3
		.amdhsa_float_denorm_mode_16_64 3
		.amdhsa_dx10_clamp 1
		.amdhsa_ieee_mode 1
		.amdhsa_fp16_overflow 0
		.amdhsa_tg_split 0
		.amdhsa_exception_fp_ieee_invalid_op 0
		.amdhsa_exception_fp_denorm_src 0
		.amdhsa_exception_fp_ieee_div_zero 0
		.amdhsa_exception_fp_ieee_overflow 0
		.amdhsa_exception_fp_ieee_underflow 0
		.amdhsa_exception_fp_ieee_inexact 0
		.amdhsa_exception_int_div_zero 0
	.end_amdhsa_kernel
	.section	.text._ZN2at6native12_GLOBAL__N_135GammaBetaBackwardCUDAKernelTemplateIN3c104HalfEfLj64ELj8ELj64ELb0ELb1ELb0EEEvllPKT_S7_PKT0_SA_PS5_SB_,"axG",@progbits,_ZN2at6native12_GLOBAL__N_135GammaBetaBackwardCUDAKernelTemplateIN3c104HalfEfLj64ELj8ELj64ELb0ELb1ELb0EEEvllPKT_S7_PKT0_SA_PS5_SB_,comdat
.Lfunc_end77:
	.size	_ZN2at6native12_GLOBAL__N_135GammaBetaBackwardCUDAKernelTemplateIN3c104HalfEfLj64ELj8ELj64ELb0ELb1ELb0EEEvllPKT_S7_PKT0_SA_PS5_SB_, .Lfunc_end77-_ZN2at6native12_GLOBAL__N_135GammaBetaBackwardCUDAKernelTemplateIN3c104HalfEfLj64ELj8ELj64ELb0ELb1ELb0EEEvllPKT_S7_PKT0_SA_PS5_SB_
                                        ; -- End function
	.section	.AMDGPU.csdata,"",@progbits
; Kernel info:
; codeLenInByte = 1760
; NumSgprs: 36
; NumVgprs: 48
; NumAgprs: 0
; TotalNumVgprs: 48
; ScratchSize: 0
; MemoryBound: 0
; FloatMode: 240
; IeeeMode: 1
; LDSByteSize: 0 bytes/workgroup (compile time only)
; SGPRBlocks: 4
; VGPRBlocks: 5
; NumSGPRsForWavesPerEU: 36
; NumVGPRsForWavesPerEU: 48
; AccumOffset: 48
; Occupancy: 8
; WaveLimiterHint : 0
; COMPUTE_PGM_RSRC2:SCRATCH_EN: 0
; COMPUTE_PGM_RSRC2:USER_SGPR: 6
; COMPUTE_PGM_RSRC2:TRAP_HANDLER: 0
; COMPUTE_PGM_RSRC2:TGID_X_EN: 1
; COMPUTE_PGM_RSRC2:TGID_Y_EN: 1
; COMPUTE_PGM_RSRC2:TGID_Z_EN: 0
; COMPUTE_PGM_RSRC2:TIDIG_COMP_CNT: 1
; COMPUTE_PGM_RSRC3_GFX90A:ACCUM_OFFSET: 11
; COMPUTE_PGM_RSRC3_GFX90A:TG_SPLIT: 0
	.section	.text._ZN2at6native12_GLOBAL__N_135GammaBetaBackwardCUDAKernelTemplateIN3c104HalfEfLj64ELj8ELj64ELb0ELb0ELb0EEEvllPKT_S7_PKT0_SA_PS5_SB_,"axG",@progbits,_ZN2at6native12_GLOBAL__N_135GammaBetaBackwardCUDAKernelTemplateIN3c104HalfEfLj64ELj8ELj64ELb0ELb0ELb0EEEvllPKT_S7_PKT0_SA_PS5_SB_,comdat
	.globl	_ZN2at6native12_GLOBAL__N_135GammaBetaBackwardCUDAKernelTemplateIN3c104HalfEfLj64ELj8ELj64ELb0ELb0ELb0EEEvllPKT_S7_PKT0_SA_PS5_SB_ ; -- Begin function _ZN2at6native12_GLOBAL__N_135GammaBetaBackwardCUDAKernelTemplateIN3c104HalfEfLj64ELj8ELj64ELb0ELb0ELb0EEEvllPKT_S7_PKT0_SA_PS5_SB_
	.p2align	8
	.type	_ZN2at6native12_GLOBAL__N_135GammaBetaBackwardCUDAKernelTemplateIN3c104HalfEfLj64ELj8ELj64ELb0ELb0ELb0EEEvllPKT_S7_PKT0_SA_PS5_SB_,@function
_ZN2at6native12_GLOBAL__N_135GammaBetaBackwardCUDAKernelTemplateIN3c104HalfEfLj64ELj8ELj64ELb0ELb0ELb0EEEvllPKT_S7_PKT0_SA_PS5_SB_: ; @_ZN2at6native12_GLOBAL__N_135GammaBetaBackwardCUDAKernelTemplateIN3c104HalfEfLj64ELj8ELj64ELb0ELb0ELb0EEEvllPKT_S7_PKT0_SA_PS5_SB_
; %bb.0:
	s_load_dwordx8 s[12:19], s[4:5], 0x0
	s_load_dwordx4 s[28:31], s[4:5], 0x20
	s_lshl_b32 s33, s6, 6
	s_mov_b32 s20, 0
	s_or_b32 s0, s33, 63
	s_mov_b32 s1, s20
	s_waitcnt lgkmcnt(0)
	v_pk_mov_b32 v[2:3], s[14:15], s[14:15] op_sel:[0,1]
	v_cmp_ge_i64_e32 vcc, s[0:1], v[2:3]
	s_lshl_b32 s10, s7, 6
	s_mov_b32 s11, s20
	v_pk_mov_b32 v[2:3], s[12:13], s[12:13] op_sel:[0,1]
	v_cmp_lt_i64_e64 s[0:1], s[10:11], v[2:3]
	v_cndmask_b32_e64 v1, 0, 1, s[0:1]
	v_cmp_ne_u32_e64 s[0:1], 1, v1
	s_cbranch_vccz .LBB78_48
; %bb.1:
	v_mov_b32_e32 v27, 0
	s_and_b64 vcc, exec, s[0:1]
	v_mov_b32_e32 v26, v27
	s_cbranch_vccnz .LBB78_49
; %bb.2:
	v_and_b32_e32 v61, 0x3ff, v0
	v_bfe_u32 v63, v0, 10, 10
	v_add_u32_e32 v2, s33, v61
	v_mov_b32_e32 v3, 0
	v_lshlrev_b32_e32 v28, 3, v63
	v_cmp_gt_i64_e64 s[2:3], s[14:15], v[2:3]
	v_lshlrev_b64 v[30:31], 1, v[2:3]
	v_mov_b32_e32 v1, s11
	v_add_co_u32_e32 v2, vcc, s10, v28
	v_addc_co_u32_e32 v6, vcc, 0, v1, vcc
	v_add_co_u32_e32 v1, vcc, 7, v2
	v_addc_co_u32_e32 v4, vcc, 0, v6, vcc
	v_mul_lo_u32 v7, s15, v1
	v_mul_lo_u32 v8, s14, v4
	v_mad_u64_u32 v[4:5], s[8:9], s14, v1, 0
	s_load_dword s7, s[4:5], 0x44
	v_add3_u32 v5, v5, v8, v7
	v_lshlrev_b64 v[4:5], 1, v[4:5]
	v_mov_b32_e32 v7, s17
	v_add_co_u32_e32 v32, vcc, s16, v4
	v_addc_co_u32_e32 v1, vcc, v7, v5, vcc
	s_add_u32 s34, s4, 64
	v_mov_b32_e32 v8, s19
	v_add_co_u32_e32 v34, vcc, s18, v4
	s_addc_u32 s35, s5, 0
	s_waitcnt lgkmcnt(0)
	s_lshl_b32 s7, s7, 6
	v_addc_co_u32_e32 v29, vcc, v8, v5, vcc
	s_mul_i32 s8, s15, s7
	s_mul_hi_u32 s9, s14, s7
	v_add_co_u32_e32 v4, vcc, 6, v2
	s_add_i32 s9, s9, s8
	s_mul_i32 s8, s14, s7
	v_addc_co_u32_e32 v5, vcc, 0, v6, vcc
	s_lshl_b64 s[36:37], s[8:9], 1
	v_mul_lo_u32 v9, s15, v4
	v_mul_lo_u32 v10, s14, v5
	v_mad_u64_u32 v[4:5], s[8:9], s14, v4, 0
	v_add3_u32 v5, v5, v10, v9
	v_lshlrev_b64 v[4:5], 1, v[4:5]
	v_add_co_u32_e32 v36, vcc, s16, v4
	v_addc_co_u32_e32 v33, vcc, v7, v5, vcc
	v_add_co_u32_e32 v38, vcc, s18, v4
	v_addc_co_u32_e32 v35, vcc, v8, v5, vcc
	v_add_co_u32_e32 v4, vcc, 5, v2
	v_addc_co_u32_e32 v5, vcc, 0, v6, vcc
	v_mul_lo_u32 v9, s15, v4
	v_mul_lo_u32 v10, s14, v5
	v_mad_u64_u32 v[4:5], s[8:9], s14, v4, 0
	v_add3_u32 v5, v5, v10, v9
	v_lshlrev_b64 v[4:5], 1, v[4:5]
	v_add_co_u32_e32 v40, vcc, s16, v4
	v_addc_co_u32_e32 v37, vcc, v7, v5, vcc
	v_add_co_u32_e32 v42, vcc, s18, v4
	v_addc_co_u32_e32 v39, vcc, v8, v5, vcc
	v_add_co_u32_e32 v4, vcc, 4, v2
	v_addc_co_u32_e32 v5, vcc, 0, v6, vcc
	;; [unrolled: 11-line block ×4, first 2 shown]
	v_mul_lo_u32 v9, s15, v4
	v_mul_lo_u32 v10, s14, v5
	v_mad_u64_u32 v[4:5], s[8:9], s14, v4, 0
	v_add3_u32 v5, v5, v10, v9
	v_lshlrev_b64 v[4:5], 1, v[4:5]
	v_add_co_u32_e32 v52, vcc, s16, v4
	v_addc_co_u32_e32 v49, vcc, v7, v5, vcc
	v_add_co_u32_e32 v54, vcc, s18, v4
	v_addc_co_u32_e32 v51, vcc, v8, v5, vcc
	v_pk_mov_b32 v[4:5], s[14:15], s[14:15] op_sel:[0,1]
	v_mad_u64_u32 v[4:5], s[8:9], s14, v2, v[4:5]
	v_mul_lo_u32 v6, s14, v6
	v_mul_lo_u32 v9, s15, v2
	v_add3_u32 v5, v9, v5, v6
	v_lshlrev_b64 v[4:5], 1, v[4:5]
	v_add_co_u32_e32 v56, vcc, s16, v4
	v_addc_co_u32_e32 v53, vcc, v7, v5, vcc
	v_add_co_u32_e32 v58, vcc, s18, v4
	v_addc_co_u32_e32 v55, vcc, v8, v5, vcc
	v_mad_u64_u32 v[4:5], s[8:9], s14, v2, 0
	v_add3_u32 v5, v5, v6, v9
	v_lshlrev_b64 v[4:5], 1, v[4:5]
	v_add_co_u32_e32 v60, vcc, s16, v4
	v_mbcnt_lo_u32_b32 v2, -1, 0
	v_addc_co_u32_e32 v57, vcc, v7, v5, vcc
	v_mbcnt_hi_u32_b32 v2, -1, v2
	s_add_u32 s38, s10, 63
	v_add_co_u32_e32 v62, vcc, s18, v4
	v_lshlrev_b32_e32 v2, 2, v2
	s_addc_u32 s39, 0, 0
	v_addc_co_u32_e32 v59, vcc, v8, v5, vcc
	v_and_b32_e32 v64, 0x100, v2
	s_mov_b64 s[40:41], s[10:11]
	v_mov_b32_e32 v26, v3
	v_mov_b32_e32 v27, v3
	s_branch .LBB78_5
.LBB78_3:                               ;   in Loop: Header=BB78_5 Depth=1
	s_or_b64 exec, exec, s[8:9]
	s_waitcnt vmcnt(1)
	ds_bpermute_b32 v2, v64, v68
	ds_bpermute_b32 v4, v64, v68 offset:4
	s_waitcnt vmcnt(0)
	ds_bpermute_b32 v5, v64, v67
	ds_bpermute_b32 v6, v64, v67 offset:4
	ds_bpermute_b32 v8, v64, v67 offset:12
	s_waitcnt lgkmcnt(4)
	v_sub_f32_e32 v2, v10, v2
	v_mul_f32_e32 v2, v18, v2
	s_waitcnt lgkmcnt(3)
	v_sub_f32_e32 v4, v11, v4
	s_waitcnt lgkmcnt(2)
	v_mul_f32_e32 v5, v2, v5
	ds_bpermute_b32 v2, v64, v68 offset:8
	v_mul_f32_e32 v4, v19, v4
	s_waitcnt lgkmcnt(2)
	v_mul_f32_e32 v7, v4, v6
	ds_bpermute_b32 v4, v64, v67 offset:8
	ds_bpermute_b32 v6, v64, v68 offset:12
	s_waitcnt lgkmcnt(2)
	v_sub_f32_e32 v2, v12, v2
	v_mul_f32_e32 v2, v20, v2
	v_mov_b32_e32 v10, v21
	s_waitcnt lgkmcnt(1)
	v_mul_f32_e32 v9, v2, v4
	s_waitcnt lgkmcnt(0)
	v_sub_f32_e32 v2, v13, v6
	ds_bpermute_b32 v4, v64, v68 offset:16
	v_mul_f32_e32 v2, v21, v2
	v_mul_f32_e32 v11, v2, v8
	ds_bpermute_b32 v2, v64, v67 offset:16
	ds_bpermute_b32 v6, v64, v68 offset:20
	;; [unrolled: 1-line block ×3, first 2 shown]
	s_waitcnt lgkmcnt(3)
	v_sub_f32_e32 v4, v14, v4
	v_mul_f32_e32 v4, v22, v4
	s_waitcnt lgkmcnt(2)
	v_mul_f32_e32 v13, v4, v2
	s_waitcnt lgkmcnt(1)
	v_sub_f32_e32 v2, v15, v6
	v_mul_f32_e32 v2, v23, v2
	s_waitcnt lgkmcnt(0)
	v_mul_f32_e32 v15, v2, v8
	v_mov_b32_e32 v4, v18
	ds_bpermute_b32 v2, v64, v68 offset:24
	v_pk_add_f32 v[4:5], v[26:27], v[4:5]
	v_mov_b32_e32 v6, v19
	v_pk_add_f32 v[4:5], v[6:7], v[4:5]
	ds_bpermute_b32 v7, v64, v67 offset:24
	v_mov_b32_e32 v8, v20
	v_pk_add_f32 v[4:5], v[8:9], v[4:5]
	v_pk_add_f32 v[4:5], v[10:11], v[4:5]
	v_mov_b32_e32 v12, v22
	s_waitcnt lgkmcnt(1)
	v_sub_f32_e32 v8, v16, v2
	v_pk_add_f32 v[4:5], v[12:13], v[4:5]
	v_mov_b32_e32 v14, v23
	v_mul_f32_e32 v8, v24, v8
	v_pk_add_f32 v[4:5], v[14:15], v[4:5]
	s_waitcnt lgkmcnt(0)
	v_mul_f32_e32 v9, v8, v7
	v_mov_b32_e32 v8, v24
	ds_bpermute_b32 v2, v64, v67 offset:28
	ds_bpermute_b32 v6, v64, v68 offset:28
	v_pk_add_f32 v[4:5], v[8:9], v[4:5]
.LBB78_4:                               ;   in Loop: Header=BB78_5 Depth=1
	s_waitcnt lgkmcnt(0)
	v_sub_f32_e32 v6, v17, v6
	v_mul_f32_e32 v6, v25, v6
	v_mul_f32_e32 v7, v6, v2
	v_mov_b32_e32 v2, s37
	v_add_co_u32_e32 v32, vcc, s36, v32
	v_addc_co_u32_e32 v1, vcc, v1, v2, vcc
	v_add_co_u32_e32 v34, vcc, s36, v34
	v_addc_co_u32_e32 v29, vcc, v29, v2, vcc
	;; [unrolled: 2-line block ×15, first 2 shown]
	v_mov_b32_e32 v6, v25
	s_add_u32 s40, s40, s7
	v_add_co_u32_e32 v62, vcc, s36, v62
	v_pk_add_f32 v[26:27], v[4:5], v[6:7]
	s_addc_u32 s41, s41, 0
	v_addc_co_u32_e32 v59, vcc, v59, v2, vcc
	v_pk_mov_b32 v[4:5], s[12:13], s[12:13] op_sel:[0,1]
	s_add_u32 s38, s38, s7
	v_cmp_lt_i64_e32 vcc, s[40:41], v[4:5]
	s_addc_u32 s39, s39, 0
	s_cbranch_vccz .LBB78_49
.LBB78_5:                               ; =>This Inner Loop Header: Depth=1
	v_pk_mov_b32 v[4:5], s[12:13], s[12:13] op_sel:[0,1]
	v_cmp_ge_i64_e32 vcc, s[38:39], v[4:5]
	v_mov_b32_e32 v2, s39
	v_add_co_u32_e64 v65, s[8:9], s38, v28
	v_addc_co_u32_e64 v66, s[8:9], 0, v2, s[8:9]
	s_cbranch_vccz .LBB78_27
; %bb.6:                                ;   in Loop: Header=BB78_5 Depth=1
	s_load_dword s8, s[34:35], 0xc
	v_mov_b32_e32 v67, 0
	v_mov_b32_e32 v68, 0
	s_waitcnt lgkmcnt(0)
	s_and_b32 s8, s8, 0xffff
	v_mad_u32_u24 v2, v63, s8, v61
	v_and_b32_e32 v2, 63, v2
	v_cmp_gt_u32_e32 vcc, 8, v2
	s_and_saveexec_b64 s[8:9], vcc
	s_cbranch_execz .LBB78_10
; %bb.7:                                ;   in Loop: Header=BB78_5 Depth=1
	v_add_co_u32_e32 v2, vcc, v65, v2
	v_addc_co_u32_e32 v5, vcc, 0, v66, vcc
	v_add_co_u32_e32 v4, vcc, 0xffffffc1, v2
	v_addc_co_u32_e32 v5, vcc, -1, v5, vcc
	v_cmp_gt_i64_e32 vcc, s[12:13], v[4:5]
	v_mov_b32_e32 v68, 0
	v_mov_b32_e32 v67, 0
	s_and_saveexec_b64 s[22:23], vcc
	s_cbranch_execz .LBB78_9
; %bb.8:                                ;   in Loop: Header=BB78_5 Depth=1
	v_lshlrev_b64 v[4:5], 2, v[4:5]
	v_mov_b32_e32 v2, s31
	v_add_co_u32_e32 v6, vcc, s30, v4
	v_addc_co_u32_e32 v7, vcc, v2, v5, vcc
	v_mov_b32_e32 v2, s29
	v_add_co_u32_e32 v4, vcc, s28, v4
	v_addc_co_u32_e32 v5, vcc, v2, v5, vcc
	global_load_dword v68, v[4:5], off
	global_load_dword v67, v[6:7], off
.LBB78_9:                               ;   in Loop: Header=BB78_5 Depth=1
	s_or_b64 exec, exec, s[22:23]
.LBB78_10:                              ;   in Loop: Header=BB78_5 Depth=1
	s_or_b64 exec, exec, s[8:9]
	s_mov_b32 s21, s20
	v_add_co_u32_e32 v4, vcc, 0xffffffc1, v65
	s_mov_b32 s22, s20
	s_mov_b32 s23, s20
	;; [unrolled: 1-line block ×6, first 2 shown]
	v_pk_mov_b32 v[10:11], s[20:21], s[20:21] op_sel:[0,1]
	v_addc_co_u32_e32 v5, vcc, -1, v66, vcc
	v_pk_mov_b32 v[16:17], s[26:27], s[26:27] op_sel:[0,1]
	v_cmp_gt_i64_e32 vcc, s[12:13], v[4:5]
	v_pk_mov_b32 v[12:13], s[22:23], s[22:23] op_sel:[0,1]
	v_pk_mov_b32 v[14:15], s[24:25], s[24:25] op_sel:[0,1]
	;; [unrolled: 1-line block ×3, first 2 shown]
	s_and_b64 s[42:43], s[2:3], vcc
	v_pk_mov_b32 v[22:23], v[14:15], v[14:15] op_sel:[0,1]
	v_pk_mov_b32 v[20:21], v[12:13], v[12:13] op_sel:[0,1]
	;; [unrolled: 1-line block ×3, first 2 shown]
	s_and_saveexec_b64 s[8:9], s[42:43]
	s_cbranch_execz .LBB78_12
; %bb.11:                               ;   in Loop: Header=BB78_5 Depth=1
	v_add_co_u32_e32 v4, vcc, v60, v30
	v_addc_co_u32_e32 v5, vcc, v57, v31, vcc
	global_load_ushort v2, v[4:5], off
	v_add_co_u32_e32 v4, vcc, v62, v30
	v_addc_co_u32_e32 v5, vcc, v59, v31, vcc
	global_load_ushort v10, v[4:5], off
	v_mov_b32_e32 v8, v3
	v_mov_b32_e32 v9, v3
	;; [unrolled: 1-line block ×13, first 2 shown]
	s_waitcnt vmcnt(1)
	v_cvt_f32_f16_e32 v2, v2
	v_pk_mov_b32 v[24:25], v[8:9], v[8:9] op_sel:[0,1]
	v_pk_mov_b32 v[22:23], v[6:7], v[6:7] op_sel:[0,1]
	;; [unrolled: 1-line block ×4, first 2 shown]
	s_waitcnt vmcnt(0)
	v_cvt_f32_f16_e32 v10, v10
.LBB78_12:                              ;   in Loop: Header=BB78_5 Depth=1
	s_or_b64 exec, exec, s[8:9]
	v_add_co_u32_e32 v4, vcc, 0xffffffc2, v65
	v_addc_co_u32_e32 v5, vcc, -1, v66, vcc
	v_cmp_gt_i64_e32 vcc, s[12:13], v[4:5]
	s_and_b64 s[22:23], s[2:3], vcc
	s_and_saveexec_b64 s[8:9], s[22:23]
	s_cbranch_execz .LBB78_14
; %bb.13:                               ;   in Loop: Header=BB78_5 Depth=1
	v_add_co_u32_e32 v4, vcc, v56, v30
	v_addc_co_u32_e32 v5, vcc, v53, v31, vcc
	global_load_ushort v2, v[4:5], off
	v_add_co_u32_e32 v4, vcc, v58, v30
	v_addc_co_u32_e32 v5, vcc, v55, v31, vcc
	global_load_ushort v4, v[4:5], off
	s_waitcnt vmcnt(1)
	v_cvt_f32_f16_e32 v19, v2
	s_waitcnt vmcnt(0)
	v_cvt_f32_f16_e32 v11, v4
.LBB78_14:                              ;   in Loop: Header=BB78_5 Depth=1
	s_or_b64 exec, exec, s[8:9]
	v_add_co_u32_e32 v4, vcc, 0xffffffc3, v65
	v_addc_co_u32_e32 v5, vcc, -1, v66, vcc
	v_cmp_gt_i64_e32 vcc, s[12:13], v[4:5]
	s_and_b64 s[22:23], s[2:3], vcc
	s_and_saveexec_b64 s[8:9], s[22:23]
	s_cbranch_execz .LBB78_16
; %bb.15:                               ;   in Loop: Header=BB78_5 Depth=1
	v_add_co_u32_e32 v4, vcc, v52, v30
	v_addc_co_u32_e32 v5, vcc, v49, v31, vcc
	global_load_ushort v2, v[4:5], off
	v_add_co_u32_e32 v4, vcc, v54, v30
	v_addc_co_u32_e32 v5, vcc, v51, v31, vcc
	global_load_ushort v4, v[4:5], off
	s_waitcnt vmcnt(1)
	v_cvt_f32_f16_e32 v20, v2
	s_waitcnt vmcnt(0)
	v_cvt_f32_f16_e32 v12, v4
.LBB78_16:                              ;   in Loop: Header=BB78_5 Depth=1
	;; [unrolled: 19-line block ×7, first 2 shown]
	s_or_b64 exec, exec, s[8:9]
	s_waitcnt vmcnt(1)
	ds_bpermute_b32 v2, v64, v68
	ds_bpermute_b32 v4, v64, v68 offset:4
	s_waitcnt vmcnt(0)
	ds_bpermute_b32 v5, v64, v67
	ds_bpermute_b32 v6, v64, v67 offset:4
	ds_bpermute_b32 v8, v64, v67 offset:12
	s_waitcnt lgkmcnt(4)
	v_sub_f32_e32 v2, v10, v2
	v_mul_f32_e32 v2, v18, v2
	s_waitcnt lgkmcnt(3)
	v_sub_f32_e32 v4, v11, v4
	s_waitcnt lgkmcnt(2)
	v_mul_f32_e32 v5, v2, v5
	ds_bpermute_b32 v2, v64, v68 offset:8
	v_mul_f32_e32 v4, v19, v4
	s_waitcnt lgkmcnt(2)
	v_mul_f32_e32 v7, v4, v6
	ds_bpermute_b32 v4, v64, v67 offset:8
	ds_bpermute_b32 v6, v64, v68 offset:12
	s_waitcnt lgkmcnt(2)
	v_sub_f32_e32 v2, v12, v2
	v_mul_f32_e32 v2, v20, v2
	v_mov_b32_e32 v10, v21
	s_waitcnt lgkmcnt(1)
	v_mul_f32_e32 v9, v2, v4
	s_waitcnt lgkmcnt(0)
	v_sub_f32_e32 v2, v13, v6
	ds_bpermute_b32 v4, v64, v68 offset:16
	v_mul_f32_e32 v2, v21, v2
	v_mul_f32_e32 v11, v2, v8
	ds_bpermute_b32 v2, v64, v67 offset:16
	ds_bpermute_b32 v6, v64, v68 offset:20
	;; [unrolled: 1-line block ×3, first 2 shown]
	s_waitcnt lgkmcnt(3)
	v_sub_f32_e32 v4, v14, v4
	v_mul_f32_e32 v4, v22, v4
	s_waitcnt lgkmcnt(2)
	v_mul_f32_e32 v13, v4, v2
	s_waitcnt lgkmcnt(1)
	v_sub_f32_e32 v2, v15, v6
	v_mul_f32_e32 v2, v23, v2
	s_waitcnt lgkmcnt(0)
	v_mul_f32_e32 v15, v2, v8
	ds_bpermute_b32 v2, v64, v68 offset:24
	v_mov_b32_e32 v4, v18
	v_pk_add_f32 v[4:5], v[26:27], v[4:5]
	v_mov_b32_e32 v6, v19
	v_pk_add_f32 v[4:5], v[6:7], v[4:5]
	ds_bpermute_b32 v7, v64, v67 offset:24
	v_mov_b32_e32 v8, v20
	s_waitcnt lgkmcnt(1)
	v_sub_f32_e32 v2, v16, v2
	v_pk_add_f32 v[4:5], v[8:9], v[4:5]
	v_mul_f32_e32 v8, v24, v2
	ds_bpermute_b32 v2, v64, v67 offset:28
	ds_bpermute_b32 v6, v64, v68 offset:28
	v_pk_add_f32 v[4:5], v[10:11], v[4:5]
	v_mov_b32_e32 v12, v22
	v_pk_add_f32 v[4:5], v[12:13], v[4:5]
	v_mov_b32_e32 v14, v23
	v_pk_add_f32 v[4:5], v[14:15], v[4:5]
	s_waitcnt lgkmcnt(2)
	v_mul_f32_e32 v9, v8, v7
	v_mov_b32_e32 v8, v24
	v_pk_add_f32 v[4:5], v[8:9], v[4:5]
	s_branch .LBB78_4
.LBB78_27:                              ;   in Loop: Header=BB78_5 Depth=1
                                        ; implicit-def: $vgpr4_vgpr5
                                        ; implicit-def: $vgpr2
                                        ; implicit-def: $vgpr10_vgpr11_vgpr12_vgpr13_vgpr14_vgpr15_vgpr16_vgpr17
                                        ; implicit-def: $vgpr18_vgpr19_vgpr20_vgpr21_vgpr22_vgpr23_vgpr24_vgpr25
                                        ; implicit-def: $vgpr6
	s_cbranch_execz .LBB78_4
; %bb.28:                               ;   in Loop: Header=BB78_5 Depth=1
	s_load_dword s8, s[34:35], 0x0
	v_mov_b32_e32 v67, 0
	v_mov_b32_e32 v68, 0
	s_waitcnt lgkmcnt(0)
	s_cmp_lt_u32 s6, s8
	s_cselect_b32 s8, 12, 18
	s_add_u32 s8, s34, s8
	s_addc_u32 s9, s35, 0
	global_load_ushort v2, v3, s[8:9]
	s_waitcnt vmcnt(0)
	v_mad_u32_u24 v2, v63, v2, v61
	v_and_b32_e32 v2, 63, v2
	v_cmp_gt_u32_e32 vcc, 8, v2
	s_and_saveexec_b64 s[8:9], vcc
	s_cbranch_execz .LBB78_32
; %bb.29:                               ;   in Loop: Header=BB78_5 Depth=1
	v_add_co_u32_e32 v2, vcc, v65, v2
	v_addc_co_u32_e32 v5, vcc, 0, v66, vcc
	v_add_co_u32_e32 v4, vcc, 0xffffffc1, v2
	v_addc_co_u32_e32 v5, vcc, -1, v5, vcc
	v_cmp_gt_i64_e32 vcc, s[12:13], v[4:5]
	v_mov_b32_e32 v68, 0
	v_mov_b32_e32 v67, 0
	s_and_saveexec_b64 s[22:23], vcc
	s_cbranch_execz .LBB78_31
; %bb.30:                               ;   in Loop: Header=BB78_5 Depth=1
	v_lshlrev_b64 v[4:5], 2, v[4:5]
	v_mov_b32_e32 v2, s31
	v_add_co_u32_e32 v6, vcc, s30, v4
	v_addc_co_u32_e32 v7, vcc, v2, v5, vcc
	v_mov_b32_e32 v2, s29
	v_add_co_u32_e32 v4, vcc, s28, v4
	v_addc_co_u32_e32 v5, vcc, v2, v5, vcc
	global_load_dword v68, v[4:5], off
	global_load_dword v67, v[6:7], off
.LBB78_31:                              ;   in Loop: Header=BB78_5 Depth=1
	s_or_b64 exec, exec, s[22:23]
.LBB78_32:                              ;   in Loop: Header=BB78_5 Depth=1
	s_or_b64 exec, exec, s[8:9]
	s_mov_b32 s21, s20
	s_mov_b32 s22, s20
	;; [unrolled: 1-line block ×7, first 2 shown]
	v_pk_mov_b32 v[10:11], s[20:21], s[20:21] op_sel:[0,1]
	v_pk_mov_b32 v[16:17], s[26:27], s[26:27] op_sel:[0,1]
	;; [unrolled: 1-line block ×8, first 2 shown]
	s_and_saveexec_b64 s[8:9], s[2:3]
	s_cbranch_execnz .LBB78_40
; %bb.33:                               ;   in Loop: Header=BB78_5 Depth=1
	s_or_b64 exec, exec, s[8:9]
	s_and_saveexec_b64 s[8:9], s[2:3]
	s_cbranch_execnz .LBB78_41
.LBB78_34:                              ;   in Loop: Header=BB78_5 Depth=1
	s_or_b64 exec, exec, s[8:9]
	s_and_saveexec_b64 s[8:9], s[2:3]
	s_cbranch_execnz .LBB78_42
.LBB78_35:                              ;   in Loop: Header=BB78_5 Depth=1
	s_or_b64 exec, exec, s[8:9]
	s_and_saveexec_b64 s[8:9], s[2:3]
	s_cbranch_execnz .LBB78_43
.LBB78_36:                              ;   in Loop: Header=BB78_5 Depth=1
	s_or_b64 exec, exec, s[8:9]
	s_and_saveexec_b64 s[8:9], s[2:3]
	s_cbranch_execnz .LBB78_44
.LBB78_37:                              ;   in Loop: Header=BB78_5 Depth=1
	s_or_b64 exec, exec, s[8:9]
	s_and_saveexec_b64 s[8:9], s[2:3]
	s_cbranch_execnz .LBB78_45
.LBB78_38:                              ;   in Loop: Header=BB78_5 Depth=1
	s_or_b64 exec, exec, s[8:9]
	s_and_saveexec_b64 s[8:9], s[2:3]
	s_cbranch_execnz .LBB78_46
.LBB78_39:                              ;   in Loop: Header=BB78_5 Depth=1
	s_or_b64 exec, exec, s[8:9]
	s_and_saveexec_b64 s[8:9], s[2:3]
	s_cbranch_execz .LBB78_3
	s_branch .LBB78_47
.LBB78_40:                              ;   in Loop: Header=BB78_5 Depth=1
	v_add_co_u32_e32 v4, vcc, v60, v30
	v_addc_co_u32_e32 v5, vcc, v57, v31, vcc
	global_load_ushort v2, v[4:5], off
	v_add_co_u32_e32 v4, vcc, v62, v30
	v_addc_co_u32_e32 v5, vcc, v59, v31, vcc
	global_load_ushort v10, v[4:5], off
	v_mov_b32_e32 v8, v3
	v_mov_b32_e32 v9, v3
	;; [unrolled: 1-line block ×13, first 2 shown]
	s_waitcnt vmcnt(1)
	v_cvt_f32_f16_e32 v2, v2
	v_pk_mov_b32 v[24:25], v[8:9], v[8:9] op_sel:[0,1]
	v_pk_mov_b32 v[22:23], v[6:7], v[6:7] op_sel:[0,1]
	;; [unrolled: 1-line block ×4, first 2 shown]
	s_waitcnt vmcnt(0)
	v_cvt_f32_f16_e32 v10, v10
	s_or_b64 exec, exec, s[8:9]
	s_and_saveexec_b64 s[8:9], s[2:3]
	s_cbranch_execz .LBB78_34
.LBB78_41:                              ;   in Loop: Header=BB78_5 Depth=1
	v_add_co_u32_e32 v4, vcc, v56, v30
	v_addc_co_u32_e32 v5, vcc, v53, v31, vcc
	global_load_ushort v2, v[4:5], off
	v_add_co_u32_e32 v4, vcc, v58, v30
	v_addc_co_u32_e32 v5, vcc, v55, v31, vcc
	global_load_ushort v4, v[4:5], off
	s_waitcnt vmcnt(1)
	v_cvt_f32_f16_e32 v19, v2
	s_waitcnt vmcnt(0)
	v_cvt_f32_f16_e32 v11, v4
	s_or_b64 exec, exec, s[8:9]
	s_and_saveexec_b64 s[8:9], s[2:3]
	s_cbranch_execz .LBB78_35
.LBB78_42:                              ;   in Loop: Header=BB78_5 Depth=1
	v_add_co_u32_e32 v4, vcc, v52, v30
	v_addc_co_u32_e32 v5, vcc, v49, v31, vcc
	global_load_ushort v2, v[4:5], off
	v_add_co_u32_e32 v4, vcc, v54, v30
	v_addc_co_u32_e32 v5, vcc, v51, v31, vcc
	global_load_ushort v4, v[4:5], off
	s_waitcnt vmcnt(1)
	v_cvt_f32_f16_e32 v20, v2
	s_waitcnt vmcnt(0)
	v_cvt_f32_f16_e32 v12, v4
	s_or_b64 exec, exec, s[8:9]
	s_and_saveexec_b64 s[8:9], s[2:3]
	s_cbranch_execz .LBB78_36
.LBB78_43:                              ;   in Loop: Header=BB78_5 Depth=1
	v_add_co_u32_e32 v4, vcc, v48, v30
	v_addc_co_u32_e32 v5, vcc, v45, v31, vcc
	global_load_ushort v2, v[4:5], off
	v_add_co_u32_e32 v4, vcc, v50, v30
	v_addc_co_u32_e32 v5, vcc, v47, v31, vcc
	global_load_ushort v4, v[4:5], off
	s_waitcnt vmcnt(1)
	v_cvt_f32_f16_e32 v21, v2
	s_waitcnt vmcnt(0)
	v_cvt_f32_f16_e32 v13, v4
	s_or_b64 exec, exec, s[8:9]
	s_and_saveexec_b64 s[8:9], s[2:3]
	s_cbranch_execz .LBB78_37
.LBB78_44:                              ;   in Loop: Header=BB78_5 Depth=1
	v_add_co_u32_e32 v4, vcc, v44, v30
	v_addc_co_u32_e32 v5, vcc, v41, v31, vcc
	global_load_ushort v2, v[4:5], off
	v_add_co_u32_e32 v4, vcc, v46, v30
	v_addc_co_u32_e32 v5, vcc, v43, v31, vcc
	global_load_ushort v4, v[4:5], off
	s_waitcnt vmcnt(1)
	v_cvt_f32_f16_e32 v22, v2
	s_waitcnt vmcnt(0)
	v_cvt_f32_f16_e32 v14, v4
	s_or_b64 exec, exec, s[8:9]
	s_and_saveexec_b64 s[8:9], s[2:3]
	s_cbranch_execz .LBB78_38
.LBB78_45:                              ;   in Loop: Header=BB78_5 Depth=1
	v_add_co_u32_e32 v4, vcc, v40, v30
	v_addc_co_u32_e32 v5, vcc, v37, v31, vcc
	global_load_ushort v2, v[4:5], off
	v_add_co_u32_e32 v4, vcc, v42, v30
	v_addc_co_u32_e32 v5, vcc, v39, v31, vcc
	global_load_ushort v4, v[4:5], off
	s_waitcnt vmcnt(1)
	v_cvt_f32_f16_e32 v23, v2
	s_waitcnt vmcnt(0)
	v_cvt_f32_f16_e32 v15, v4
	s_or_b64 exec, exec, s[8:9]
	s_and_saveexec_b64 s[8:9], s[2:3]
	s_cbranch_execz .LBB78_39
.LBB78_46:                              ;   in Loop: Header=BB78_5 Depth=1
	v_add_co_u32_e32 v4, vcc, v36, v30
	v_addc_co_u32_e32 v5, vcc, v33, v31, vcc
	global_load_ushort v2, v[4:5], off
	v_add_co_u32_e32 v4, vcc, v38, v30
	v_addc_co_u32_e32 v5, vcc, v35, v31, vcc
	global_load_ushort v4, v[4:5], off
	s_waitcnt vmcnt(1)
	v_cvt_f32_f16_e32 v24, v2
	s_waitcnt vmcnt(0)
	v_cvt_f32_f16_e32 v16, v4
	s_or_b64 exec, exec, s[8:9]
	s_and_saveexec_b64 s[8:9], s[2:3]
	s_cbranch_execz .LBB78_3
.LBB78_47:                              ;   in Loop: Header=BB78_5 Depth=1
	v_add_co_u32_e32 v4, vcc, v32, v30
	v_addc_co_u32_e32 v5, vcc, v1, v31, vcc
	global_load_ushort v2, v[4:5], off
	v_add_co_u32_e32 v4, vcc, v34, v30
	v_addc_co_u32_e32 v5, vcc, v29, v31, vcc
	global_load_ushort v4, v[4:5], off
	s_waitcnt vmcnt(1)
	v_cvt_f32_f16_e32 v25, v2
	s_waitcnt vmcnt(0)
	v_cvt_f32_f16_e32 v17, v4
	s_branch .LBB78_3
.LBB78_48:
                                        ; implicit-def: $vgpr27
	s_branch .LBB78_50
.LBB78_49:
	s_cbranch_execnz .LBB78_81
.LBB78_50:
	v_mov_b32_e32 v27, 0
	s_mov_b32 s20, 0
	s_and_b64 vcc, exec, s[0:1]
	v_mov_b32_e32 v26, v27
	s_cbranch_vccnz .LBB78_81
; %bb.51:
	s_load_dword s0, s[4:5], 0x44
	s_add_u32 s2, s4, 64
	s_addc_u32 s3, s5, 0
	v_bfe_u32 v87, v0, 10, 10
	v_lshlrev_b32_e32 v1, 4, v87
	s_waitcnt lgkmcnt(0)
	s_lshl_b32 s7, s0, 6
	s_add_u32 s8, s10, 63
	s_addc_u32 s9, 0, 0
	s_lshl_b64 s[0:1], s[10:11], 1
	v_mov_b32_e32 v2, s1
	v_add_co_u32_e32 v1, vcc, s0, v1
	v_addc_co_u32_e32 v4, vcc, 0, v2, vcc
	v_add_co_u32_e32 v6, vcc, 2, v1
	v_addc_co_u32_e32 v5, vcc, 0, v4, vcc
	v_add_co_u32_e32 v9, vcc, 4, v1
	v_mul_lo_u32 v7, s14, v5
	v_addc_co_u32_e32 v5, vcc, 0, v4, vcc
	v_add_co_u32_e32 v12, vcc, 6, v1
	v_mul_lo_u32 v10, s14, v5
	;; [unrolled: 3-line block ×5, first 2 shown]
	v_addc_co_u32_e32 v5, vcc, 0, v4, vcc
	v_add_co_u32_e32 v24, vcc, 14, v1
	v_lshlrev_b32_e32 v28, 3, v87
	v_addc_co_u32_e32 v1, vcc, 0, v4, vcc
	v_mul_lo_u32 v25, s14, v1
	v_mov_b32_e32 v1, s11
	v_add_co_u32_e32 v27, vcc, s10, v28
	v_pk_mov_b32 v[2:3], s[16:17], s[16:17] op_sel:[0,1]
	v_addc_co_u32_e32 v45, vcc, 0, v1, vcc
	v_mad_u64_u32 v[30:31], s[0:1], s14, v6, v[2:3]
	v_mad_u64_u32 v[32:33], s[0:1], s14, v9, v[2:3]
	v_mad_u64_u32 v[34:35], s[0:1], s14, v12, v[2:3]
	v_mad_u64_u32 v[36:37], s[0:1], s14, v15, v[2:3]
	v_mad_u64_u32 v[38:39], s[0:1], s14, v18, v[2:3]
	v_mad_u64_u32 v[40:41], s[0:1], s14, v21, v[2:3]
	v_mad_u64_u32 v[42:43], s[0:1], s14, v24, v[2:3]
	v_mul_lo_u32 v61, s15, v27
	v_mul_lo_u32 v62, s14, v45
	v_mad_u64_u32 v[2:3], s[0:1], s14, v27, 0
	v_add3_u32 v3, v3, v62, v61
	v_lshlrev_b64 v[2:3], 1, v[2:3]
	v_mul_lo_u32 v22, s14, v5
	v_mov_b32_e32 v83, s17
	v_add_co_u32_e32 v44, vcc, s16, v2
	v_pk_mov_b32 v[4:5], s[18:19], s[18:19] op_sel:[0,1]
	v_mul_lo_u32 v17, s15, v15
	v_addc_co_u32_e32 v1, vcc, v83, v3, vcc
	v_mad_u64_u32 v[52:53], s[0:1], s14, v15, v[4:5]
	v_add3_u32 v37, v17, v37, v16
	v_add3_u32 v53, v17, v53, v16
	v_mov_b32_e32 v16, s19
	v_add_co_u32_e32 v60, vcc, s18, v2
	v_addc_co_u32_e32 v29, vcc, v16, v3, vcc
	v_add_co_u32_e32 v2, vcc, 7, v27
	v_addc_co_u32_e32 v3, vcc, 0, v45, vcc
	v_mad_u64_u32 v[46:47], s[0:1], s14, v6, v[4:5]
	v_mad_u64_u32 v[48:49], s[0:1], s14, v9, v[4:5]
	;; [unrolled: 1-line block ×6, first 2 shown]
	v_mul_lo_u32 v4, s15, v2
	v_mul_lo_u32 v5, s14, v3
	v_mad_u64_u32 v[2:3], s[0:1], s14, v2, 0
	v_add3_u32 v3, v3, v5, v4
	v_add_co_u32_e32 v4, vcc, 6, v27
	v_mul_lo_u32 v8, s15, v6
	v_addc_co_u32_e32 v5, vcc, 0, v45, vcc
	v_add3_u32 v31, v8, v31, v7
	v_add3_u32 v47, v8, v47, v7
	v_mul_lo_u32 v6, s15, v4
	v_mul_lo_u32 v7, s14, v5
	v_mad_u64_u32 v[4:5], s[0:1], s14, v4, 0
	v_add3_u32 v5, v5, v7, v6
	v_add_co_u32_e32 v6, vcc, 5, v27
	v_addc_co_u32_e32 v7, vcc, 0, v45, vcc
	v_mul_lo_u32 v11, s15, v9
	v_mul_lo_u32 v8, s15, v6
	;; [unrolled: 1-line block ×3, first 2 shown]
	v_mad_u64_u32 v[6:7], s[0:1], s14, v6, 0
	v_add3_u32 v7, v7, v9, v8
	v_add_co_u32_e32 v8, vcc, 4, v27
	v_addc_co_u32_e32 v9, vcc, 0, v45, vcc
	v_add3_u32 v33, v11, v33, v10
	v_add3_u32 v49, v11, v49, v10
	v_mul_lo_u32 v10, s15, v8
	v_mul_lo_u32 v11, s14, v9
	v_mad_u64_u32 v[8:9], s[0:1], s14, v8, 0
	v_add3_u32 v9, v9, v11, v10
	v_add_co_u32_e32 v10, vcc, 3, v27
	v_mul_lo_u32 v14, s15, v12
	v_addc_co_u32_e32 v11, vcc, 0, v45, vcc
	v_add3_u32 v35, v14, v35, v13
	v_add3_u32 v51, v14, v51, v13
	v_mul_lo_u32 v12, s15, v10
	v_mul_lo_u32 v13, s14, v11
	v_mad_u64_u32 v[10:11], s[0:1], s14, v10, 0
	v_add3_u32 v11, v11, v13, v12
	v_add_co_u32_e32 v12, vcc, 2, v27
	v_addc_co_u32_e32 v13, vcc, 0, v45, vcc
	v_mul_lo_u32 v14, s15, v12
	v_mul_lo_u32 v15, s14, v13
	v_mad_u64_u32 v[12:13], s[0:1], s14, v12, 0
	v_add3_u32 v13, v13, v15, v14
	v_pk_mov_b32 v[14:15], s[14:15], s[14:15] op_sel:[0,1]
	v_lshlrev_b64 v[2:3], 1, v[2:3]
	v_mad_u64_u32 v[14:15], s[0:1], s14, v27, v[14:15]
	v_add3_u32 v15, v61, v15, v62
	v_add_co_u32_e32 v62, vcc, s16, v2
	v_addc_co_u32_e32 v45, vcc, v83, v3, vcc
	v_add_co_u32_e32 v64, vcc, s18, v2
	v_addc_co_u32_e32 v61, vcc, v16, v3, vcc
	v_lshlrev_b64 v[2:3], 1, v[4:5]
	v_add_co_u32_e32 v66, vcc, s16, v2
	v_addc_co_u32_e32 v63, vcc, v83, v3, vcc
	v_add_co_u32_e32 v68, vcc, s18, v2
	v_addc_co_u32_e32 v65, vcc, v16, v3, vcc
	v_lshlrev_b64 v[2:3], 1, v[6:7]
	;; [unrolled: 5-line block ×6, first 2 shown]
	v_add_co_u32_e32 v86, vcc, s16, v2
	v_addc_co_u32_e32 v83, vcc, v83, v3, vcc
	v_mbcnt_lo_u32_b32 v4, -1, 0
	v_add_co_u32_e32 v88, vcc, s18, v2
	v_and_b32_e32 v89, 0x3ff, v0
	s_mul_i32 s0, s15, s7
	s_mul_hi_u32 s1, s14, s7
	v_mbcnt_hi_u32_b32 v4, -1, v4
	v_mul_lo_u32 v20, s15, v18
	v_mul_lo_u32 v23, s15, v21
	;; [unrolled: 1-line block ×3, first 2 shown]
	v_addc_co_u32_e32 v85, vcc, v16, v3, vcc
	v_add_u32_e32 v2, s33, v89
	v_mov_b32_e32 v3, 0
	s_add_i32 s1, s1, s0
	s_mul_i32 s0, s14, s7
	v_lshlrev_b32_e32 v4, 2, v4
	v_add3_u32 v39, v20, v39, v19
	v_add3_u32 v41, v23, v41, v22
	;; [unrolled: 1-line block ×6, first 2 shown]
	s_lshl_b64 s[16:17], s[0:1], 1
	v_and_b32_e32 v94, 0x100, v4
	v_mov_b32_e32 v26, v3
	v_mov_b32_e32 v27, v3
	v_lshlrev_b64 v[90:91], 1, v[2:3]
	s_branch .LBB78_55
.LBB78_52:                              ;   in Loop: Header=BB78_55 Depth=1
	s_or_b64 exec, exec, s[18:19]
.LBB78_53:                              ;   in Loop: Header=BB78_55 Depth=1
	s_or_b64 exec, exec, s[0:1]
	v_add_co_u32_e32 v4, vcc, v44, v90
	v_addc_co_u32_e32 v5, vcc, v1, v91, vcc
	global_load_ushort v7, v[4:5], off
	v_add_co_u32_e32 v4, vcc, v60, v90
	v_addc_co_u32_e32 v5, vcc, v29, v91, vcc
	global_load_ushort v8, v[4:5], off
	;; [unrolled: 3-line block ×16, first 2 shown]
	s_waitcnt vmcnt(16)
	ds_bpermute_b32 v24, v94, v2 offset:8
	s_waitcnt vmcnt(15)
	v_cvt_f32_f16_e32 v4, v7
	s_waitcnt vmcnt(14)
	v_cvt_f32_f16_e32 v7, v8
	;; [unrolled: 2-line block ×13, first 2 shown]
	ds_bpermute_b32 v19, v94, v6
	s_waitcnt vmcnt(2)
	v_cvt_f32_f16_e32 v22, v20
	s_waitcnt vmcnt(1)
	v_cvt_f32_f16_e32 v20, v21
	ds_bpermute_b32 v21, v94, v2
	s_waitcnt vmcnt(0)
	v_cvt_f32_f16_e32 v23, v5
	s_waitcnt lgkmcnt(1)
	v_sub_f32_e32 v5, v7, v19
	ds_bpermute_b32 v7, v94, v6 offset:4
	v_mul_f32_e32 v5, v5, v4
	s_waitcnt lgkmcnt(1)
	v_mul_f32_e32 v5, v5, v21
	ds_bpermute_b32 v19, v94, v2 offset:4
	ds_bpermute_b32 v21, v94, v6 offset:8
	s_waitcnt lgkmcnt(2)
	v_sub_f32_e32 v7, v9, v7
	v_mul_f32_e32 v7, v7, v8
	v_pk_add_f32 v[4:5], v[92:93], v[4:5]
	s_waitcnt lgkmcnt(1)
	v_mul_f32_e32 v9, v7, v19
	s_waitcnt lgkmcnt(0)
	v_sub_f32_e32 v7, v11, v21
	ds_bpermute_b32 v19, v94, v6 offset:12
	v_mul_f32_e32 v7, v7, v10
	v_mul_f32_e32 v11, v7, v24
	ds_bpermute_b32 v7, v94, v2 offset:12
	ds_bpermute_b32 v21, v94, v6 offset:16
	s_waitcnt lgkmcnt(2)
	v_sub_f32_e32 v13, v13, v19
	ds_bpermute_b32 v19, v94, v2 offset:16
	v_mul_f32_e32 v13, v13, v12
	s_waitcnt lgkmcnt(2)
	v_mul_f32_e32 v13, v13, v7
	s_waitcnt lgkmcnt(1)
	v_sub_f32_e32 v7, v15, v21
	ds_bpermute_b32 v21, v94, v6 offset:20
	v_mul_f32_e32 v7, v7, v14
	s_waitcnt lgkmcnt(1)
	v_mul_f32_e32 v15, v7, v19
	ds_bpermute_b32 v7, v94, v2 offset:20
	ds_bpermute_b32 v19, v94, v6 offset:24
	;; [unrolled: 1-line block ×3, first 2 shown]
	s_waitcnt lgkmcnt(3)
	v_sub_f32_e32 v17, v17, v21
	ds_bpermute_b32 v21, v94, v2 offset:24
	v_pk_add_f32 v[4:5], v[4:5], v[8:9]
	ds_bpermute_b32 v2, v94, v2 offset:28
	v_mul_f32_e32 v17, v17, v16
	v_pk_add_f32 v[4:5], v[4:5], v[10:11]
	s_waitcnt lgkmcnt(4)
	v_mul_f32_e32 v17, v17, v7
	s_waitcnt lgkmcnt(3)
	v_sub_f32_e32 v7, v22, v19
	v_pk_add_f32 v[4:5], v[4:5], v[12:13]
	v_mul_f32_e32 v7, v7, v18
	v_pk_add_f32 v[4:5], v[4:5], v[14:15]
	s_waitcnt lgkmcnt(2)
	v_sub_f32_e32 v6, v23, v6
	s_waitcnt lgkmcnt(1)
	v_mul_f32_e32 v19, v7, v21
	v_pk_add_f32 v[4:5], v[4:5], v[16:17]
	v_mul_f32_e32 v6, v6, v20
	v_pk_add_f32 v[4:5], v[4:5], v[18:19]
	s_waitcnt lgkmcnt(0)
	v_mul_f32_e32 v21, v6, v2
	v_pk_add_f32 v[26:27], v[4:5], v[20:21]
.LBB78_54:                              ;   in Loop: Header=BB78_55 Depth=1
	v_mov_b32_e32 v2, s17
	v_add_co_u32_e32 v30, vcc, s16, v30
	v_addc_co_u32_e32 v31, vcc, v31, v2, vcc
	v_add_co_u32_e32 v32, vcc, s16, v32
	v_addc_co_u32_e32 v33, vcc, v33, v2, vcc
	;; [unrolled: 2-line block ×29, first 2 shown]
	s_add_u32 s10, s10, s7
	v_add_co_u32_e32 v88, vcc, s16, v88
	s_addc_u32 s11, s11, 0
	v_addc_co_u32_e32 v85, vcc, v85, v2, vcc
	v_pk_mov_b32 v[4:5], s[12:13], s[12:13] op_sel:[0,1]
	s_add_u32 s8, s8, s7
	v_cmp_ge_i64_e32 vcc, s[10:11], v[4:5]
	s_addc_u32 s9, s9, 0
	s_cbranch_vccnz .LBB78_81
.LBB78_55:                              ; =>This Inner Loop Header: Depth=1
	v_pk_mov_b32 v[4:5], s[12:13], s[12:13] op_sel:[0,1]
	v_cmp_ge_i64_e32 vcc, s[8:9], v[4:5]
	v_mov_b32_e32 v2, s9
	v_add_co_u32_e64 v95, s[0:1], s8, v28
	v_mov_b32_e32 v92, v26
	v_mov_b32_e32 v93, v27
	v_addc_co_u32_e64 v96, s[0:1], 0, v2, s[0:1]
	s_cbranch_vccz .LBB78_77
; %bb.56:                               ;   in Loop: Header=BB78_55 Depth=1
	s_load_dword s0, s[2:3], 0xc
	v_mov_b32_e32 v26, 0
	v_mov_b32_e32 v27, 0
	s_waitcnt lgkmcnt(0)
	s_and_b32 s0, s0, 0xffff
	v_mad_u32_u24 v2, v87, s0, v89
	v_and_b32_e32 v2, 63, v2
	v_cmp_gt_u32_e32 vcc, 8, v2
	s_and_saveexec_b64 s[0:1], vcc
	s_cbranch_execz .LBB78_60
; %bb.57:                               ;   in Loop: Header=BB78_55 Depth=1
	v_add_co_u32_e32 v2, vcc, v95, v2
	v_addc_co_u32_e32 v5, vcc, 0, v96, vcc
	v_add_co_u32_e32 v4, vcc, 0xffffffc1, v2
	v_addc_co_u32_e32 v5, vcc, -1, v5, vcc
	v_cmp_gt_i64_e32 vcc, s[12:13], v[4:5]
	v_mov_b32_e32 v27, 0
	v_mov_b32_e32 v26, 0
	s_and_saveexec_b64 s[18:19], vcc
	s_cbranch_execz .LBB78_59
; %bb.58:                               ;   in Loop: Header=BB78_55 Depth=1
	v_lshlrev_b64 v[4:5], 2, v[4:5]
	v_mov_b32_e32 v2, s31
	v_add_co_u32_e32 v6, vcc, s30, v4
	v_addc_co_u32_e32 v7, vcc, v2, v5, vcc
	v_mov_b32_e32 v2, s29
	v_add_co_u32_e32 v4, vcc, s28, v4
	v_addc_co_u32_e32 v5, vcc, v2, v5, vcc
	global_load_dword v27, v[4:5], off
	global_load_dword v26, v[6:7], off
.LBB78_59:                              ;   in Loop: Header=BB78_55 Depth=1
	s_or_b64 exec, exec, s[18:19]
.LBB78_60:                              ;   in Loop: Header=BB78_55 Depth=1
	s_or_b64 exec, exec, s[0:1]
	s_mov_b32 s21, s20
	s_mov_b32 s22, s20
	s_mov_b32 s23, s20
	s_mov_b32 s24, s20
	s_mov_b32 s25, s20
	s_mov_b32 s26, s20
	s_mov_b32 s27, s20
	v_pk_mov_b32 v[10:11], s[20:21], s[20:21] op_sel:[0,1]
	v_add_co_u32_e32 v4, vcc, 0xffffffc1, v95
	v_pk_mov_b32 v[16:17], s[26:27], s[26:27] op_sel:[0,1]
	v_addc_co_u32_e32 v5, vcc, -1, v96, vcc
	v_pk_mov_b32 v[12:13], s[22:23], s[22:23] op_sel:[0,1]
	v_pk_mov_b32 v[14:15], s[24:25], s[24:25] op_sel:[0,1]
	;; [unrolled: 1-line block ×3, first 2 shown]
	v_cmp_gt_i64_e32 vcc, s[12:13], v[4:5]
	v_pk_mov_b32 v[22:23], v[14:15], v[14:15] op_sel:[0,1]
	v_pk_mov_b32 v[20:21], v[12:13], v[12:13] op_sel:[0,1]
	;; [unrolled: 1-line block ×3, first 2 shown]
	s_and_saveexec_b64 s[0:1], vcc
	s_cbranch_execz .LBB78_62
; %bb.61:                               ;   in Loop: Header=BB78_55 Depth=1
	v_add_co_u32_e32 v4, vcc, v44, v90
	v_addc_co_u32_e32 v5, vcc, v1, v91, vcc
	global_load_ushort v2, v[4:5], off
	v_add_co_u32_e32 v4, vcc, v60, v90
	v_addc_co_u32_e32 v5, vcc, v29, v91, vcc
	global_load_ushort v10, v[4:5], off
	v_mov_b32_e32 v8, v3
	v_mov_b32_e32 v9, v3
	;; [unrolled: 1-line block ×13, first 2 shown]
	s_waitcnt vmcnt(1)
	v_cvt_f32_f16_e32 v2, v2
	v_pk_mov_b32 v[24:25], v[8:9], v[8:9] op_sel:[0,1]
	v_pk_mov_b32 v[22:23], v[6:7], v[6:7] op_sel:[0,1]
	;; [unrolled: 1-line block ×4, first 2 shown]
	s_waitcnt vmcnt(0)
	v_cvt_f32_f16_e32 v10, v10
.LBB78_62:                              ;   in Loop: Header=BB78_55 Depth=1
	s_or_b64 exec, exec, s[0:1]
	v_add_co_u32_e32 v4, vcc, 0xffffffc2, v95
	v_addc_co_u32_e32 v5, vcc, -1, v96, vcc
	v_cmp_gt_i64_e32 vcc, s[12:13], v[4:5]
	s_and_saveexec_b64 s[0:1], vcc
	s_cbranch_execz .LBB78_64
; %bb.63:                               ;   in Loop: Header=BB78_55 Depth=1
	v_add_co_u32_e32 v4, vcc, v86, v90
	v_addc_co_u32_e32 v5, vcc, v83, v91, vcc
	global_load_ushort v2, v[4:5], off
	v_add_co_u32_e32 v4, vcc, v88, v90
	v_addc_co_u32_e32 v5, vcc, v85, v91, vcc
	global_load_ushort v4, v[4:5], off
	s_waitcnt vmcnt(1)
	v_cvt_f32_f16_e32 v19, v2
	s_waitcnt vmcnt(0)
	v_cvt_f32_f16_e32 v11, v4
.LBB78_64:                              ;   in Loop: Header=BB78_55 Depth=1
	s_or_b64 exec, exec, s[0:1]
	v_add_co_u32_e32 v4, vcc, 0xffffffc3, v95
	v_addc_co_u32_e32 v5, vcc, -1, v96, vcc
	v_cmp_gt_i64_e32 vcc, s[12:13], v[4:5]
	s_and_saveexec_b64 s[0:1], vcc
	s_cbranch_execz .LBB78_66
; %bb.65:                               ;   in Loop: Header=BB78_55 Depth=1
	v_add_co_u32_e32 v4, vcc, v82, v90
	v_addc_co_u32_e32 v5, vcc, v79, v91, vcc
	global_load_ushort v2, v[4:5], off
	v_add_co_u32_e32 v4, vcc, v84, v90
	v_addc_co_u32_e32 v5, vcc, v81, v91, vcc
	global_load_ushort v4, v[4:5], off
	s_waitcnt vmcnt(1)
	v_cvt_f32_f16_e32 v20, v2
	s_waitcnt vmcnt(0)
	v_cvt_f32_f16_e32 v12, v4
.LBB78_66:                              ;   in Loop: Header=BB78_55 Depth=1
	;; [unrolled: 18-line block ×7, first 2 shown]
	s_or_b64 exec, exec, s[0:1]
	s_waitcnt vmcnt(1)
	ds_bpermute_b32 v2, v94, v27
	s_waitcnt vmcnt(0)
	ds_bpermute_b32 v4, v94, v26
	ds_bpermute_b32 v7, v94, v27 offset:4
	ds_bpermute_b32 v6, v94, v26 offset:4
	;; [unrolled: 1-line block ×3, first 2 shown]
	s_waitcnt lgkmcnt(4)
	v_sub_f32_e32 v2, v10, v2
	v_mul_f32_e32 v2, v18, v2
	s_waitcnt lgkmcnt(3)
	v_mul_f32_e32 v5, v2, v4
	ds_bpermute_b32 v4, v94, v26 offset:8
	s_waitcnt lgkmcnt(3)
	v_sub_f32_e32 v2, v11, v7
	v_mul_f32_e32 v2, v19, v2
	s_waitcnt lgkmcnt(2)
	v_mul_f32_e32 v7, v2, v6
	s_waitcnt lgkmcnt(1)
	v_sub_f32_e32 v2, v12, v8
	ds_bpermute_b32 v6, v94, v27 offset:12
	v_mul_f32_e32 v2, v20, v2
	s_waitcnt lgkmcnt(1)
	v_mul_f32_e32 v9, v2, v4
	ds_bpermute_b32 v2, v94, v26 offset:12
	ds_bpermute_b32 v4, v94, v27 offset:16
	;; [unrolled: 1-line block ×3, first 2 shown]
	s_waitcnt lgkmcnt(3)
	v_sub_f32_e32 v6, v13, v6
	v_mul_f32_e32 v6, v21, v6
	s_waitcnt lgkmcnt(2)
	v_mul_f32_e32 v11, v6, v2
	s_waitcnt lgkmcnt(1)
	v_sub_f32_e32 v2, v14, v4
	ds_bpermute_b32 v4, v94, v27 offset:20
	v_mul_f32_e32 v2, v22, v2
	s_waitcnt lgkmcnt(1)
	v_mul_f32_e32 v13, v2, v8
	ds_bpermute_b32 v2, v94, v26 offset:20
	ds_bpermute_b32 v6, v94, v27 offset:24
	;; [unrolled: 1-line block ×3, first 2 shown]
	s_waitcnt lgkmcnt(3)
	v_sub_f32_e32 v4, v15, v4
	v_mul_f32_e32 v4, v23, v4
	s_waitcnt lgkmcnt(2)
	v_mul_f32_e32 v15, v4, v2
	s_waitcnt lgkmcnt(1)
	v_sub_f32_e32 v2, v16, v6
	v_mul_f32_e32 v2, v24, v2
	s_waitcnt lgkmcnt(0)
	v_mul_f32_e32 v99, v2, v8
	v_mov_b32_e32 v4, v18
	ds_bpermute_b32 v2, v94, v27 offset:28
	v_pk_add_f32 v[4:5], v[92:93], v[4:5]
	v_mov_b32_e32 v6, v19
	v_pk_add_f32 v[4:5], v[6:7], v[4:5]
	v_mov_b32_e32 v8, v20
	ds_bpermute_b32 v6, v94, v26 offset:28
	v_pk_add_f32 v[4:5], v[8:9], v[4:5]
	v_mov_b32_e32 v10, v21
	v_pk_add_f32 v[4:5], v[10:11], v[4:5]
	v_mov_b32_e32 v12, v22
	v_pk_add_f32 v[4:5], v[12:13], v[4:5]
	v_mov_b32_e32 v14, v23
	s_waitcnt lgkmcnt(1)
	v_sub_f32_e32 v2, v17, v2
	v_pk_add_f32 v[4:5], v[14:15], v[4:5]
	v_mov_b32_e32 v98, v24
	v_mul_f32_e32 v2, v25, v2
	v_pk_add_f32 v[4:5], v[98:99], v[4:5]
	s_waitcnt lgkmcnt(0)
	v_mul_f32_e32 v7, v2, v6
	v_mov_b32_e32 v6, v25
	v_pk_add_f32 v[26:27], v[6:7], v[4:5]
	s_branch .LBB78_54
.LBB78_77:                              ;   in Loop: Header=BB78_55 Depth=1
                                        ; implicit-def: $vgpr27
	s_cbranch_execz .LBB78_54
; %bb.78:                               ;   in Loop: Header=BB78_55 Depth=1
	s_load_dword s0, s[2:3], 0x0
	v_mov_b32_e32 v2, 0
	v_mov_b32_e32 v6, 0
	s_waitcnt lgkmcnt(0)
	s_cmp_lt_u32 s6, s0
	s_cselect_b32 s0, 12, 18
	s_add_u32 s0, s2, s0
	s_addc_u32 s1, s3, 0
	global_load_ushort v4, v3, s[0:1]
	s_waitcnt vmcnt(0)
	v_mad_u32_u24 v4, v87, v4, v89
	v_and_b32_e32 v4, 63, v4
	v_cmp_gt_u32_e32 vcc, 8, v4
	s_and_saveexec_b64 s[0:1], vcc
	s_cbranch_execz .LBB78_53
; %bb.79:                               ;   in Loop: Header=BB78_55 Depth=1
	v_add_co_u32_e32 v2, vcc, v95, v4
	v_addc_co_u32_e32 v5, vcc, 0, v96, vcc
	v_add_co_u32_e32 v4, vcc, 0xffffffc1, v2
	v_addc_co_u32_e32 v5, vcc, -1, v5, vcc
	v_cmp_gt_i64_e32 vcc, s[12:13], v[4:5]
	v_mov_b32_e32 v6, 0
	v_mov_b32_e32 v2, 0
	s_and_saveexec_b64 s[18:19], vcc
	s_cbranch_execz .LBB78_52
; %bb.80:                               ;   in Loop: Header=BB78_55 Depth=1
	v_lshlrev_b64 v[4:5], 2, v[4:5]
	v_mov_b32_e32 v2, s31
	v_add_co_u32_e32 v8, vcc, s30, v4
	v_addc_co_u32_e32 v9, vcc, v2, v5, vcc
	v_mov_b32_e32 v2, s29
	v_add_co_u32_e32 v4, vcc, s28, v4
	v_addc_co_u32_e32 v5, vcc, v2, v5, vcc
	global_load_dword v6, v[4:5], off
	global_load_dword v2, v[8:9], off
	s_branch .LBB78_52
.LBB78_81:
	v_bfe_u32 v6, v0, 10, 10
	v_and_b32_e32 v0, 0x3ff, v0
	s_movk_i32 s0, 0x41
	v_mad_u32_u24 v1, v6, s0, v0
	v_lshl_add_u32 v1, v1, 2, 0
	v_lshrrev_b32_e32 v7, 6, v0
	ds_write_b32 v1, v27
	ds_write_b32 v1, v26 offset:2080
	v_add_u32_e32 v1, v7, v6
	s_mov_b32 s7, 0
	v_cmp_gt_u32_e32 vcc, 64, v1
	s_waitcnt lgkmcnt(0)
	s_barrier
	s_and_saveexec_b64 s[0:1], vcc
	s_cbranch_execz .LBB78_91
; %bb.82:
	v_and_b32_e32 v1, 63, v0
	v_cmp_gt_u32_e64 s[0:1], 8, v1
	v_mul_u32_u24_e32 v11, 0x41, v1
	v_mbcnt_lo_u32_b32 v1, -1, 0
	v_mbcnt_hi_u32_b32 v1, -1, v1
	v_and_b32_e32 v2, 64, v1
	v_add_u32_e32 v2, 64, v2
	v_cmp_eq_u32_e64 s[2:3], 0, v0
	v_xor_b32_e32 v0, 4, v1
	v_cmp_lt_i32_e32 vcc, v0, v2
	v_cndmask_b32_e32 v0, v1, v0, vcc
	v_lshlrev_b32_e32 v8, 2, v0
	v_xor_b32_e32 v0, 2, v1
	v_cmp_lt_i32_e32 vcc, v0, v2
	v_cndmask_b32_e32 v0, v1, v0, vcc
	v_lshlrev_b32_e32 v9, 2, v0
	v_xor_b32_e32 v0, 1, v1
	s_load_dwordx4 s[8:11], s[4:5], 0x30
	v_cmp_lt_i32_e32 vcc, v0, v2
	v_cndmask_b32_e32 v0, v1, v0, vcc
	s_lshl_b64 s[12:13], s[6:7], 6
	v_lshlrev_b32_e32 v10, 2, v0
	v_add_co_u32_e32 v0, vcc, v7, v6
	v_addc_co_u32_e64 v1, s[6:7], 0, 0, vcc
	v_mov_b32_e32 v3, s13
	v_add_co_u32_e32 v2, vcc, s12, v0
	v_addc_co_u32_e32 v3, vcc, v1, v3, vcc
	s_waitcnt lgkmcnt(0)
	s_cmp_lg_u64 s[8:9], 0
	v_lshlrev_b64 v[4:5], 1, v[2:3]
	s_cselect_b64 s[4:5], -1, 0
	s_cmp_lg_u64 s[10:11], 0
	v_mov_b32_e32 v3, s11
	v_add_co_u32_e32 v2, vcc, s10, v4
	v_add3_u32 v6, v11, v6, v7
	v_addc_co_u32_e32 v3, vcc, v3, v5, vcc
	v_lshl_add_u32 v11, v6, 2, 0
	v_cndmask_b32_e64 v6, 0, 1, s[4:5]
	s_cselect_b64 s[6:7], -1, 0
	v_mov_b32_e32 v12, s9
	v_add_co_u32_e32 v4, vcc, s8, v4
	v_cmp_ne_u32_e64 s[4:5], 1, v6
	v_cndmask_b32_e64 v6, 0, 1, s[6:7]
	s_mov_b64 s[16:17], 0
	v_addc_co_u32_e32 v5, vcc, v12, v5, vcc
	v_mov_b32_e32 v12, s13
	v_cmp_ne_u32_e64 s[6:7], 1, v6
                                        ; implicit-def: $vgpr6
	s_branch .LBB78_84
.LBB78_83:                              ;   in Loop: Header=BB78_84 Depth=1
	s_or_b64 exec, exec, s[8:9]
	v_add_co_u32_e32 v0, vcc, 8, v0
	v_addc_co_u32_e32 v1, vcc, 0, v1, vcc
	v_add_co_u32_e32 v2, vcc, 16, v2
	v_addc_co_u32_e32 v3, vcc, 0, v3, vcc
	v_add_co_u32_e32 v4, vcc, 16, v4
	v_add_u32_e32 v13, -8, v0
	v_addc_co_u32_e32 v5, vcc, 0, v5, vcc
	v_cmp_lt_u32_e32 vcc, 55, v13
	s_or_b64 s[16:17], vcc, s[16:17]
	v_add_u32_e32 v11, 32, v11
	s_andn2_b64 exec, exec, s[16:17]
	s_cbranch_execz .LBB78_91
.LBB78_84:                              ; =>This Inner Loop Header: Depth=1
	s_and_saveexec_b64 s[8:9], s[0:1]
	s_cbranch_execz .LBB78_86
; %bb.85:                               ;   in Loop: Header=BB78_84 Depth=1
	ds_read_b32 v7, v11
	ds_read_b32 v6, v11 offset:2080
.LBB78_86:                              ;   in Loop: Header=BB78_84 Depth=1
	s_or_b64 exec, exec, s[8:9]
	s_waitcnt lgkmcnt(1)
	ds_bpermute_b32 v15, v8, v7
	s_waitcnt lgkmcnt(1)
	ds_bpermute_b32 v14, v8, v6
	v_add_co_u32_e32 v16, vcc, s12, v0
	v_addc_co_u32_e32 v17, vcc, v12, v1, vcc
	s_waitcnt lgkmcnt(0)
	v_pk_add_f32 v[6:7], v[6:7], v[14:15]
	ds_bpermute_b32 v15, v9, v7
	ds_bpermute_b32 v14, v9, v6
	v_cmp_gt_i64_e32 vcc, s[14:15], v[16:17]
	s_and_b64 s[10:11], s[2:3], vcc
	s_waitcnt lgkmcnt(0)
	v_pk_add_f32 v[6:7], v[6:7], v[14:15]
	ds_bpermute_b32 v15, v10, v7
	ds_bpermute_b32 v14, v10, v6
	s_waitcnt lgkmcnt(0)
	v_pk_add_f32 v[6:7], v[6:7], v[14:15]
	s_and_saveexec_b64 s[8:9], s[10:11]
	s_cbranch_execz .LBB78_83
; %bb.87:                               ;   in Loop: Header=BB78_84 Depth=1
	s_and_b64 vcc, exec, s[4:5]
	s_cbranch_vccnz .LBB78_89
; %bb.88:                               ;   in Loop: Header=BB78_84 Depth=1
	v_cvt_f16_f32_e32 v13, v7
	global_store_short v[4:5], v13, off
.LBB78_89:                              ;   in Loop: Header=BB78_84 Depth=1
	s_and_b64 vcc, exec, s[6:7]
	s_cbranch_vccnz .LBB78_83
; %bb.90:                               ;   in Loop: Header=BB78_84 Depth=1
	v_cvt_f16_f32_e32 v13, v6
	global_store_short v[2:3], v13, off
	s_branch .LBB78_83
.LBB78_91:
	s_endpgm
	.section	.rodata,"a",@progbits
	.p2align	6, 0x0
	.amdhsa_kernel _ZN2at6native12_GLOBAL__N_135GammaBetaBackwardCUDAKernelTemplateIN3c104HalfEfLj64ELj8ELj64ELb0ELb0ELb0EEEvllPKT_S7_PKT0_SA_PS5_SB_
		.amdhsa_group_segment_fixed_size 0
		.amdhsa_private_segment_fixed_size 0
		.amdhsa_kernarg_size 320
		.amdhsa_user_sgpr_count 6
		.amdhsa_user_sgpr_private_segment_buffer 1
		.amdhsa_user_sgpr_dispatch_ptr 0
		.amdhsa_user_sgpr_queue_ptr 0
		.amdhsa_user_sgpr_kernarg_segment_ptr 1
		.amdhsa_user_sgpr_dispatch_id 0
		.amdhsa_user_sgpr_flat_scratch_init 0
		.amdhsa_user_sgpr_kernarg_preload_length 0
		.amdhsa_user_sgpr_kernarg_preload_offset 0
		.amdhsa_user_sgpr_private_segment_size 0
		.amdhsa_uses_dynamic_stack 0
		.amdhsa_system_sgpr_private_segment_wavefront_offset 0
		.amdhsa_system_sgpr_workgroup_id_x 1
		.amdhsa_system_sgpr_workgroup_id_y 1
		.amdhsa_system_sgpr_workgroup_id_z 0
		.amdhsa_system_sgpr_workgroup_info 0
		.amdhsa_system_vgpr_workitem_id 1
		.amdhsa_next_free_vgpr 100
		.amdhsa_next_free_sgpr 44
		.amdhsa_accum_offset 100
		.amdhsa_reserve_vcc 1
		.amdhsa_reserve_flat_scratch 0
		.amdhsa_float_round_mode_32 0
		.amdhsa_float_round_mode_16_64 0
		.amdhsa_float_denorm_mode_32 3
		.amdhsa_float_denorm_mode_16_64 3
		.amdhsa_dx10_clamp 1
		.amdhsa_ieee_mode 1
		.amdhsa_fp16_overflow 0
		.amdhsa_tg_split 0
		.amdhsa_exception_fp_ieee_invalid_op 0
		.amdhsa_exception_fp_denorm_src 0
		.amdhsa_exception_fp_ieee_div_zero 0
		.amdhsa_exception_fp_ieee_overflow 0
		.amdhsa_exception_fp_ieee_underflow 0
		.amdhsa_exception_fp_ieee_inexact 0
		.amdhsa_exception_int_div_zero 0
	.end_amdhsa_kernel
	.section	.text._ZN2at6native12_GLOBAL__N_135GammaBetaBackwardCUDAKernelTemplateIN3c104HalfEfLj64ELj8ELj64ELb0ELb0ELb0EEEvllPKT_S7_PKT0_SA_PS5_SB_,"axG",@progbits,_ZN2at6native12_GLOBAL__N_135GammaBetaBackwardCUDAKernelTemplateIN3c104HalfEfLj64ELj8ELj64ELb0ELb0ELb0EEEvllPKT_S7_PKT0_SA_PS5_SB_,comdat
.Lfunc_end78:
	.size	_ZN2at6native12_GLOBAL__N_135GammaBetaBackwardCUDAKernelTemplateIN3c104HalfEfLj64ELj8ELj64ELb0ELb0ELb0EEEvllPKT_S7_PKT0_SA_PS5_SB_, .Lfunc_end78-_ZN2at6native12_GLOBAL__N_135GammaBetaBackwardCUDAKernelTemplateIN3c104HalfEfLj64ELj8ELj64ELb0ELb0ELb0EEEvllPKT_S7_PKT0_SA_PS5_SB_
                                        ; -- End function
	.section	.AMDGPU.csdata,"",@progbits
; Kernel info:
; codeLenInByte = 7812
; NumSgprs: 48
; NumVgprs: 100
; NumAgprs: 0
; TotalNumVgprs: 100
; ScratchSize: 0
; MemoryBound: 0
; FloatMode: 240
; IeeeMode: 1
; LDSByteSize: 0 bytes/workgroup (compile time only)
; SGPRBlocks: 5
; VGPRBlocks: 12
; NumSGPRsForWavesPerEU: 48
; NumVGPRsForWavesPerEU: 100
; AccumOffset: 100
; Occupancy: 4
; WaveLimiterHint : 0
; COMPUTE_PGM_RSRC2:SCRATCH_EN: 0
; COMPUTE_PGM_RSRC2:USER_SGPR: 6
; COMPUTE_PGM_RSRC2:TRAP_HANDLER: 0
; COMPUTE_PGM_RSRC2:TGID_X_EN: 1
; COMPUTE_PGM_RSRC2:TGID_Y_EN: 1
; COMPUTE_PGM_RSRC2:TGID_Z_EN: 0
; COMPUTE_PGM_RSRC2:TIDIG_COMP_CNT: 1
; COMPUTE_PGM_RSRC3_GFX90A:ACCUM_OFFSET: 24
; COMPUTE_PGM_RSRC3_GFX90A:TG_SPLIT: 0
	.section	.text._ZN2at6native12_GLOBAL__N_135GammaBetaBackwardCUDAKernelTemplateIN3c104HalfEfLj64ELj16ELj128ELb0ELb1ELb0EEEvllPKT_S7_PKT0_SA_PS5_SB_,"axG",@progbits,_ZN2at6native12_GLOBAL__N_135GammaBetaBackwardCUDAKernelTemplateIN3c104HalfEfLj64ELj16ELj128ELb0ELb1ELb0EEEvllPKT_S7_PKT0_SA_PS5_SB_,comdat
	.globl	_ZN2at6native12_GLOBAL__N_135GammaBetaBackwardCUDAKernelTemplateIN3c104HalfEfLj64ELj16ELj128ELb0ELb1ELb0EEEvllPKT_S7_PKT0_SA_PS5_SB_ ; -- Begin function _ZN2at6native12_GLOBAL__N_135GammaBetaBackwardCUDAKernelTemplateIN3c104HalfEfLj64ELj16ELj128ELb0ELb1ELb0EEEvllPKT_S7_PKT0_SA_PS5_SB_
	.p2align	8
	.type	_ZN2at6native12_GLOBAL__N_135GammaBetaBackwardCUDAKernelTemplateIN3c104HalfEfLj64ELj16ELj128ELb0ELb1ELb0EEEvllPKT_S7_PKT0_SA_PS5_SB_,@function
_ZN2at6native12_GLOBAL__N_135GammaBetaBackwardCUDAKernelTemplateIN3c104HalfEfLj64ELj16ELj128ELb0ELb1ELb0EEEvllPKT_S7_PKT0_SA_PS5_SB_: ; @_ZN2at6native12_GLOBAL__N_135GammaBetaBackwardCUDAKernelTemplateIN3c104HalfEfLj64ELj16ELj128ELb0ELb1ELb0EEEvllPKT_S7_PKT0_SA_PS5_SB_
; %bb.0:
	s_load_dwordx4 s[20:23], s[4:5], 0x0
	s_lshl_b32 s2, s7, 7
	s_mov_b32 s3, 0
	v_bfe_u32 v12, v0, 10, 10
	s_waitcnt lgkmcnt(0)
	v_pk_mov_b32 v[2:3], s[20:21], s[20:21] op_sel:[0,1]
	v_cmp_lt_i64_e32 vcc, s[2:3], v[2:3]
	s_cbranch_vccnz .LBB79_2
; %bb.1:
	s_mov_b64 s[0:1], 0
	v_bfe_u32 v4, v0, 10, 10
	s_branch .LBB79_3
.LBB79_2:
	s_mov_b64 s[0:1], -1
                                        ; implicit-def: $vgpr4
.LBB79_3:
	s_load_dwordx4 s[16:19], s[4:5], 0x30
	v_and_b32_e32 v10, 0x3ff, v0
	s_andn2_b64 vcc, exec, s[0:1]
	v_mov_b32_e32 v1, s3
	v_mbcnt_lo_u32_b32 v11, -1, 0
	v_mov_b32_e32 v0, s3
	s_cbranch_vccnz .LBB79_11
; %bb.4:
	s_load_dword s0, s[4:5], 0x4c
	s_load_dword s7, s[4:5], 0x44
	s_load_dwordx8 s[8:15], s[4:5], 0x10
	v_mbcnt_hi_u32_b32 v4, -1, v11
	v_lshlrev_b32_e32 v2, 3, v12
	s_waitcnt lgkmcnt(0)
	s_and_b32 s0, s0, 0xffff
	v_lshlrev_b32_e32 v4, 2, v4
	v_mad_u32_u24 v0, v12, s0, v10
	v_and_b32_e32 v13, 0x100, v4
	v_mov_b32_e32 v4, s3
	v_add_co_u32_e32 v6, vcc, s2, v2
	v_and_b32_e32 v3, 63, v0
	v_addc_co_u32_e32 v7, vcc, 0, v4, vcc
	v_add_co_u32_e32 v2, vcc, v6, v3
	v_cmp_gt_u32_e64 s[0:1], 8, v3
	s_lshl_b32 s4, s7, 7
	v_addc_co_u32_e32 v3, vcc, 0, v7, vcc
	v_mul_lo_u32 v8, s23, v6
	v_mul_lo_u32 v9, s22, v7
	v_mad_u64_u32 v[6:7], s[26:27], s22, v6, 0
	v_mov_b32_e32 v1, 0
	v_lshl_add_u32 v0, s6, 6, v10
	v_add3_u32 v7, v7, v9, v8
	s_mul_i32 s7, s23, s4
	s_mul_hi_u32 s26, s22, s4
	s_mov_b32 s5, 0
	v_lshlrev_b64 v[6:7], 1, v[6:7]
	v_lshlrev_b64 v[8:9], 1, v[0:1]
	s_add_i32 s27, s26, s7
	s_mul_i32 s26, s22, s4
	s_lshl_b64 s[24:25], s[4:5], 2
	v_add_co_u32_e32 v6, vcc, v6, v8
	s_lshl_b64 s[26:27], s[26:27], 1
	s_lshl_b64 s[22:23], s[22:23], 1
	v_or_b32_e32 v14, 4, v13
	v_or_b32_e32 v15, 8, v13
	;; [unrolled: 1-line block ×7, first 2 shown]
	v_lshlrev_b64 v[4:5], 2, v[2:3]
	v_addc_co_u32_e32 v7, vcc, v7, v9, vcc
	v_mov_b32_e32 v21, s9
	v_mov_b32_e32 v22, s11
	;; [unrolled: 1-line block ×6, first 2 shown]
	v_pk_mov_b32 v[8:9], s[20:21], s[20:21] op_sel:[0,1]
	v_mov_b32_e32 v0, v1
	s_branch .LBB79_7
.LBB79_5:                               ;   in Loop: Header=BB79_7 Depth=1
	s_or_b64 exec, exec, s[30:31]
.LBB79_6:                               ;   in Loop: Header=BB79_7 Depth=1
	s_or_b64 exec, exec, s[28:29]
	v_add_co_u32_e32 v30, vcc, s8, v6
	v_addc_co_u32_e32 v31, vcc, v21, v7, vcc
	v_add_co_u32_e32 v32, vcc, s10, v6
	v_addc_co_u32_e32 v33, vcc, v22, v7, vcc
	global_load_ushort v29, v[30:31], off
	v_add_co_u32_e32 v30, vcc, s22, v30
	v_addc_co_u32_e32 v31, vcc, v31, v23, vcc
	global_load_ushort v34, v[32:33], off
	;; [unrolled: 3-line block ×13, first 2 shown]
	global_load_ushort v46, v[32:33], off
	v_add_co_u32_e32 v30, vcc, s22, v30
	v_addc_co_u32_e32 v31, vcc, v31, v23, vcc
	global_load_ushort v47, v[30:31], off
	v_add_co_u32_e32 v30, vcc, s22, v32
	v_addc_co_u32_e32 v31, vcc, v33, v23, vcc
	;; [unrolled: 3-line block ×3, first 2 shown]
	v_add_co_u32_e32 v2, vcc, s4, v2
	v_addc_co_u32_e32 v3, vcc, v3, v25, vcc
	s_waitcnt vmcnt(15)
	v_cvt_f32_f16_e32 v30, v29
	s_add_u32 s2, s2, s4
	v_add_co_u32_e32 v6, vcc, s26, v6
	s_addc_u32 s3, s3, 0
	s_waitcnt vmcnt(14)
	v_cvt_f32_f16_e32 v29, v34
	v_addc_co_u32_e32 v7, vcc, v7, v26, vcc
	v_cmp_lt_i64_e32 vcc, s[2:3], v[8:9]
	s_and_b64 vcc, exec, vcc
	s_waitcnt vmcnt(13)
	v_cvt_f32_f16_e32 v32, v35
	s_waitcnt vmcnt(12)
	v_cvt_f32_f16_e32 v33, v36
	;; [unrolled: 2-line block ×9, first 2 shown]
	ds_bpermute_b32 v43, v13, v28
	s_waitcnt vmcnt(4)
	v_cvt_f32_f16_e32 v41, v44
	s_waitcnt lgkmcnt(0)
	v_sub_f32_e32 v29, v29, v43
	ds_bpermute_b32 v43, v14, v28
	v_mul_f32_e32 v29, v29, v30
	s_waitcnt vmcnt(3)
	v_cvt_f32_f16_e32 v42, v45
	s_waitcnt vmcnt(2)
	v_cvt_f32_f16_e32 v45, v46
	ds_bpermute_b32 v46, v13, v27
	s_waitcnt lgkmcnt(1)
	v_sub_f32_e32 v33, v33, v43
	ds_bpermute_b32 v43, v15, v27
	v_mul_f32_e32 v33, v33, v32
	s_waitcnt vmcnt(1)
	v_cvt_f32_f16_e32 v44, v47
	s_waitcnt vmcnt(0)
	v_cvt_f32_f16_e32 v47, v31
	s_waitcnt lgkmcnt(1)
	v_mul_f32_e32 v31, v29, v46
	ds_bpermute_b32 v29, v14, v27
	ds_bpermute_b32 v46, v15, v28
	v_pk_add_f32 v[0:1], v[0:1], v[30:31]
	s_waitcnt lgkmcnt(1)
	v_mul_f32_e32 v33, v33, v29
	s_waitcnt lgkmcnt(0)
	v_sub_f32_e32 v29, v35, v46
	ds_bpermute_b32 v46, v16, v28
	v_mul_f32_e32 v29, v29, v34
	v_mul_f32_e32 v35, v29, v43
	ds_bpermute_b32 v29, v16, v27
	ds_bpermute_b32 v43, v17, v28
	s_waitcnt lgkmcnt(2)
	v_sub_f32_e32 v37, v37, v46
	ds_bpermute_b32 v46, v17, v27
	v_mul_f32_e32 v37, v37, v36
	s_waitcnt lgkmcnt(2)
	v_mul_f32_e32 v37, v37, v29
	s_waitcnt lgkmcnt(1)
	v_sub_f32_e32 v29, v39, v43
	ds_bpermute_b32 v43, v18, v28
	v_mul_f32_e32 v29, v29, v38
	s_waitcnt lgkmcnt(1)
	v_mul_f32_e32 v39, v29, v46
	ds_bpermute_b32 v29, v18, v27
	ds_bpermute_b32 v46, v19, v28
	;; [unrolled: 1-line block ×3, first 2 shown]
	s_waitcnt lgkmcnt(3)
	v_sub_f32_e32 v41, v41, v43
	ds_bpermute_b32 v43, v19, v27
	v_pk_add_f32 v[0:1], v[0:1], v[32:33]
	ds_bpermute_b32 v27, v20, v27
	v_mul_f32_e32 v41, v41, v40
	v_pk_add_f32 v[0:1], v[0:1], v[34:35]
	s_waitcnt lgkmcnt(4)
	v_mul_f32_e32 v41, v41, v29
	s_waitcnt lgkmcnt(3)
	v_sub_f32_e32 v29, v45, v46
	v_pk_add_f32 v[0:1], v[0:1], v[36:37]
	v_mul_f32_e32 v29, v29, v42
	v_pk_add_f32 v[0:1], v[0:1], v[38:39]
	s_waitcnt lgkmcnt(2)
	v_sub_f32_e32 v28, v47, v28
	s_waitcnt lgkmcnt(1)
	v_mul_f32_e32 v43, v29, v43
	v_pk_add_f32 v[0:1], v[0:1], v[40:41]
	v_mul_f32_e32 v28, v28, v44
	v_pk_add_f32 v[0:1], v[0:1], v[42:43]
	s_waitcnt lgkmcnt(0)
	v_mul_f32_e32 v45, v28, v27
	v_pk_add_f32 v[0:1], v[0:1], v[44:45]
	s_cbranch_vccz .LBB79_10
.LBB79_7:                               ; =>This Inner Loop Header: Depth=1
	v_mov_b32_e32 v27, 0
	v_mov_b32_e32 v28, 0
	s_and_saveexec_b64 s[28:29], s[0:1]
	s_cbranch_execz .LBB79_6
; %bb.8:                                ;   in Loop: Header=BB79_7 Depth=1
	v_cmp_gt_i64_e32 vcc, s[20:21], v[2:3]
	v_mov_b32_e32 v28, 0
	v_mov_b32_e32 v27, 0
	s_and_saveexec_b64 s[30:31], vcc
	s_cbranch_execz .LBB79_5
; %bb.9:                                ;   in Loop: Header=BB79_7 Depth=1
	v_mov_b32_e32 v27, s15
	v_add_co_u32_e32 v30, vcc, s14, v4
	v_addc_co_u32_e32 v31, vcc, v27, v5, vcc
	v_mov_b32_e32 v27, s13
	v_add_co_u32_e32 v32, vcc, s12, v4
	v_addc_co_u32_e32 v33, vcc, v27, v5, vcc
	global_load_dword v28, v[32:33], off
	global_load_dword v27, v[30:31], off
	s_branch .LBB79_5
.LBB79_10:
	v_mov_b32_e32 v4, v12
.LBB79_11:
	s_movk_i32 s0, 0x41
	v_mad_u32_u24 v2, v4, s0, v10
	v_lshl_add_u32 v2, v2, 2, 0
	v_lshrrev_b32_e32 v5, 6, v10
	ds_write_b32 v2, v1
	ds_write_b32 v2, v0 offset:4160
	v_add_u32_e32 v0, v5, v4
	s_mov_b32 s7, 0
	v_cmp_gt_u32_e32 vcc, 64, v0
	s_waitcnt lgkmcnt(0)
	s_barrier
	s_and_saveexec_b64 s[0:1], vcc
	s_cbranch_execz .LBB79_21
; %bb.12:
	v_and_b32_e32 v1, 63, v10
	v_cmp_gt_u32_e64 s[0:1], 16, v1
	v_mul_u32_u24_e32 v12, 0x41, v1
	v_mbcnt_hi_u32_b32 v1, -1, v11
	v_and_b32_e32 v2, 64, v1
	v_add_u32_e32 v2, 64, v2
	v_xor_b32_e32 v3, 8, v1
	v_cmp_lt_i32_e32 vcc, v3, v2
	v_cndmask_b32_e32 v3, v1, v3, vcc
	v_lshlrev_b32_e32 v6, 2, v3
	v_xor_b32_e32 v3, 4, v1
	v_cmp_lt_i32_e32 vcc, v3, v2
	v_cndmask_b32_e32 v3, v1, v3, vcc
	v_lshlrev_b32_e32 v7, 2, v3
	;; [unrolled: 4-line block ×3, first 2 shown]
	v_xor_b32_e32 v3, 1, v1
	s_lshl_b64 s[4:5], s[6:7], 6
	v_cmp_lt_i32_e32 vcc, v3, v2
	v_cmp_eq_u32_e64 s[2:3], 0, v10
	v_cndmask_b32_e32 v1, v1, v3, vcc
	v_add_u32_e32 v10, -16, v0
	v_or_b32_e32 v0, s4, v5
	v_lshlrev_b32_e32 v9, 2, v1
	v_mov_b32_e32 v1, s5
	v_add_co_u32_e32 v0, vcc, v0, v4
	v_addc_co_u32_e32 v1, vcc, 0, v1, vcc
	v_lshlrev_b64 v[2:3], 1, v[0:1]
	v_mov_b32_e32 v1, s19
	v_add_co_u32_e32 v0, vcc, s18, v2
	s_cmp_lg_u64 s[16:17], 0
	v_addc_co_u32_e32 v1, vcc, v1, v3, vcc
	s_cselect_b64 s[6:7], -1, 0
	s_cmp_lg_u64 s[18:19], 0
	v_mov_b32_e32 v11, s17
	v_add_co_u32_e32 v2, vcc, s16, v2
	v_add3_u32 v4, v12, v4, v5
	v_addc_co_u32_e32 v3, vcc, v11, v3, vcc
	v_lshl_add_u32 v11, v4, 2, 0
	v_cndmask_b32_e64 v4, 0, 1, s[6:7]
	s_cselect_b64 s[6:7], -1, 0
	v_cmp_ne_u32_e64 s[4:5], 1, v4
	v_cndmask_b32_e64 v4, 0, 1, s[6:7]
	s_mov_b64 s[8:9], 0
	v_cmp_ne_u32_e64 s[6:7], 1, v4
                                        ; implicit-def: $vgpr4
	s_branch .LBB79_14
.LBB79_13:                              ;   in Loop: Header=BB79_14 Depth=1
	s_or_b64 exec, exec, s[10:11]
	v_add_co_u32_e32 v0, vcc, 32, v0
	v_addc_co_u32_e32 v1, vcc, 0, v1, vcc
	v_add_co_u32_e32 v2, vcc, 32, v2
	v_add_u32_e32 v10, 16, v10
	v_addc_co_u32_e32 v3, vcc, 0, v3, vcc
	v_cmp_lt_u32_e32 vcc, 47, v10
	s_or_b64 s[8:9], vcc, s[8:9]
	v_add_u32_e32 v11, 64, v11
	s_andn2_b64 exec, exec, s[8:9]
	s_cbranch_execz .LBB79_21
.LBB79_14:                              ; =>This Inner Loop Header: Depth=1
	s_and_saveexec_b64 s[10:11], s[0:1]
	s_cbranch_execz .LBB79_16
; %bb.15:                               ;   in Loop: Header=BB79_14 Depth=1
	ds_read_b32 v5, v11
	ds_read_b32 v4, v11 offset:4160
.LBB79_16:                              ;   in Loop: Header=BB79_14 Depth=1
	s_or_b64 exec, exec, s[10:11]
	s_waitcnt lgkmcnt(1)
	ds_bpermute_b32 v13, v6, v5
	s_waitcnt lgkmcnt(1)
	ds_bpermute_b32 v12, v6, v4
	s_waitcnt lgkmcnt(0)
	v_pk_add_f32 v[4:5], v[4:5], v[12:13]
	ds_bpermute_b32 v13, v7, v5
	ds_bpermute_b32 v12, v7, v4
	s_waitcnt lgkmcnt(0)
	v_pk_add_f32 v[4:5], v[4:5], v[12:13]
	ds_bpermute_b32 v13, v8, v5
	;; [unrolled: 4-line block ×3, first 2 shown]
	ds_bpermute_b32 v12, v9, v4
	s_waitcnt lgkmcnt(0)
	v_pk_add_f32 v[4:5], v[4:5], v[12:13]
	s_and_saveexec_b64 s[10:11], s[2:3]
	s_cbranch_execz .LBB79_13
; %bb.17:                               ;   in Loop: Header=BB79_14 Depth=1
	s_and_b64 vcc, exec, s[4:5]
	s_cbranch_vccnz .LBB79_19
; %bb.18:                               ;   in Loop: Header=BB79_14 Depth=1
	v_cvt_f16_f32_e32 v12, v5
	global_store_short v[2:3], v12, off
.LBB79_19:                              ;   in Loop: Header=BB79_14 Depth=1
	s_and_b64 vcc, exec, s[6:7]
	s_cbranch_vccnz .LBB79_13
; %bb.20:                               ;   in Loop: Header=BB79_14 Depth=1
	v_cvt_f16_f32_e32 v12, v4
	global_store_short v[0:1], v12, off
	s_branch .LBB79_13
.LBB79_21:
	s_endpgm
	.section	.rodata,"a",@progbits
	.p2align	6, 0x0
	.amdhsa_kernel _ZN2at6native12_GLOBAL__N_135GammaBetaBackwardCUDAKernelTemplateIN3c104HalfEfLj64ELj16ELj128ELb0ELb1ELb0EEEvllPKT_S7_PKT0_SA_PS5_SB_
		.amdhsa_group_segment_fixed_size 0
		.amdhsa_private_segment_fixed_size 0
		.amdhsa_kernarg_size 320
		.amdhsa_user_sgpr_count 6
		.amdhsa_user_sgpr_private_segment_buffer 1
		.amdhsa_user_sgpr_dispatch_ptr 0
		.amdhsa_user_sgpr_queue_ptr 0
		.amdhsa_user_sgpr_kernarg_segment_ptr 1
		.amdhsa_user_sgpr_dispatch_id 0
		.amdhsa_user_sgpr_flat_scratch_init 0
		.amdhsa_user_sgpr_kernarg_preload_length 0
		.amdhsa_user_sgpr_kernarg_preload_offset 0
		.amdhsa_user_sgpr_private_segment_size 0
		.amdhsa_uses_dynamic_stack 0
		.amdhsa_system_sgpr_private_segment_wavefront_offset 0
		.amdhsa_system_sgpr_workgroup_id_x 1
		.amdhsa_system_sgpr_workgroup_id_y 1
		.amdhsa_system_sgpr_workgroup_id_z 0
		.amdhsa_system_sgpr_workgroup_info 0
		.amdhsa_system_vgpr_workitem_id 1
		.amdhsa_next_free_vgpr 48
		.amdhsa_next_free_sgpr 32
		.amdhsa_accum_offset 48
		.amdhsa_reserve_vcc 1
		.amdhsa_reserve_flat_scratch 0
		.amdhsa_float_round_mode_32 0
		.amdhsa_float_round_mode_16_64 0
		.amdhsa_float_denorm_mode_32 3
		.amdhsa_float_denorm_mode_16_64 3
		.amdhsa_dx10_clamp 1
		.amdhsa_ieee_mode 1
		.amdhsa_fp16_overflow 0
		.amdhsa_tg_split 0
		.amdhsa_exception_fp_ieee_invalid_op 0
		.amdhsa_exception_fp_denorm_src 0
		.amdhsa_exception_fp_ieee_div_zero 0
		.amdhsa_exception_fp_ieee_overflow 0
		.amdhsa_exception_fp_ieee_underflow 0
		.amdhsa_exception_fp_ieee_inexact 0
		.amdhsa_exception_int_div_zero 0
	.end_amdhsa_kernel
	.section	.text._ZN2at6native12_GLOBAL__N_135GammaBetaBackwardCUDAKernelTemplateIN3c104HalfEfLj64ELj16ELj128ELb0ELb1ELb0EEEvllPKT_S7_PKT0_SA_PS5_SB_,"axG",@progbits,_ZN2at6native12_GLOBAL__N_135GammaBetaBackwardCUDAKernelTemplateIN3c104HalfEfLj64ELj16ELj128ELb0ELb1ELb0EEEvllPKT_S7_PKT0_SA_PS5_SB_,comdat
.Lfunc_end79:
	.size	_ZN2at6native12_GLOBAL__N_135GammaBetaBackwardCUDAKernelTemplateIN3c104HalfEfLj64ELj16ELj128ELb0ELb1ELb0EEEvllPKT_S7_PKT0_SA_PS5_SB_, .Lfunc_end79-_ZN2at6native12_GLOBAL__N_135GammaBetaBackwardCUDAKernelTemplateIN3c104HalfEfLj64ELj16ELj128ELb0ELb1ELb0EEEvllPKT_S7_PKT0_SA_PS5_SB_
                                        ; -- End function
	.section	.AMDGPU.csdata,"",@progbits
; Kernel info:
; codeLenInByte = 1804
; NumSgprs: 36
; NumVgprs: 48
; NumAgprs: 0
; TotalNumVgprs: 48
; ScratchSize: 0
; MemoryBound: 0
; FloatMode: 240
; IeeeMode: 1
; LDSByteSize: 0 bytes/workgroup (compile time only)
; SGPRBlocks: 4
; VGPRBlocks: 5
; NumSGPRsForWavesPerEU: 36
; NumVGPRsForWavesPerEU: 48
; AccumOffset: 48
; Occupancy: 8
; WaveLimiterHint : 0
; COMPUTE_PGM_RSRC2:SCRATCH_EN: 0
; COMPUTE_PGM_RSRC2:USER_SGPR: 6
; COMPUTE_PGM_RSRC2:TRAP_HANDLER: 0
; COMPUTE_PGM_RSRC2:TGID_X_EN: 1
; COMPUTE_PGM_RSRC2:TGID_Y_EN: 1
; COMPUTE_PGM_RSRC2:TGID_Z_EN: 0
; COMPUTE_PGM_RSRC2:TIDIG_COMP_CNT: 1
; COMPUTE_PGM_RSRC3_GFX90A:ACCUM_OFFSET: 11
; COMPUTE_PGM_RSRC3_GFX90A:TG_SPLIT: 0
	.section	.text._ZN2at6native12_GLOBAL__N_135GammaBetaBackwardCUDAKernelTemplateIN3c104HalfEfLj64ELj16ELj128ELb0ELb0ELb0EEEvllPKT_S7_PKT0_SA_PS5_SB_,"axG",@progbits,_ZN2at6native12_GLOBAL__N_135GammaBetaBackwardCUDAKernelTemplateIN3c104HalfEfLj64ELj16ELj128ELb0ELb0ELb0EEEvllPKT_S7_PKT0_SA_PS5_SB_,comdat
	.globl	_ZN2at6native12_GLOBAL__N_135GammaBetaBackwardCUDAKernelTemplateIN3c104HalfEfLj64ELj16ELj128ELb0ELb0ELb0EEEvllPKT_S7_PKT0_SA_PS5_SB_ ; -- Begin function _ZN2at6native12_GLOBAL__N_135GammaBetaBackwardCUDAKernelTemplateIN3c104HalfEfLj64ELj16ELj128ELb0ELb0ELb0EEEvllPKT_S7_PKT0_SA_PS5_SB_
	.p2align	8
	.type	_ZN2at6native12_GLOBAL__N_135GammaBetaBackwardCUDAKernelTemplateIN3c104HalfEfLj64ELj16ELj128ELb0ELb0ELb0EEEvllPKT_S7_PKT0_SA_PS5_SB_,@function
_ZN2at6native12_GLOBAL__N_135GammaBetaBackwardCUDAKernelTemplateIN3c104HalfEfLj64ELj16ELj128ELb0ELb0ELb0EEEvllPKT_S7_PKT0_SA_PS5_SB_: ; @_ZN2at6native12_GLOBAL__N_135GammaBetaBackwardCUDAKernelTemplateIN3c104HalfEfLj64ELj16ELj128ELb0ELb0ELb0EEEvllPKT_S7_PKT0_SA_PS5_SB_
; %bb.0:
	s_load_dwordx8 s[12:19], s[4:5], 0x0
	s_load_dwordx4 s[28:31], s[4:5], 0x20
	s_lshl_b32 s33, s6, 6
	s_mov_b32 s20, 0
	s_or_b32 s0, s33, 63
	s_mov_b32 s1, s20
	s_waitcnt lgkmcnt(0)
	v_pk_mov_b32 v[2:3], s[14:15], s[14:15] op_sel:[0,1]
	v_cmp_ge_i64_e32 vcc, s[0:1], v[2:3]
	s_lshl_b32 s10, s7, 7
	s_mov_b32 s11, s20
	v_pk_mov_b32 v[2:3], s[12:13], s[12:13] op_sel:[0,1]
	v_cmp_lt_i64_e64 s[0:1], s[10:11], v[2:3]
	v_cndmask_b32_e64 v1, 0, 1, s[0:1]
	v_cmp_ne_u32_e64 s[0:1], 1, v1
	s_cbranch_vccz .LBB80_48
; %bb.1:
	v_mov_b32_e32 v27, 0
	s_and_b64 vcc, exec, s[0:1]
	v_mov_b32_e32 v26, v27
	s_cbranch_vccnz .LBB80_49
; %bb.2:
	v_and_b32_e32 v61, 0x3ff, v0
	v_bfe_u32 v63, v0, 10, 10
	v_add_u32_e32 v2, s33, v61
	v_mov_b32_e32 v3, 0
	v_lshlrev_b32_e32 v28, 3, v63
	v_cmp_gt_i64_e64 s[2:3], s[14:15], v[2:3]
	v_lshlrev_b64 v[30:31], 1, v[2:3]
	v_mov_b32_e32 v1, s11
	v_add_co_u32_e32 v2, vcc, s10, v28
	v_addc_co_u32_e32 v6, vcc, 0, v1, vcc
	v_add_co_u32_e32 v1, vcc, 7, v2
	v_addc_co_u32_e32 v4, vcc, 0, v6, vcc
	v_mul_lo_u32 v7, s15, v1
	v_mul_lo_u32 v8, s14, v4
	v_mad_u64_u32 v[4:5], s[8:9], s14, v1, 0
	s_load_dword s7, s[4:5], 0x44
	v_add3_u32 v5, v5, v8, v7
	v_lshlrev_b64 v[4:5], 1, v[4:5]
	v_mov_b32_e32 v7, s17
	v_add_co_u32_e32 v32, vcc, s16, v4
	v_addc_co_u32_e32 v1, vcc, v7, v5, vcc
	s_add_u32 s34, s4, 64
	v_mov_b32_e32 v8, s19
	v_add_co_u32_e32 v34, vcc, s18, v4
	s_addc_u32 s35, s5, 0
	s_waitcnt lgkmcnt(0)
	s_lshl_b32 s7, s7, 7
	v_addc_co_u32_e32 v29, vcc, v8, v5, vcc
	s_mul_i32 s8, s15, s7
	s_mul_hi_u32 s9, s14, s7
	v_add_co_u32_e32 v4, vcc, 6, v2
	s_add_i32 s9, s9, s8
	s_mul_i32 s8, s14, s7
	v_addc_co_u32_e32 v5, vcc, 0, v6, vcc
	s_lshl_b64 s[36:37], s[8:9], 1
	v_mul_lo_u32 v9, s15, v4
	v_mul_lo_u32 v10, s14, v5
	v_mad_u64_u32 v[4:5], s[8:9], s14, v4, 0
	v_add3_u32 v5, v5, v10, v9
	v_lshlrev_b64 v[4:5], 1, v[4:5]
	v_add_co_u32_e32 v36, vcc, s16, v4
	v_addc_co_u32_e32 v33, vcc, v7, v5, vcc
	v_add_co_u32_e32 v38, vcc, s18, v4
	v_addc_co_u32_e32 v35, vcc, v8, v5, vcc
	v_add_co_u32_e32 v4, vcc, 5, v2
	v_addc_co_u32_e32 v5, vcc, 0, v6, vcc
	v_mul_lo_u32 v9, s15, v4
	v_mul_lo_u32 v10, s14, v5
	v_mad_u64_u32 v[4:5], s[8:9], s14, v4, 0
	v_add3_u32 v5, v5, v10, v9
	v_lshlrev_b64 v[4:5], 1, v[4:5]
	v_add_co_u32_e32 v40, vcc, s16, v4
	v_addc_co_u32_e32 v37, vcc, v7, v5, vcc
	v_add_co_u32_e32 v42, vcc, s18, v4
	v_addc_co_u32_e32 v39, vcc, v8, v5, vcc
	v_add_co_u32_e32 v4, vcc, 4, v2
	v_addc_co_u32_e32 v5, vcc, 0, v6, vcc
	;; [unrolled: 11-line block ×4, first 2 shown]
	v_mul_lo_u32 v9, s15, v4
	v_mul_lo_u32 v10, s14, v5
	v_mad_u64_u32 v[4:5], s[8:9], s14, v4, 0
	v_add3_u32 v5, v5, v10, v9
	v_lshlrev_b64 v[4:5], 1, v[4:5]
	v_add_co_u32_e32 v52, vcc, s16, v4
	v_addc_co_u32_e32 v49, vcc, v7, v5, vcc
	v_add_co_u32_e32 v54, vcc, s18, v4
	v_addc_co_u32_e32 v51, vcc, v8, v5, vcc
	v_pk_mov_b32 v[4:5], s[14:15], s[14:15] op_sel:[0,1]
	v_mad_u64_u32 v[4:5], s[8:9], s14, v2, v[4:5]
	v_mul_lo_u32 v6, s14, v6
	v_mul_lo_u32 v9, s15, v2
	v_add3_u32 v5, v9, v5, v6
	v_lshlrev_b64 v[4:5], 1, v[4:5]
	v_add_co_u32_e32 v56, vcc, s16, v4
	v_addc_co_u32_e32 v53, vcc, v7, v5, vcc
	v_add_co_u32_e32 v58, vcc, s18, v4
	v_addc_co_u32_e32 v55, vcc, v8, v5, vcc
	v_mad_u64_u32 v[4:5], s[8:9], s14, v2, 0
	v_add3_u32 v5, v5, v6, v9
	v_lshlrev_b64 v[4:5], 1, v[4:5]
	v_add_co_u32_e32 v60, vcc, s16, v4
	v_mbcnt_lo_u32_b32 v2, -1, 0
	v_addc_co_u32_e32 v57, vcc, v7, v5, vcc
	v_mbcnt_hi_u32_b32 v2, -1, v2
	s_add_u32 s38, s10, 0x7f
	v_add_co_u32_e32 v62, vcc, s18, v4
	v_lshlrev_b32_e32 v2, 2, v2
	s_addc_u32 s39, 0, 0
	v_addc_co_u32_e32 v59, vcc, v8, v5, vcc
	v_and_b32_e32 v64, 0x100, v2
	s_mov_b64 s[40:41], s[10:11]
	v_mov_b32_e32 v26, v3
	v_mov_b32_e32 v27, v3
	s_branch .LBB80_5
.LBB80_3:                               ;   in Loop: Header=BB80_5 Depth=1
	s_or_b64 exec, exec, s[8:9]
	s_waitcnt vmcnt(1)
	ds_bpermute_b32 v2, v64, v68
	ds_bpermute_b32 v4, v64, v68 offset:4
	s_waitcnt vmcnt(0)
	ds_bpermute_b32 v5, v64, v67
	ds_bpermute_b32 v6, v64, v67 offset:4
	ds_bpermute_b32 v8, v64, v67 offset:12
	s_waitcnt lgkmcnt(4)
	v_sub_f32_e32 v2, v10, v2
	v_mul_f32_e32 v2, v18, v2
	s_waitcnt lgkmcnt(3)
	v_sub_f32_e32 v4, v11, v4
	s_waitcnt lgkmcnt(2)
	v_mul_f32_e32 v5, v2, v5
	ds_bpermute_b32 v2, v64, v68 offset:8
	v_mul_f32_e32 v4, v19, v4
	s_waitcnt lgkmcnt(2)
	v_mul_f32_e32 v7, v4, v6
	ds_bpermute_b32 v4, v64, v67 offset:8
	ds_bpermute_b32 v6, v64, v68 offset:12
	s_waitcnt lgkmcnt(2)
	v_sub_f32_e32 v2, v12, v2
	v_mul_f32_e32 v2, v20, v2
	v_mov_b32_e32 v10, v21
	s_waitcnt lgkmcnt(1)
	v_mul_f32_e32 v9, v2, v4
	s_waitcnt lgkmcnt(0)
	v_sub_f32_e32 v2, v13, v6
	ds_bpermute_b32 v4, v64, v68 offset:16
	v_mul_f32_e32 v2, v21, v2
	v_mul_f32_e32 v11, v2, v8
	ds_bpermute_b32 v2, v64, v67 offset:16
	ds_bpermute_b32 v6, v64, v68 offset:20
	ds_bpermute_b32 v8, v64, v67 offset:20
	s_waitcnt lgkmcnt(3)
	v_sub_f32_e32 v4, v14, v4
	v_mul_f32_e32 v4, v22, v4
	s_waitcnt lgkmcnt(2)
	v_mul_f32_e32 v13, v4, v2
	s_waitcnt lgkmcnt(1)
	v_sub_f32_e32 v2, v15, v6
	v_mul_f32_e32 v2, v23, v2
	s_waitcnt lgkmcnt(0)
	v_mul_f32_e32 v15, v2, v8
	v_mov_b32_e32 v4, v18
	ds_bpermute_b32 v2, v64, v68 offset:24
	v_pk_add_f32 v[4:5], v[26:27], v[4:5]
	v_mov_b32_e32 v6, v19
	v_pk_add_f32 v[4:5], v[6:7], v[4:5]
	ds_bpermute_b32 v7, v64, v67 offset:24
	v_mov_b32_e32 v8, v20
	v_pk_add_f32 v[4:5], v[8:9], v[4:5]
	v_pk_add_f32 v[4:5], v[10:11], v[4:5]
	v_mov_b32_e32 v12, v22
	s_waitcnt lgkmcnt(1)
	v_sub_f32_e32 v8, v16, v2
	v_pk_add_f32 v[4:5], v[12:13], v[4:5]
	v_mov_b32_e32 v14, v23
	v_mul_f32_e32 v8, v24, v8
	v_pk_add_f32 v[4:5], v[14:15], v[4:5]
	s_waitcnt lgkmcnt(0)
	v_mul_f32_e32 v9, v8, v7
	v_mov_b32_e32 v8, v24
	ds_bpermute_b32 v2, v64, v67 offset:28
	ds_bpermute_b32 v6, v64, v68 offset:28
	v_pk_add_f32 v[4:5], v[8:9], v[4:5]
.LBB80_4:                               ;   in Loop: Header=BB80_5 Depth=1
	s_waitcnt lgkmcnt(0)
	v_sub_f32_e32 v6, v17, v6
	v_mul_f32_e32 v6, v25, v6
	v_mul_f32_e32 v7, v6, v2
	v_mov_b32_e32 v2, s37
	v_add_co_u32_e32 v32, vcc, s36, v32
	v_addc_co_u32_e32 v1, vcc, v1, v2, vcc
	v_add_co_u32_e32 v34, vcc, s36, v34
	v_addc_co_u32_e32 v29, vcc, v29, v2, vcc
	;; [unrolled: 2-line block ×15, first 2 shown]
	v_mov_b32_e32 v6, v25
	s_add_u32 s40, s40, s7
	v_add_co_u32_e32 v62, vcc, s36, v62
	v_pk_add_f32 v[26:27], v[4:5], v[6:7]
	s_addc_u32 s41, s41, 0
	v_addc_co_u32_e32 v59, vcc, v59, v2, vcc
	v_pk_mov_b32 v[4:5], s[12:13], s[12:13] op_sel:[0,1]
	s_add_u32 s38, s38, s7
	v_cmp_lt_i64_e32 vcc, s[40:41], v[4:5]
	s_addc_u32 s39, s39, 0
	s_cbranch_vccz .LBB80_49
.LBB80_5:                               ; =>This Inner Loop Header: Depth=1
	v_pk_mov_b32 v[4:5], s[12:13], s[12:13] op_sel:[0,1]
	v_cmp_ge_i64_e32 vcc, s[38:39], v[4:5]
	v_mov_b32_e32 v2, s39
	v_add_co_u32_e64 v65, s[8:9], s38, v28
	v_addc_co_u32_e64 v66, s[8:9], 0, v2, s[8:9]
	s_cbranch_vccz .LBB80_27
; %bb.6:                                ;   in Loop: Header=BB80_5 Depth=1
	s_load_dword s8, s[34:35], 0xc
	v_mov_b32_e32 v67, 0
	v_mov_b32_e32 v68, 0
	s_waitcnt lgkmcnt(0)
	s_and_b32 s8, s8, 0xffff
	v_mad_u32_u24 v2, v63, s8, v61
	v_and_b32_e32 v2, 63, v2
	v_cmp_gt_u32_e32 vcc, 8, v2
	s_and_saveexec_b64 s[8:9], vcc
	s_cbranch_execz .LBB80_10
; %bb.7:                                ;   in Loop: Header=BB80_5 Depth=1
	v_add_co_u32_e32 v2, vcc, v65, v2
	v_addc_co_u32_e32 v5, vcc, 0, v66, vcc
	v_add_co_u32_e32 v4, vcc, 0xffffff81, v2
	v_addc_co_u32_e32 v5, vcc, -1, v5, vcc
	v_cmp_gt_i64_e32 vcc, s[12:13], v[4:5]
	v_mov_b32_e32 v68, 0
	v_mov_b32_e32 v67, 0
	s_and_saveexec_b64 s[22:23], vcc
	s_cbranch_execz .LBB80_9
; %bb.8:                                ;   in Loop: Header=BB80_5 Depth=1
	v_lshlrev_b64 v[4:5], 2, v[4:5]
	v_mov_b32_e32 v2, s31
	v_add_co_u32_e32 v6, vcc, s30, v4
	v_addc_co_u32_e32 v7, vcc, v2, v5, vcc
	v_mov_b32_e32 v2, s29
	v_add_co_u32_e32 v4, vcc, s28, v4
	v_addc_co_u32_e32 v5, vcc, v2, v5, vcc
	global_load_dword v68, v[4:5], off
	global_load_dword v67, v[6:7], off
.LBB80_9:                               ;   in Loop: Header=BB80_5 Depth=1
	s_or_b64 exec, exec, s[22:23]
.LBB80_10:                              ;   in Loop: Header=BB80_5 Depth=1
	s_or_b64 exec, exec, s[8:9]
	s_mov_b32 s21, s20
	v_add_co_u32_e32 v4, vcc, 0xffffff81, v65
	s_mov_b32 s22, s20
	s_mov_b32 s23, s20
	;; [unrolled: 1-line block ×6, first 2 shown]
	v_pk_mov_b32 v[10:11], s[20:21], s[20:21] op_sel:[0,1]
	v_addc_co_u32_e32 v5, vcc, -1, v66, vcc
	v_pk_mov_b32 v[16:17], s[26:27], s[26:27] op_sel:[0,1]
	v_cmp_gt_i64_e32 vcc, s[12:13], v[4:5]
	v_pk_mov_b32 v[12:13], s[22:23], s[22:23] op_sel:[0,1]
	v_pk_mov_b32 v[14:15], s[24:25], s[24:25] op_sel:[0,1]
	;; [unrolled: 1-line block ×3, first 2 shown]
	s_and_b64 s[42:43], s[2:3], vcc
	v_pk_mov_b32 v[22:23], v[14:15], v[14:15] op_sel:[0,1]
	v_pk_mov_b32 v[20:21], v[12:13], v[12:13] op_sel:[0,1]
	;; [unrolled: 1-line block ×3, first 2 shown]
	s_and_saveexec_b64 s[8:9], s[42:43]
	s_cbranch_execz .LBB80_12
; %bb.11:                               ;   in Loop: Header=BB80_5 Depth=1
	v_add_co_u32_e32 v4, vcc, v60, v30
	v_addc_co_u32_e32 v5, vcc, v57, v31, vcc
	global_load_ushort v2, v[4:5], off
	v_add_co_u32_e32 v4, vcc, v62, v30
	v_addc_co_u32_e32 v5, vcc, v59, v31, vcc
	global_load_ushort v10, v[4:5], off
	v_mov_b32_e32 v8, v3
	v_mov_b32_e32 v9, v3
	;; [unrolled: 1-line block ×13, first 2 shown]
	s_waitcnt vmcnt(1)
	v_cvt_f32_f16_e32 v2, v2
	v_pk_mov_b32 v[24:25], v[8:9], v[8:9] op_sel:[0,1]
	v_pk_mov_b32 v[22:23], v[6:7], v[6:7] op_sel:[0,1]
	;; [unrolled: 1-line block ×4, first 2 shown]
	s_waitcnt vmcnt(0)
	v_cvt_f32_f16_e32 v10, v10
.LBB80_12:                              ;   in Loop: Header=BB80_5 Depth=1
	s_or_b64 exec, exec, s[8:9]
	v_add_co_u32_e32 v4, vcc, 0xffffff82, v65
	v_addc_co_u32_e32 v5, vcc, -1, v66, vcc
	v_cmp_gt_i64_e32 vcc, s[12:13], v[4:5]
	s_and_b64 s[22:23], s[2:3], vcc
	s_and_saveexec_b64 s[8:9], s[22:23]
	s_cbranch_execz .LBB80_14
; %bb.13:                               ;   in Loop: Header=BB80_5 Depth=1
	v_add_co_u32_e32 v4, vcc, v56, v30
	v_addc_co_u32_e32 v5, vcc, v53, v31, vcc
	global_load_ushort v2, v[4:5], off
	v_add_co_u32_e32 v4, vcc, v58, v30
	v_addc_co_u32_e32 v5, vcc, v55, v31, vcc
	global_load_ushort v4, v[4:5], off
	s_waitcnt vmcnt(1)
	v_cvt_f32_f16_e32 v19, v2
	s_waitcnt vmcnt(0)
	v_cvt_f32_f16_e32 v11, v4
.LBB80_14:                              ;   in Loop: Header=BB80_5 Depth=1
	s_or_b64 exec, exec, s[8:9]
	v_add_co_u32_e32 v4, vcc, 0xffffff83, v65
	v_addc_co_u32_e32 v5, vcc, -1, v66, vcc
	v_cmp_gt_i64_e32 vcc, s[12:13], v[4:5]
	s_and_b64 s[22:23], s[2:3], vcc
	s_and_saveexec_b64 s[8:9], s[22:23]
	s_cbranch_execz .LBB80_16
; %bb.15:                               ;   in Loop: Header=BB80_5 Depth=1
	v_add_co_u32_e32 v4, vcc, v52, v30
	v_addc_co_u32_e32 v5, vcc, v49, v31, vcc
	global_load_ushort v2, v[4:5], off
	v_add_co_u32_e32 v4, vcc, v54, v30
	v_addc_co_u32_e32 v5, vcc, v51, v31, vcc
	global_load_ushort v4, v[4:5], off
	s_waitcnt vmcnt(1)
	v_cvt_f32_f16_e32 v20, v2
	s_waitcnt vmcnt(0)
	v_cvt_f32_f16_e32 v12, v4
.LBB80_16:                              ;   in Loop: Header=BB80_5 Depth=1
	;; [unrolled: 19-line block ×7, first 2 shown]
	s_or_b64 exec, exec, s[8:9]
	s_waitcnt vmcnt(1)
	ds_bpermute_b32 v2, v64, v68
	ds_bpermute_b32 v4, v64, v68 offset:4
	s_waitcnt vmcnt(0)
	ds_bpermute_b32 v5, v64, v67
	ds_bpermute_b32 v6, v64, v67 offset:4
	ds_bpermute_b32 v8, v64, v67 offset:12
	s_waitcnt lgkmcnt(4)
	v_sub_f32_e32 v2, v10, v2
	v_mul_f32_e32 v2, v18, v2
	s_waitcnt lgkmcnt(3)
	v_sub_f32_e32 v4, v11, v4
	s_waitcnt lgkmcnt(2)
	v_mul_f32_e32 v5, v2, v5
	ds_bpermute_b32 v2, v64, v68 offset:8
	v_mul_f32_e32 v4, v19, v4
	s_waitcnt lgkmcnt(2)
	v_mul_f32_e32 v7, v4, v6
	ds_bpermute_b32 v4, v64, v67 offset:8
	ds_bpermute_b32 v6, v64, v68 offset:12
	s_waitcnt lgkmcnt(2)
	v_sub_f32_e32 v2, v12, v2
	v_mul_f32_e32 v2, v20, v2
	v_mov_b32_e32 v10, v21
	s_waitcnt lgkmcnt(1)
	v_mul_f32_e32 v9, v2, v4
	s_waitcnt lgkmcnt(0)
	v_sub_f32_e32 v2, v13, v6
	ds_bpermute_b32 v4, v64, v68 offset:16
	v_mul_f32_e32 v2, v21, v2
	v_mul_f32_e32 v11, v2, v8
	ds_bpermute_b32 v2, v64, v67 offset:16
	ds_bpermute_b32 v6, v64, v68 offset:20
	;; [unrolled: 1-line block ×3, first 2 shown]
	s_waitcnt lgkmcnt(3)
	v_sub_f32_e32 v4, v14, v4
	v_mul_f32_e32 v4, v22, v4
	s_waitcnt lgkmcnt(2)
	v_mul_f32_e32 v13, v4, v2
	s_waitcnt lgkmcnt(1)
	v_sub_f32_e32 v2, v15, v6
	v_mul_f32_e32 v2, v23, v2
	s_waitcnt lgkmcnt(0)
	v_mul_f32_e32 v15, v2, v8
	ds_bpermute_b32 v2, v64, v68 offset:24
	v_mov_b32_e32 v4, v18
	v_pk_add_f32 v[4:5], v[26:27], v[4:5]
	v_mov_b32_e32 v6, v19
	v_pk_add_f32 v[4:5], v[6:7], v[4:5]
	ds_bpermute_b32 v7, v64, v67 offset:24
	v_mov_b32_e32 v8, v20
	s_waitcnt lgkmcnt(1)
	v_sub_f32_e32 v2, v16, v2
	v_pk_add_f32 v[4:5], v[8:9], v[4:5]
	v_mul_f32_e32 v8, v24, v2
	ds_bpermute_b32 v2, v64, v67 offset:28
	ds_bpermute_b32 v6, v64, v68 offset:28
	v_pk_add_f32 v[4:5], v[10:11], v[4:5]
	v_mov_b32_e32 v12, v22
	v_pk_add_f32 v[4:5], v[12:13], v[4:5]
	v_mov_b32_e32 v14, v23
	v_pk_add_f32 v[4:5], v[14:15], v[4:5]
	s_waitcnt lgkmcnt(2)
	v_mul_f32_e32 v9, v8, v7
	v_mov_b32_e32 v8, v24
	v_pk_add_f32 v[4:5], v[8:9], v[4:5]
	s_branch .LBB80_4
.LBB80_27:                              ;   in Loop: Header=BB80_5 Depth=1
                                        ; implicit-def: $vgpr4_vgpr5
                                        ; implicit-def: $vgpr2
                                        ; implicit-def: $vgpr10_vgpr11_vgpr12_vgpr13_vgpr14_vgpr15_vgpr16_vgpr17
                                        ; implicit-def: $vgpr18_vgpr19_vgpr20_vgpr21_vgpr22_vgpr23_vgpr24_vgpr25
                                        ; implicit-def: $vgpr6
	s_cbranch_execz .LBB80_4
; %bb.28:                               ;   in Loop: Header=BB80_5 Depth=1
	s_load_dword s8, s[34:35], 0x0
	v_mov_b32_e32 v67, 0
	v_mov_b32_e32 v68, 0
	s_waitcnt lgkmcnt(0)
	s_cmp_lt_u32 s6, s8
	s_cselect_b32 s8, 12, 18
	s_add_u32 s8, s34, s8
	s_addc_u32 s9, s35, 0
	global_load_ushort v2, v3, s[8:9]
	s_waitcnt vmcnt(0)
	v_mad_u32_u24 v2, v63, v2, v61
	v_and_b32_e32 v2, 63, v2
	v_cmp_gt_u32_e32 vcc, 8, v2
	s_and_saveexec_b64 s[8:9], vcc
	s_cbranch_execz .LBB80_32
; %bb.29:                               ;   in Loop: Header=BB80_5 Depth=1
	v_add_co_u32_e32 v2, vcc, v65, v2
	v_addc_co_u32_e32 v5, vcc, 0, v66, vcc
	v_add_co_u32_e32 v4, vcc, 0xffffff81, v2
	v_addc_co_u32_e32 v5, vcc, -1, v5, vcc
	v_cmp_gt_i64_e32 vcc, s[12:13], v[4:5]
	v_mov_b32_e32 v68, 0
	v_mov_b32_e32 v67, 0
	s_and_saveexec_b64 s[22:23], vcc
	s_cbranch_execz .LBB80_31
; %bb.30:                               ;   in Loop: Header=BB80_5 Depth=1
	v_lshlrev_b64 v[4:5], 2, v[4:5]
	v_mov_b32_e32 v2, s31
	v_add_co_u32_e32 v6, vcc, s30, v4
	v_addc_co_u32_e32 v7, vcc, v2, v5, vcc
	v_mov_b32_e32 v2, s29
	v_add_co_u32_e32 v4, vcc, s28, v4
	v_addc_co_u32_e32 v5, vcc, v2, v5, vcc
	global_load_dword v68, v[4:5], off
	global_load_dword v67, v[6:7], off
.LBB80_31:                              ;   in Loop: Header=BB80_5 Depth=1
	s_or_b64 exec, exec, s[22:23]
.LBB80_32:                              ;   in Loop: Header=BB80_5 Depth=1
	s_or_b64 exec, exec, s[8:9]
	s_mov_b32 s21, s20
	s_mov_b32 s22, s20
	;; [unrolled: 1-line block ×7, first 2 shown]
	v_pk_mov_b32 v[10:11], s[20:21], s[20:21] op_sel:[0,1]
	v_pk_mov_b32 v[16:17], s[26:27], s[26:27] op_sel:[0,1]
	;; [unrolled: 1-line block ×8, first 2 shown]
	s_and_saveexec_b64 s[8:9], s[2:3]
	s_cbranch_execnz .LBB80_40
; %bb.33:                               ;   in Loop: Header=BB80_5 Depth=1
	s_or_b64 exec, exec, s[8:9]
	s_and_saveexec_b64 s[8:9], s[2:3]
	s_cbranch_execnz .LBB80_41
.LBB80_34:                              ;   in Loop: Header=BB80_5 Depth=1
	s_or_b64 exec, exec, s[8:9]
	s_and_saveexec_b64 s[8:9], s[2:3]
	s_cbranch_execnz .LBB80_42
.LBB80_35:                              ;   in Loop: Header=BB80_5 Depth=1
	s_or_b64 exec, exec, s[8:9]
	s_and_saveexec_b64 s[8:9], s[2:3]
	s_cbranch_execnz .LBB80_43
.LBB80_36:                              ;   in Loop: Header=BB80_5 Depth=1
	s_or_b64 exec, exec, s[8:9]
	s_and_saveexec_b64 s[8:9], s[2:3]
	s_cbranch_execnz .LBB80_44
.LBB80_37:                              ;   in Loop: Header=BB80_5 Depth=1
	s_or_b64 exec, exec, s[8:9]
	s_and_saveexec_b64 s[8:9], s[2:3]
	s_cbranch_execnz .LBB80_45
.LBB80_38:                              ;   in Loop: Header=BB80_5 Depth=1
	s_or_b64 exec, exec, s[8:9]
	s_and_saveexec_b64 s[8:9], s[2:3]
	s_cbranch_execnz .LBB80_46
.LBB80_39:                              ;   in Loop: Header=BB80_5 Depth=1
	s_or_b64 exec, exec, s[8:9]
	s_and_saveexec_b64 s[8:9], s[2:3]
	s_cbranch_execz .LBB80_3
	s_branch .LBB80_47
.LBB80_40:                              ;   in Loop: Header=BB80_5 Depth=1
	v_add_co_u32_e32 v4, vcc, v60, v30
	v_addc_co_u32_e32 v5, vcc, v57, v31, vcc
	global_load_ushort v2, v[4:5], off
	v_add_co_u32_e32 v4, vcc, v62, v30
	v_addc_co_u32_e32 v5, vcc, v59, v31, vcc
	global_load_ushort v10, v[4:5], off
	v_mov_b32_e32 v8, v3
	v_mov_b32_e32 v9, v3
	;; [unrolled: 1-line block ×13, first 2 shown]
	s_waitcnt vmcnt(1)
	v_cvt_f32_f16_e32 v2, v2
	v_pk_mov_b32 v[24:25], v[8:9], v[8:9] op_sel:[0,1]
	v_pk_mov_b32 v[22:23], v[6:7], v[6:7] op_sel:[0,1]
	;; [unrolled: 1-line block ×4, first 2 shown]
	s_waitcnt vmcnt(0)
	v_cvt_f32_f16_e32 v10, v10
	s_or_b64 exec, exec, s[8:9]
	s_and_saveexec_b64 s[8:9], s[2:3]
	s_cbranch_execz .LBB80_34
.LBB80_41:                              ;   in Loop: Header=BB80_5 Depth=1
	v_add_co_u32_e32 v4, vcc, v56, v30
	v_addc_co_u32_e32 v5, vcc, v53, v31, vcc
	global_load_ushort v2, v[4:5], off
	v_add_co_u32_e32 v4, vcc, v58, v30
	v_addc_co_u32_e32 v5, vcc, v55, v31, vcc
	global_load_ushort v4, v[4:5], off
	s_waitcnt vmcnt(1)
	v_cvt_f32_f16_e32 v19, v2
	s_waitcnt vmcnt(0)
	v_cvt_f32_f16_e32 v11, v4
	s_or_b64 exec, exec, s[8:9]
	s_and_saveexec_b64 s[8:9], s[2:3]
	s_cbranch_execz .LBB80_35
.LBB80_42:                              ;   in Loop: Header=BB80_5 Depth=1
	v_add_co_u32_e32 v4, vcc, v52, v30
	v_addc_co_u32_e32 v5, vcc, v49, v31, vcc
	global_load_ushort v2, v[4:5], off
	v_add_co_u32_e32 v4, vcc, v54, v30
	v_addc_co_u32_e32 v5, vcc, v51, v31, vcc
	global_load_ushort v4, v[4:5], off
	s_waitcnt vmcnt(1)
	v_cvt_f32_f16_e32 v20, v2
	s_waitcnt vmcnt(0)
	v_cvt_f32_f16_e32 v12, v4
	s_or_b64 exec, exec, s[8:9]
	s_and_saveexec_b64 s[8:9], s[2:3]
	s_cbranch_execz .LBB80_36
.LBB80_43:                              ;   in Loop: Header=BB80_5 Depth=1
	v_add_co_u32_e32 v4, vcc, v48, v30
	v_addc_co_u32_e32 v5, vcc, v45, v31, vcc
	global_load_ushort v2, v[4:5], off
	v_add_co_u32_e32 v4, vcc, v50, v30
	v_addc_co_u32_e32 v5, vcc, v47, v31, vcc
	global_load_ushort v4, v[4:5], off
	s_waitcnt vmcnt(1)
	v_cvt_f32_f16_e32 v21, v2
	s_waitcnt vmcnt(0)
	v_cvt_f32_f16_e32 v13, v4
	s_or_b64 exec, exec, s[8:9]
	s_and_saveexec_b64 s[8:9], s[2:3]
	s_cbranch_execz .LBB80_37
.LBB80_44:                              ;   in Loop: Header=BB80_5 Depth=1
	v_add_co_u32_e32 v4, vcc, v44, v30
	v_addc_co_u32_e32 v5, vcc, v41, v31, vcc
	global_load_ushort v2, v[4:5], off
	v_add_co_u32_e32 v4, vcc, v46, v30
	v_addc_co_u32_e32 v5, vcc, v43, v31, vcc
	global_load_ushort v4, v[4:5], off
	s_waitcnt vmcnt(1)
	v_cvt_f32_f16_e32 v22, v2
	s_waitcnt vmcnt(0)
	v_cvt_f32_f16_e32 v14, v4
	s_or_b64 exec, exec, s[8:9]
	s_and_saveexec_b64 s[8:9], s[2:3]
	s_cbranch_execz .LBB80_38
.LBB80_45:                              ;   in Loop: Header=BB80_5 Depth=1
	v_add_co_u32_e32 v4, vcc, v40, v30
	v_addc_co_u32_e32 v5, vcc, v37, v31, vcc
	global_load_ushort v2, v[4:5], off
	v_add_co_u32_e32 v4, vcc, v42, v30
	v_addc_co_u32_e32 v5, vcc, v39, v31, vcc
	global_load_ushort v4, v[4:5], off
	s_waitcnt vmcnt(1)
	v_cvt_f32_f16_e32 v23, v2
	s_waitcnt vmcnt(0)
	v_cvt_f32_f16_e32 v15, v4
	s_or_b64 exec, exec, s[8:9]
	s_and_saveexec_b64 s[8:9], s[2:3]
	s_cbranch_execz .LBB80_39
.LBB80_46:                              ;   in Loop: Header=BB80_5 Depth=1
	v_add_co_u32_e32 v4, vcc, v36, v30
	v_addc_co_u32_e32 v5, vcc, v33, v31, vcc
	global_load_ushort v2, v[4:5], off
	v_add_co_u32_e32 v4, vcc, v38, v30
	v_addc_co_u32_e32 v5, vcc, v35, v31, vcc
	global_load_ushort v4, v[4:5], off
	s_waitcnt vmcnt(1)
	v_cvt_f32_f16_e32 v24, v2
	s_waitcnt vmcnt(0)
	v_cvt_f32_f16_e32 v16, v4
	s_or_b64 exec, exec, s[8:9]
	s_and_saveexec_b64 s[8:9], s[2:3]
	s_cbranch_execz .LBB80_3
.LBB80_47:                              ;   in Loop: Header=BB80_5 Depth=1
	v_add_co_u32_e32 v4, vcc, v32, v30
	v_addc_co_u32_e32 v5, vcc, v1, v31, vcc
	global_load_ushort v2, v[4:5], off
	v_add_co_u32_e32 v4, vcc, v34, v30
	v_addc_co_u32_e32 v5, vcc, v29, v31, vcc
	global_load_ushort v4, v[4:5], off
	s_waitcnt vmcnt(1)
	v_cvt_f32_f16_e32 v25, v2
	s_waitcnt vmcnt(0)
	v_cvt_f32_f16_e32 v17, v4
	s_branch .LBB80_3
.LBB80_48:
                                        ; implicit-def: $vgpr27
	s_branch .LBB80_50
.LBB80_49:
	s_cbranch_execnz .LBB80_81
.LBB80_50:
	v_mov_b32_e32 v27, 0
	s_mov_b32 s20, 0
	s_and_b64 vcc, exec, s[0:1]
	v_mov_b32_e32 v26, v27
	s_cbranch_vccnz .LBB80_81
; %bb.51:
	s_load_dword s0, s[4:5], 0x44
	s_add_u32 s2, s4, 64
	s_addc_u32 s3, s5, 0
	v_bfe_u32 v87, v0, 10, 10
	v_lshlrev_b32_e32 v1, 4, v87
	s_waitcnt lgkmcnt(0)
	s_lshl_b32 s7, s0, 7
	s_add_u32 s8, s10, 0x7f
	s_addc_u32 s9, 0, 0
	s_lshl_b64 s[0:1], s[10:11], 1
	v_mov_b32_e32 v2, s1
	v_add_co_u32_e32 v1, vcc, s0, v1
	v_addc_co_u32_e32 v4, vcc, 0, v2, vcc
	v_add_co_u32_e32 v6, vcc, 2, v1
	v_addc_co_u32_e32 v5, vcc, 0, v4, vcc
	v_add_co_u32_e32 v9, vcc, 4, v1
	v_mul_lo_u32 v7, s14, v5
	v_addc_co_u32_e32 v5, vcc, 0, v4, vcc
	v_add_co_u32_e32 v12, vcc, 6, v1
	v_mul_lo_u32 v10, s14, v5
	;; [unrolled: 3-line block ×5, first 2 shown]
	v_addc_co_u32_e32 v5, vcc, 0, v4, vcc
	v_add_co_u32_e32 v24, vcc, 14, v1
	v_lshlrev_b32_e32 v28, 3, v87
	v_addc_co_u32_e32 v1, vcc, 0, v4, vcc
	v_mul_lo_u32 v25, s14, v1
	v_mov_b32_e32 v1, s11
	v_add_co_u32_e32 v27, vcc, s10, v28
	v_pk_mov_b32 v[2:3], s[16:17], s[16:17] op_sel:[0,1]
	v_addc_co_u32_e32 v45, vcc, 0, v1, vcc
	v_mad_u64_u32 v[30:31], s[0:1], s14, v6, v[2:3]
	v_mad_u64_u32 v[32:33], s[0:1], s14, v9, v[2:3]
	;; [unrolled: 1-line block ×7, first 2 shown]
	v_mul_lo_u32 v61, s15, v27
	v_mul_lo_u32 v62, s14, v45
	v_mad_u64_u32 v[2:3], s[0:1], s14, v27, 0
	v_add3_u32 v3, v3, v62, v61
	v_lshlrev_b64 v[2:3], 1, v[2:3]
	v_mul_lo_u32 v22, s14, v5
	v_mov_b32_e32 v83, s17
	v_add_co_u32_e32 v44, vcc, s16, v2
	v_pk_mov_b32 v[4:5], s[18:19], s[18:19] op_sel:[0,1]
	v_mul_lo_u32 v17, s15, v15
	v_addc_co_u32_e32 v1, vcc, v83, v3, vcc
	v_mad_u64_u32 v[52:53], s[0:1], s14, v15, v[4:5]
	v_add3_u32 v37, v17, v37, v16
	v_add3_u32 v53, v17, v53, v16
	v_mov_b32_e32 v16, s19
	v_add_co_u32_e32 v60, vcc, s18, v2
	v_addc_co_u32_e32 v29, vcc, v16, v3, vcc
	v_add_co_u32_e32 v2, vcc, 7, v27
	v_addc_co_u32_e32 v3, vcc, 0, v45, vcc
	v_mad_u64_u32 v[46:47], s[0:1], s14, v6, v[4:5]
	v_mad_u64_u32 v[48:49], s[0:1], s14, v9, v[4:5]
	;; [unrolled: 1-line block ×6, first 2 shown]
	v_mul_lo_u32 v4, s15, v2
	v_mul_lo_u32 v5, s14, v3
	v_mad_u64_u32 v[2:3], s[0:1], s14, v2, 0
	v_add3_u32 v3, v3, v5, v4
	v_add_co_u32_e32 v4, vcc, 6, v27
	v_mul_lo_u32 v8, s15, v6
	v_addc_co_u32_e32 v5, vcc, 0, v45, vcc
	v_add3_u32 v31, v8, v31, v7
	v_add3_u32 v47, v8, v47, v7
	v_mul_lo_u32 v6, s15, v4
	v_mul_lo_u32 v7, s14, v5
	v_mad_u64_u32 v[4:5], s[0:1], s14, v4, 0
	v_add3_u32 v5, v5, v7, v6
	v_add_co_u32_e32 v6, vcc, 5, v27
	v_addc_co_u32_e32 v7, vcc, 0, v45, vcc
	v_mul_lo_u32 v11, s15, v9
	v_mul_lo_u32 v8, s15, v6
	;; [unrolled: 1-line block ×3, first 2 shown]
	v_mad_u64_u32 v[6:7], s[0:1], s14, v6, 0
	v_add3_u32 v7, v7, v9, v8
	v_add_co_u32_e32 v8, vcc, 4, v27
	v_addc_co_u32_e32 v9, vcc, 0, v45, vcc
	v_add3_u32 v33, v11, v33, v10
	v_add3_u32 v49, v11, v49, v10
	v_mul_lo_u32 v10, s15, v8
	v_mul_lo_u32 v11, s14, v9
	v_mad_u64_u32 v[8:9], s[0:1], s14, v8, 0
	v_add3_u32 v9, v9, v11, v10
	v_add_co_u32_e32 v10, vcc, 3, v27
	v_mul_lo_u32 v14, s15, v12
	v_addc_co_u32_e32 v11, vcc, 0, v45, vcc
	v_add3_u32 v35, v14, v35, v13
	v_add3_u32 v51, v14, v51, v13
	v_mul_lo_u32 v12, s15, v10
	v_mul_lo_u32 v13, s14, v11
	v_mad_u64_u32 v[10:11], s[0:1], s14, v10, 0
	v_add3_u32 v11, v11, v13, v12
	v_add_co_u32_e32 v12, vcc, 2, v27
	v_addc_co_u32_e32 v13, vcc, 0, v45, vcc
	v_mul_lo_u32 v14, s15, v12
	v_mul_lo_u32 v15, s14, v13
	v_mad_u64_u32 v[12:13], s[0:1], s14, v12, 0
	v_add3_u32 v13, v13, v15, v14
	v_pk_mov_b32 v[14:15], s[14:15], s[14:15] op_sel:[0,1]
	v_lshlrev_b64 v[2:3], 1, v[2:3]
	v_mad_u64_u32 v[14:15], s[0:1], s14, v27, v[14:15]
	v_add3_u32 v15, v61, v15, v62
	v_add_co_u32_e32 v62, vcc, s16, v2
	v_addc_co_u32_e32 v45, vcc, v83, v3, vcc
	v_add_co_u32_e32 v64, vcc, s18, v2
	v_addc_co_u32_e32 v61, vcc, v16, v3, vcc
	v_lshlrev_b64 v[2:3], 1, v[4:5]
	v_add_co_u32_e32 v66, vcc, s16, v2
	v_addc_co_u32_e32 v63, vcc, v83, v3, vcc
	v_add_co_u32_e32 v68, vcc, s18, v2
	v_addc_co_u32_e32 v65, vcc, v16, v3, vcc
	v_lshlrev_b64 v[2:3], 1, v[6:7]
	;; [unrolled: 5-line block ×6, first 2 shown]
	v_add_co_u32_e32 v86, vcc, s16, v2
	v_addc_co_u32_e32 v83, vcc, v83, v3, vcc
	v_mbcnt_lo_u32_b32 v4, -1, 0
	v_add_co_u32_e32 v88, vcc, s18, v2
	v_and_b32_e32 v89, 0x3ff, v0
	s_mul_i32 s0, s15, s7
	s_mul_hi_u32 s1, s14, s7
	v_mbcnt_hi_u32_b32 v4, -1, v4
	v_mul_lo_u32 v20, s15, v18
	v_mul_lo_u32 v23, s15, v21
	;; [unrolled: 1-line block ×3, first 2 shown]
	v_addc_co_u32_e32 v85, vcc, v16, v3, vcc
	v_add_u32_e32 v2, s33, v89
	v_mov_b32_e32 v3, 0
	s_add_i32 s1, s1, s0
	s_mul_i32 s0, s14, s7
	v_lshlrev_b32_e32 v4, 2, v4
	v_add3_u32 v39, v20, v39, v19
	v_add3_u32 v41, v23, v41, v22
	;; [unrolled: 1-line block ×6, first 2 shown]
	s_lshl_b64 s[16:17], s[0:1], 1
	v_and_b32_e32 v94, 0x100, v4
	v_mov_b32_e32 v26, v3
	v_mov_b32_e32 v27, v3
	v_lshlrev_b64 v[90:91], 1, v[2:3]
	s_branch .LBB80_55
.LBB80_52:                              ;   in Loop: Header=BB80_55 Depth=1
	s_or_b64 exec, exec, s[18:19]
.LBB80_53:                              ;   in Loop: Header=BB80_55 Depth=1
	s_or_b64 exec, exec, s[0:1]
	v_add_co_u32_e32 v4, vcc, v44, v90
	v_addc_co_u32_e32 v5, vcc, v1, v91, vcc
	global_load_ushort v7, v[4:5], off
	v_add_co_u32_e32 v4, vcc, v60, v90
	v_addc_co_u32_e32 v5, vcc, v29, v91, vcc
	global_load_ushort v8, v[4:5], off
	;; [unrolled: 3-line block ×16, first 2 shown]
	s_waitcnt vmcnt(16)
	ds_bpermute_b32 v24, v94, v2 offset:8
	s_waitcnt vmcnt(15)
	v_cvt_f32_f16_e32 v4, v7
	s_waitcnt vmcnt(14)
	v_cvt_f32_f16_e32 v7, v8
	;; [unrolled: 2-line block ×13, first 2 shown]
	ds_bpermute_b32 v19, v94, v6
	s_waitcnt vmcnt(2)
	v_cvt_f32_f16_e32 v22, v20
	s_waitcnt vmcnt(1)
	v_cvt_f32_f16_e32 v20, v21
	ds_bpermute_b32 v21, v94, v2
	s_waitcnt vmcnt(0)
	v_cvt_f32_f16_e32 v23, v5
	s_waitcnt lgkmcnt(1)
	v_sub_f32_e32 v5, v7, v19
	ds_bpermute_b32 v7, v94, v6 offset:4
	v_mul_f32_e32 v5, v5, v4
	s_waitcnt lgkmcnt(1)
	v_mul_f32_e32 v5, v5, v21
	ds_bpermute_b32 v19, v94, v2 offset:4
	ds_bpermute_b32 v21, v94, v6 offset:8
	s_waitcnt lgkmcnt(2)
	v_sub_f32_e32 v7, v9, v7
	v_mul_f32_e32 v7, v7, v8
	v_pk_add_f32 v[4:5], v[92:93], v[4:5]
	s_waitcnt lgkmcnt(1)
	v_mul_f32_e32 v9, v7, v19
	s_waitcnt lgkmcnt(0)
	v_sub_f32_e32 v7, v11, v21
	ds_bpermute_b32 v19, v94, v6 offset:12
	v_mul_f32_e32 v7, v7, v10
	v_mul_f32_e32 v11, v7, v24
	ds_bpermute_b32 v7, v94, v2 offset:12
	ds_bpermute_b32 v21, v94, v6 offset:16
	s_waitcnt lgkmcnt(2)
	v_sub_f32_e32 v13, v13, v19
	ds_bpermute_b32 v19, v94, v2 offset:16
	v_mul_f32_e32 v13, v13, v12
	s_waitcnt lgkmcnt(2)
	v_mul_f32_e32 v13, v13, v7
	s_waitcnt lgkmcnt(1)
	v_sub_f32_e32 v7, v15, v21
	ds_bpermute_b32 v21, v94, v6 offset:20
	v_mul_f32_e32 v7, v7, v14
	s_waitcnt lgkmcnt(1)
	v_mul_f32_e32 v15, v7, v19
	ds_bpermute_b32 v7, v94, v2 offset:20
	ds_bpermute_b32 v19, v94, v6 offset:24
	;; [unrolled: 1-line block ×3, first 2 shown]
	s_waitcnt lgkmcnt(3)
	v_sub_f32_e32 v17, v17, v21
	ds_bpermute_b32 v21, v94, v2 offset:24
	v_pk_add_f32 v[4:5], v[4:5], v[8:9]
	ds_bpermute_b32 v2, v94, v2 offset:28
	v_mul_f32_e32 v17, v17, v16
	v_pk_add_f32 v[4:5], v[4:5], v[10:11]
	s_waitcnt lgkmcnt(4)
	v_mul_f32_e32 v17, v17, v7
	s_waitcnt lgkmcnt(3)
	v_sub_f32_e32 v7, v22, v19
	v_pk_add_f32 v[4:5], v[4:5], v[12:13]
	v_mul_f32_e32 v7, v7, v18
	v_pk_add_f32 v[4:5], v[4:5], v[14:15]
	s_waitcnt lgkmcnt(2)
	v_sub_f32_e32 v6, v23, v6
	s_waitcnt lgkmcnt(1)
	v_mul_f32_e32 v19, v7, v21
	v_pk_add_f32 v[4:5], v[4:5], v[16:17]
	v_mul_f32_e32 v6, v6, v20
	v_pk_add_f32 v[4:5], v[4:5], v[18:19]
	s_waitcnt lgkmcnt(0)
	v_mul_f32_e32 v21, v6, v2
	v_pk_add_f32 v[26:27], v[4:5], v[20:21]
.LBB80_54:                              ;   in Loop: Header=BB80_55 Depth=1
	v_mov_b32_e32 v2, s17
	v_add_co_u32_e32 v30, vcc, s16, v30
	v_addc_co_u32_e32 v31, vcc, v31, v2, vcc
	v_add_co_u32_e32 v32, vcc, s16, v32
	v_addc_co_u32_e32 v33, vcc, v33, v2, vcc
	;; [unrolled: 2-line block ×29, first 2 shown]
	s_add_u32 s10, s10, s7
	v_add_co_u32_e32 v88, vcc, s16, v88
	s_addc_u32 s11, s11, 0
	v_addc_co_u32_e32 v85, vcc, v85, v2, vcc
	v_pk_mov_b32 v[4:5], s[12:13], s[12:13] op_sel:[0,1]
	s_add_u32 s8, s8, s7
	v_cmp_ge_i64_e32 vcc, s[10:11], v[4:5]
	s_addc_u32 s9, s9, 0
	s_cbranch_vccnz .LBB80_81
.LBB80_55:                              ; =>This Inner Loop Header: Depth=1
	v_pk_mov_b32 v[4:5], s[12:13], s[12:13] op_sel:[0,1]
	v_cmp_ge_i64_e32 vcc, s[8:9], v[4:5]
	v_mov_b32_e32 v2, s9
	v_add_co_u32_e64 v95, s[0:1], s8, v28
	v_mov_b32_e32 v92, v26
	v_mov_b32_e32 v93, v27
	v_addc_co_u32_e64 v96, s[0:1], 0, v2, s[0:1]
	s_cbranch_vccz .LBB80_77
; %bb.56:                               ;   in Loop: Header=BB80_55 Depth=1
	s_load_dword s0, s[2:3], 0xc
	v_mov_b32_e32 v26, 0
	v_mov_b32_e32 v27, 0
	s_waitcnt lgkmcnt(0)
	s_and_b32 s0, s0, 0xffff
	v_mad_u32_u24 v2, v87, s0, v89
	v_and_b32_e32 v2, 63, v2
	v_cmp_gt_u32_e32 vcc, 8, v2
	s_and_saveexec_b64 s[0:1], vcc
	s_cbranch_execz .LBB80_60
; %bb.57:                               ;   in Loop: Header=BB80_55 Depth=1
	v_add_co_u32_e32 v2, vcc, v95, v2
	v_addc_co_u32_e32 v5, vcc, 0, v96, vcc
	v_add_co_u32_e32 v4, vcc, 0xffffff81, v2
	v_addc_co_u32_e32 v5, vcc, -1, v5, vcc
	v_cmp_gt_i64_e32 vcc, s[12:13], v[4:5]
	v_mov_b32_e32 v27, 0
	v_mov_b32_e32 v26, 0
	s_and_saveexec_b64 s[18:19], vcc
	s_cbranch_execz .LBB80_59
; %bb.58:                               ;   in Loop: Header=BB80_55 Depth=1
	v_lshlrev_b64 v[4:5], 2, v[4:5]
	v_mov_b32_e32 v2, s31
	v_add_co_u32_e32 v6, vcc, s30, v4
	v_addc_co_u32_e32 v7, vcc, v2, v5, vcc
	v_mov_b32_e32 v2, s29
	v_add_co_u32_e32 v4, vcc, s28, v4
	v_addc_co_u32_e32 v5, vcc, v2, v5, vcc
	global_load_dword v27, v[4:5], off
	global_load_dword v26, v[6:7], off
.LBB80_59:                              ;   in Loop: Header=BB80_55 Depth=1
	s_or_b64 exec, exec, s[18:19]
.LBB80_60:                              ;   in Loop: Header=BB80_55 Depth=1
	s_or_b64 exec, exec, s[0:1]
	s_mov_b32 s21, s20
	s_mov_b32 s22, s20
	;; [unrolled: 1-line block ×7, first 2 shown]
	v_pk_mov_b32 v[10:11], s[20:21], s[20:21] op_sel:[0,1]
	v_add_co_u32_e32 v4, vcc, 0xffffff81, v95
	v_pk_mov_b32 v[16:17], s[26:27], s[26:27] op_sel:[0,1]
	v_addc_co_u32_e32 v5, vcc, -1, v96, vcc
	v_pk_mov_b32 v[12:13], s[22:23], s[22:23] op_sel:[0,1]
	v_pk_mov_b32 v[14:15], s[24:25], s[24:25] op_sel:[0,1]
	;; [unrolled: 1-line block ×3, first 2 shown]
	v_cmp_gt_i64_e32 vcc, s[12:13], v[4:5]
	v_pk_mov_b32 v[22:23], v[14:15], v[14:15] op_sel:[0,1]
	v_pk_mov_b32 v[20:21], v[12:13], v[12:13] op_sel:[0,1]
	;; [unrolled: 1-line block ×3, first 2 shown]
	s_and_saveexec_b64 s[0:1], vcc
	s_cbranch_execz .LBB80_62
; %bb.61:                               ;   in Loop: Header=BB80_55 Depth=1
	v_add_co_u32_e32 v4, vcc, v44, v90
	v_addc_co_u32_e32 v5, vcc, v1, v91, vcc
	global_load_ushort v2, v[4:5], off
	v_add_co_u32_e32 v4, vcc, v60, v90
	v_addc_co_u32_e32 v5, vcc, v29, v91, vcc
	global_load_ushort v10, v[4:5], off
	v_mov_b32_e32 v8, v3
	v_mov_b32_e32 v9, v3
	;; [unrolled: 1-line block ×13, first 2 shown]
	s_waitcnt vmcnt(1)
	v_cvt_f32_f16_e32 v2, v2
	v_pk_mov_b32 v[24:25], v[8:9], v[8:9] op_sel:[0,1]
	v_pk_mov_b32 v[22:23], v[6:7], v[6:7] op_sel:[0,1]
	;; [unrolled: 1-line block ×4, first 2 shown]
	s_waitcnt vmcnt(0)
	v_cvt_f32_f16_e32 v10, v10
.LBB80_62:                              ;   in Loop: Header=BB80_55 Depth=1
	s_or_b64 exec, exec, s[0:1]
	v_add_co_u32_e32 v4, vcc, 0xffffff82, v95
	v_addc_co_u32_e32 v5, vcc, -1, v96, vcc
	v_cmp_gt_i64_e32 vcc, s[12:13], v[4:5]
	s_and_saveexec_b64 s[0:1], vcc
	s_cbranch_execz .LBB80_64
; %bb.63:                               ;   in Loop: Header=BB80_55 Depth=1
	v_add_co_u32_e32 v4, vcc, v86, v90
	v_addc_co_u32_e32 v5, vcc, v83, v91, vcc
	global_load_ushort v2, v[4:5], off
	v_add_co_u32_e32 v4, vcc, v88, v90
	v_addc_co_u32_e32 v5, vcc, v85, v91, vcc
	global_load_ushort v4, v[4:5], off
	s_waitcnt vmcnt(1)
	v_cvt_f32_f16_e32 v19, v2
	s_waitcnt vmcnt(0)
	v_cvt_f32_f16_e32 v11, v4
.LBB80_64:                              ;   in Loop: Header=BB80_55 Depth=1
	s_or_b64 exec, exec, s[0:1]
	v_add_co_u32_e32 v4, vcc, 0xffffff83, v95
	v_addc_co_u32_e32 v5, vcc, -1, v96, vcc
	v_cmp_gt_i64_e32 vcc, s[12:13], v[4:5]
	s_and_saveexec_b64 s[0:1], vcc
	s_cbranch_execz .LBB80_66
; %bb.65:                               ;   in Loop: Header=BB80_55 Depth=1
	v_add_co_u32_e32 v4, vcc, v82, v90
	v_addc_co_u32_e32 v5, vcc, v79, v91, vcc
	global_load_ushort v2, v[4:5], off
	v_add_co_u32_e32 v4, vcc, v84, v90
	v_addc_co_u32_e32 v5, vcc, v81, v91, vcc
	global_load_ushort v4, v[4:5], off
	s_waitcnt vmcnt(1)
	v_cvt_f32_f16_e32 v20, v2
	s_waitcnt vmcnt(0)
	v_cvt_f32_f16_e32 v12, v4
.LBB80_66:                              ;   in Loop: Header=BB80_55 Depth=1
	;; [unrolled: 18-line block ×7, first 2 shown]
	s_or_b64 exec, exec, s[0:1]
	s_waitcnt vmcnt(1)
	ds_bpermute_b32 v2, v94, v27
	s_waitcnt vmcnt(0)
	ds_bpermute_b32 v4, v94, v26
	ds_bpermute_b32 v7, v94, v27 offset:4
	ds_bpermute_b32 v6, v94, v26 offset:4
	ds_bpermute_b32 v8, v94, v27 offset:8
	s_waitcnt lgkmcnt(4)
	v_sub_f32_e32 v2, v10, v2
	v_mul_f32_e32 v2, v18, v2
	s_waitcnt lgkmcnt(3)
	v_mul_f32_e32 v5, v2, v4
	ds_bpermute_b32 v4, v94, v26 offset:8
	s_waitcnt lgkmcnt(3)
	v_sub_f32_e32 v2, v11, v7
	v_mul_f32_e32 v2, v19, v2
	s_waitcnt lgkmcnt(2)
	v_mul_f32_e32 v7, v2, v6
	s_waitcnt lgkmcnt(1)
	v_sub_f32_e32 v2, v12, v8
	ds_bpermute_b32 v6, v94, v27 offset:12
	v_mul_f32_e32 v2, v20, v2
	s_waitcnt lgkmcnt(1)
	v_mul_f32_e32 v9, v2, v4
	ds_bpermute_b32 v2, v94, v26 offset:12
	ds_bpermute_b32 v4, v94, v27 offset:16
	;; [unrolled: 1-line block ×3, first 2 shown]
	s_waitcnt lgkmcnt(3)
	v_sub_f32_e32 v6, v13, v6
	v_mul_f32_e32 v6, v21, v6
	s_waitcnt lgkmcnt(2)
	v_mul_f32_e32 v11, v6, v2
	s_waitcnt lgkmcnt(1)
	v_sub_f32_e32 v2, v14, v4
	ds_bpermute_b32 v4, v94, v27 offset:20
	v_mul_f32_e32 v2, v22, v2
	s_waitcnt lgkmcnt(1)
	v_mul_f32_e32 v13, v2, v8
	ds_bpermute_b32 v2, v94, v26 offset:20
	ds_bpermute_b32 v6, v94, v27 offset:24
	;; [unrolled: 1-line block ×3, first 2 shown]
	s_waitcnt lgkmcnt(3)
	v_sub_f32_e32 v4, v15, v4
	v_mul_f32_e32 v4, v23, v4
	s_waitcnt lgkmcnt(2)
	v_mul_f32_e32 v15, v4, v2
	s_waitcnt lgkmcnt(1)
	v_sub_f32_e32 v2, v16, v6
	v_mul_f32_e32 v2, v24, v2
	s_waitcnt lgkmcnt(0)
	v_mul_f32_e32 v99, v2, v8
	v_mov_b32_e32 v4, v18
	ds_bpermute_b32 v2, v94, v27 offset:28
	v_pk_add_f32 v[4:5], v[92:93], v[4:5]
	v_mov_b32_e32 v6, v19
	v_pk_add_f32 v[4:5], v[6:7], v[4:5]
	v_mov_b32_e32 v8, v20
	ds_bpermute_b32 v6, v94, v26 offset:28
	v_pk_add_f32 v[4:5], v[8:9], v[4:5]
	v_mov_b32_e32 v10, v21
	v_pk_add_f32 v[4:5], v[10:11], v[4:5]
	v_mov_b32_e32 v12, v22
	;; [unrolled: 2-line block ×3, first 2 shown]
	s_waitcnt lgkmcnt(1)
	v_sub_f32_e32 v2, v17, v2
	v_pk_add_f32 v[4:5], v[14:15], v[4:5]
	v_mov_b32_e32 v98, v24
	v_mul_f32_e32 v2, v25, v2
	v_pk_add_f32 v[4:5], v[98:99], v[4:5]
	s_waitcnt lgkmcnt(0)
	v_mul_f32_e32 v7, v2, v6
	v_mov_b32_e32 v6, v25
	v_pk_add_f32 v[26:27], v[6:7], v[4:5]
	s_branch .LBB80_54
.LBB80_77:                              ;   in Loop: Header=BB80_55 Depth=1
                                        ; implicit-def: $vgpr27
	s_cbranch_execz .LBB80_54
; %bb.78:                               ;   in Loop: Header=BB80_55 Depth=1
	s_load_dword s0, s[2:3], 0x0
	v_mov_b32_e32 v2, 0
	v_mov_b32_e32 v6, 0
	s_waitcnt lgkmcnt(0)
	s_cmp_lt_u32 s6, s0
	s_cselect_b32 s0, 12, 18
	s_add_u32 s0, s2, s0
	s_addc_u32 s1, s3, 0
	global_load_ushort v4, v3, s[0:1]
	s_waitcnt vmcnt(0)
	v_mad_u32_u24 v4, v87, v4, v89
	v_and_b32_e32 v4, 63, v4
	v_cmp_gt_u32_e32 vcc, 8, v4
	s_and_saveexec_b64 s[0:1], vcc
	s_cbranch_execz .LBB80_53
; %bb.79:                               ;   in Loop: Header=BB80_55 Depth=1
	v_add_co_u32_e32 v2, vcc, v95, v4
	v_addc_co_u32_e32 v5, vcc, 0, v96, vcc
	v_add_co_u32_e32 v4, vcc, 0xffffff81, v2
	v_addc_co_u32_e32 v5, vcc, -1, v5, vcc
	v_cmp_gt_i64_e32 vcc, s[12:13], v[4:5]
	v_mov_b32_e32 v6, 0
	v_mov_b32_e32 v2, 0
	s_and_saveexec_b64 s[18:19], vcc
	s_cbranch_execz .LBB80_52
; %bb.80:                               ;   in Loop: Header=BB80_55 Depth=1
	v_lshlrev_b64 v[4:5], 2, v[4:5]
	v_mov_b32_e32 v2, s31
	v_add_co_u32_e32 v8, vcc, s30, v4
	v_addc_co_u32_e32 v9, vcc, v2, v5, vcc
	v_mov_b32_e32 v2, s29
	v_add_co_u32_e32 v4, vcc, s28, v4
	v_addc_co_u32_e32 v5, vcc, v2, v5, vcc
	global_load_dword v6, v[4:5], off
	global_load_dword v2, v[8:9], off
	s_branch .LBB80_52
.LBB80_81:
	v_bfe_u32 v6, v0, 10, 10
	v_and_b32_e32 v0, 0x3ff, v0
	s_movk_i32 s0, 0x41
	v_mad_u32_u24 v1, v6, s0, v0
	v_lshl_add_u32 v1, v1, 2, 0
	v_lshrrev_b32_e32 v7, 6, v0
	ds_write_b32 v1, v27
	ds_write_b32 v1, v26 offset:4160
	v_add_u32_e32 v1, v7, v6
	s_mov_b32 s7, 0
	v_cmp_gt_u32_e32 vcc, 64, v1
	s_waitcnt lgkmcnt(0)
	s_barrier
	s_and_saveexec_b64 s[0:1], vcc
	s_cbranch_execz .LBB80_91
; %bb.82:
	v_and_b32_e32 v1, 63, v0
	v_cmp_gt_u32_e64 s[0:1], 16, v1
	v_mul_u32_u24_e32 v12, 0x41, v1
	v_mbcnt_lo_u32_b32 v1, -1, 0
	v_mbcnt_hi_u32_b32 v1, -1, v1
	v_and_b32_e32 v2, 64, v1
	v_add_u32_e32 v2, 64, v2
	v_cmp_eq_u32_e64 s[2:3], 0, v0
	v_xor_b32_e32 v0, 8, v1
	v_cmp_lt_i32_e32 vcc, v0, v2
	v_cndmask_b32_e32 v0, v1, v0, vcc
	v_lshlrev_b32_e32 v8, 2, v0
	v_xor_b32_e32 v0, 4, v1
	v_cmp_lt_i32_e32 vcc, v0, v2
	v_cndmask_b32_e32 v0, v1, v0, vcc
	v_lshlrev_b32_e32 v9, 2, v0
	;; [unrolled: 4-line block ×3, first 2 shown]
	v_xor_b32_e32 v0, 1, v1
	s_load_dwordx4 s[8:11], s[4:5], 0x30
	v_cmp_lt_i32_e32 vcc, v0, v2
	v_cndmask_b32_e32 v0, v1, v0, vcc
	s_lshl_b64 s[12:13], s[6:7], 6
	v_lshlrev_b32_e32 v11, 2, v0
	v_add_co_u32_e32 v0, vcc, v7, v6
	v_addc_co_u32_e64 v1, s[6:7], 0, 0, vcc
	v_mov_b32_e32 v3, s13
	v_add_co_u32_e32 v2, vcc, s12, v0
	v_addc_co_u32_e32 v3, vcc, v1, v3, vcc
	s_waitcnt lgkmcnt(0)
	s_cmp_lg_u64 s[8:9], 0
	v_lshlrev_b64 v[4:5], 1, v[2:3]
	s_cselect_b64 s[4:5], -1, 0
	s_cmp_lg_u64 s[10:11], 0
	v_mov_b32_e32 v3, s11
	v_add_co_u32_e32 v2, vcc, s10, v4
	v_add3_u32 v6, v12, v6, v7
	v_addc_co_u32_e32 v3, vcc, v3, v5, vcc
	v_lshl_add_u32 v12, v6, 2, 0
	v_cndmask_b32_e64 v6, 0, 1, s[4:5]
	s_cselect_b64 s[6:7], -1, 0
	v_mov_b32_e32 v13, s9
	v_add_co_u32_e32 v4, vcc, s8, v4
	v_cmp_ne_u32_e64 s[4:5], 1, v6
	v_cndmask_b32_e64 v6, 0, 1, s[6:7]
	s_mov_b64 s[16:17], 0
	v_addc_co_u32_e32 v5, vcc, v13, v5, vcc
	v_mov_b32_e32 v13, s13
	v_cmp_ne_u32_e64 s[6:7], 1, v6
                                        ; implicit-def: $vgpr6
	s_branch .LBB80_84
.LBB80_83:                              ;   in Loop: Header=BB80_84 Depth=1
	s_or_b64 exec, exec, s[8:9]
	v_add_co_u32_e32 v0, vcc, 16, v0
	v_addc_co_u32_e32 v1, vcc, 0, v1, vcc
	v_add_co_u32_e32 v2, vcc, 32, v2
	v_addc_co_u32_e32 v3, vcc, 0, v3, vcc
	v_add_co_u32_e32 v4, vcc, 32, v4
	v_add_u32_e32 v14, -16, v0
	v_addc_co_u32_e32 v5, vcc, 0, v5, vcc
	v_cmp_lt_u32_e32 vcc, 47, v14
	s_or_b64 s[16:17], vcc, s[16:17]
	v_add_u32_e32 v12, 64, v12
	s_andn2_b64 exec, exec, s[16:17]
	s_cbranch_execz .LBB80_91
.LBB80_84:                              ; =>This Inner Loop Header: Depth=1
	s_and_saveexec_b64 s[8:9], s[0:1]
	s_cbranch_execz .LBB80_86
; %bb.85:                               ;   in Loop: Header=BB80_84 Depth=1
	ds_read_b32 v7, v12
	ds_read_b32 v6, v12 offset:4160
.LBB80_86:                              ;   in Loop: Header=BB80_84 Depth=1
	s_or_b64 exec, exec, s[8:9]
	s_waitcnt lgkmcnt(1)
	ds_bpermute_b32 v15, v8, v7
	s_waitcnt lgkmcnt(1)
	ds_bpermute_b32 v14, v8, v6
	v_add_co_u32_e32 v16, vcc, s12, v0
	v_addc_co_u32_e32 v17, vcc, v13, v1, vcc
	s_waitcnt lgkmcnt(0)
	v_pk_add_f32 v[6:7], v[6:7], v[14:15]
	ds_bpermute_b32 v15, v9, v7
	ds_bpermute_b32 v14, v9, v6
	v_cmp_gt_i64_e32 vcc, s[14:15], v[16:17]
	s_and_b64 s[10:11], s[2:3], vcc
	s_waitcnt lgkmcnt(0)
	v_pk_add_f32 v[6:7], v[6:7], v[14:15]
	ds_bpermute_b32 v15, v10, v7
	ds_bpermute_b32 v14, v10, v6
	s_waitcnt lgkmcnt(0)
	v_pk_add_f32 v[6:7], v[6:7], v[14:15]
	ds_bpermute_b32 v15, v11, v7
	ds_bpermute_b32 v14, v11, v6
	s_waitcnt lgkmcnt(0)
	v_pk_add_f32 v[6:7], v[6:7], v[14:15]
	s_and_saveexec_b64 s[8:9], s[10:11]
	s_cbranch_execz .LBB80_83
; %bb.87:                               ;   in Loop: Header=BB80_84 Depth=1
	s_and_b64 vcc, exec, s[4:5]
	s_cbranch_vccnz .LBB80_89
; %bb.88:                               ;   in Loop: Header=BB80_84 Depth=1
	v_cvt_f16_f32_e32 v14, v7
	global_store_short v[4:5], v14, off
.LBB80_89:                              ;   in Loop: Header=BB80_84 Depth=1
	s_and_b64 vcc, exec, s[6:7]
	s_cbranch_vccnz .LBB80_83
; %bb.90:                               ;   in Loop: Header=BB80_84 Depth=1
	v_cvt_f16_f32_e32 v14, v6
	global_store_short v[2:3], v14, off
	s_branch .LBB80_83
.LBB80_91:
	s_endpgm
	.section	.rodata,"a",@progbits
	.p2align	6, 0x0
	.amdhsa_kernel _ZN2at6native12_GLOBAL__N_135GammaBetaBackwardCUDAKernelTemplateIN3c104HalfEfLj64ELj16ELj128ELb0ELb0ELb0EEEvllPKT_S7_PKT0_SA_PS5_SB_
		.amdhsa_group_segment_fixed_size 0
		.amdhsa_private_segment_fixed_size 0
		.amdhsa_kernarg_size 320
		.amdhsa_user_sgpr_count 6
		.amdhsa_user_sgpr_private_segment_buffer 1
		.amdhsa_user_sgpr_dispatch_ptr 0
		.amdhsa_user_sgpr_queue_ptr 0
		.amdhsa_user_sgpr_kernarg_segment_ptr 1
		.amdhsa_user_sgpr_dispatch_id 0
		.amdhsa_user_sgpr_flat_scratch_init 0
		.amdhsa_user_sgpr_kernarg_preload_length 0
		.amdhsa_user_sgpr_kernarg_preload_offset 0
		.amdhsa_user_sgpr_private_segment_size 0
		.amdhsa_uses_dynamic_stack 0
		.amdhsa_system_sgpr_private_segment_wavefront_offset 0
		.amdhsa_system_sgpr_workgroup_id_x 1
		.amdhsa_system_sgpr_workgroup_id_y 1
		.amdhsa_system_sgpr_workgroup_id_z 0
		.amdhsa_system_sgpr_workgroup_info 0
		.amdhsa_system_vgpr_workitem_id 1
		.amdhsa_next_free_vgpr 100
		.amdhsa_next_free_sgpr 44
		.amdhsa_accum_offset 100
		.amdhsa_reserve_vcc 1
		.amdhsa_reserve_flat_scratch 0
		.amdhsa_float_round_mode_32 0
		.amdhsa_float_round_mode_16_64 0
		.amdhsa_float_denorm_mode_32 3
		.amdhsa_float_denorm_mode_16_64 3
		.amdhsa_dx10_clamp 1
		.amdhsa_ieee_mode 1
		.amdhsa_fp16_overflow 0
		.amdhsa_tg_split 0
		.amdhsa_exception_fp_ieee_invalid_op 0
		.amdhsa_exception_fp_denorm_src 0
		.amdhsa_exception_fp_ieee_div_zero 0
		.amdhsa_exception_fp_ieee_overflow 0
		.amdhsa_exception_fp_ieee_underflow 0
		.amdhsa_exception_fp_ieee_inexact 0
		.amdhsa_exception_int_div_zero 0
	.end_amdhsa_kernel
	.section	.text._ZN2at6native12_GLOBAL__N_135GammaBetaBackwardCUDAKernelTemplateIN3c104HalfEfLj64ELj16ELj128ELb0ELb0ELb0EEEvllPKT_S7_PKT0_SA_PS5_SB_,"axG",@progbits,_ZN2at6native12_GLOBAL__N_135GammaBetaBackwardCUDAKernelTemplateIN3c104HalfEfLj64ELj16ELj128ELb0ELb0ELb0EEEvllPKT_S7_PKT0_SA_PS5_SB_,comdat
.Lfunc_end80:
	.size	_ZN2at6native12_GLOBAL__N_135GammaBetaBackwardCUDAKernelTemplateIN3c104HalfEfLj64ELj16ELj128ELb0ELb0ELb0EEEvllPKT_S7_PKT0_SA_PS5_SB_, .Lfunc_end80-_ZN2at6native12_GLOBAL__N_135GammaBetaBackwardCUDAKernelTemplateIN3c104HalfEfLj64ELj16ELj128ELb0ELb0ELb0EEEvllPKT_S7_PKT0_SA_PS5_SB_
                                        ; -- End function
	.section	.AMDGPU.csdata,"",@progbits
; Kernel info:
; codeLenInByte = 7864
; NumSgprs: 48
; NumVgprs: 100
; NumAgprs: 0
; TotalNumVgprs: 100
; ScratchSize: 0
; MemoryBound: 0
; FloatMode: 240
; IeeeMode: 1
; LDSByteSize: 0 bytes/workgroup (compile time only)
; SGPRBlocks: 5
; VGPRBlocks: 12
; NumSGPRsForWavesPerEU: 48
; NumVGPRsForWavesPerEU: 100
; AccumOffset: 100
; Occupancy: 4
; WaveLimiterHint : 0
; COMPUTE_PGM_RSRC2:SCRATCH_EN: 0
; COMPUTE_PGM_RSRC2:USER_SGPR: 6
; COMPUTE_PGM_RSRC2:TRAP_HANDLER: 0
; COMPUTE_PGM_RSRC2:TGID_X_EN: 1
; COMPUTE_PGM_RSRC2:TGID_Y_EN: 1
; COMPUTE_PGM_RSRC2:TGID_Z_EN: 0
; COMPUTE_PGM_RSRC2:TIDIG_COMP_CNT: 1
; COMPUTE_PGM_RSRC3_GFX90A:ACCUM_OFFSET: 24
; COMPUTE_PGM_RSRC3_GFX90A:TG_SPLIT: 0
	.section	.text._ZN2at6native12_GLOBAL__N_135GammaBetaBackwardCUDAKernelTemplateIN3c104HalfEfLj64ELj16ELj256ELb0ELb1ELb0EEEvllPKT_S7_PKT0_SA_PS5_SB_,"axG",@progbits,_ZN2at6native12_GLOBAL__N_135GammaBetaBackwardCUDAKernelTemplateIN3c104HalfEfLj64ELj16ELj256ELb0ELb1ELb0EEEvllPKT_S7_PKT0_SA_PS5_SB_,comdat
	.globl	_ZN2at6native12_GLOBAL__N_135GammaBetaBackwardCUDAKernelTemplateIN3c104HalfEfLj64ELj16ELj256ELb0ELb1ELb0EEEvllPKT_S7_PKT0_SA_PS5_SB_ ; -- Begin function _ZN2at6native12_GLOBAL__N_135GammaBetaBackwardCUDAKernelTemplateIN3c104HalfEfLj64ELj16ELj256ELb0ELb1ELb0EEEvllPKT_S7_PKT0_SA_PS5_SB_
	.p2align	8
	.type	_ZN2at6native12_GLOBAL__N_135GammaBetaBackwardCUDAKernelTemplateIN3c104HalfEfLj64ELj16ELj256ELb0ELb1ELb0EEEvllPKT_S7_PKT0_SA_PS5_SB_,@function
_ZN2at6native12_GLOBAL__N_135GammaBetaBackwardCUDAKernelTemplateIN3c104HalfEfLj64ELj16ELj256ELb0ELb1ELb0EEEvllPKT_S7_PKT0_SA_PS5_SB_: ; @_ZN2at6native12_GLOBAL__N_135GammaBetaBackwardCUDAKernelTemplateIN3c104HalfEfLj64ELj16ELj256ELb0ELb1ELb0EEEvllPKT_S7_PKT0_SA_PS5_SB_
; %bb.0:
	s_load_dwordx4 s[20:23], s[4:5], 0x0
	s_lshl_b32 s2, s7, 8
	s_mov_b32 s3, 0
	v_bfe_u32 v24, v0, 10, 10
	s_waitcnt lgkmcnt(0)
	v_pk_mov_b32 v[2:3], s[20:21], s[20:21] op_sel:[0,1]
	v_cmp_lt_i64_e32 vcc, s[2:3], v[2:3]
	s_cbranch_vccnz .LBB81_2
; %bb.1:
	s_mov_b64 s[0:1], 0
	v_bfe_u32 v4, v0, 10, 10
	s_branch .LBB81_3
.LBB81_2:
	s_mov_b64 s[0:1], -1
                                        ; implicit-def: $vgpr4
.LBB81_3:
	s_load_dwordx4 s[16:19], s[4:5], 0x30
	v_and_b32_e32 v22, 0x3ff, v0
	s_andn2_b64 vcc, exec, s[0:1]
	v_mov_b32_e32 v7, s3
	v_mbcnt_lo_u32_b32 v23, -1, 0
	v_mov_b32_e32 v6, s3
	s_cbranch_vccnz .LBB81_11
; %bb.4:
	s_load_dword s0, s[4:5], 0x4c
	s_load_dword s7, s[4:5], 0x44
	s_load_dwordx8 s[8:15], s[4:5], 0x10
	v_mbcnt_hi_u32_b32 v2, -1, v23
	v_lshlrev_b32_e32 v0, 4, v24
	s_waitcnt lgkmcnt(0)
	s_and_b32 s0, s0, 0xffff
	v_lshlrev_b32_e32 v2, 2, v2
	v_mad_u32_u24 v1, v24, s0, v22
	v_and_b32_e32 v25, 0x100, v2
	v_mov_b32_e32 v2, s3
	v_add_co_u32_e32 v4, vcc, s2, v0
	v_and_b32_e32 v1, 63, v1
	v_addc_co_u32_e32 v5, vcc, 0, v2, vcc
	v_add_co_u32_e32 v0, vcc, v4, v1
	v_cmp_gt_u32_e64 s[0:1], 16, v1
	s_lshl_b32 s4, s7, 8
	v_addc_co_u32_e32 v1, vcc, 0, v5, vcc
	v_mul_lo_u32 v8, s23, v4
	v_mul_lo_u32 v9, s22, v5
	v_mad_u64_u32 v[4:5], s[26:27], s22, v4, 0
	v_mov_b32_e32 v7, 0
	v_lshl_add_u32 v6, s6, 6, v22
	v_add3_u32 v5, v5, v9, v8
	s_mul_i32 s7, s23, s4
	s_mul_hi_u32 s26, s22, s4
	s_mov_b32 s5, 0
	v_lshlrev_b64 v[4:5], 1, v[4:5]
	v_lshlrev_b64 v[8:9], 1, v[6:7]
	s_add_i32 s27, s26, s7
	s_mul_i32 s26, s22, s4
	s_lshl_b64 s[24:25], s[4:5], 2
	v_add_co_u32_e32 v4, vcc, v4, v8
	s_lshl_b64 s[26:27], s[26:27], 1
	s_lshl_b64 s[22:23], s[22:23], 1
	v_or_b32_e32 v26, 4, v25
	v_or_b32_e32 v27, 8, v25
	v_or_b32_e32 v28, 12, v25
	v_or_b32_e32 v29, 16, v25
	v_or_b32_e32 v30, 20, v25
	v_or_b32_e32 v31, 24, v25
	v_or_b32_e32 v32, 28, v25
	v_or_b32_e32 v33, 32, v25
	v_or_b32_e32 v34, 36, v25
	v_or_b32_e32 v35, 40, v25
	v_or_b32_e32 v36, 44, v25
	v_or_b32_e32 v37, 48, v25
	v_or_b32_e32 v38, 52, v25
	v_or_b32_e32 v39, 56, v25
	v_or_b32_e32 v40, 60, v25
	v_lshlrev_b64 v[2:3], 2, v[0:1]
	v_addc_co_u32_e32 v5, vcc, v5, v9, vcc
	v_mov_b32_e32 v41, s9
	v_mov_b32_e32 v42, s11
	;; [unrolled: 1-line block ×7, first 2 shown]
	s_branch .LBB81_7
.LBB81_5:                               ;   in Loop: Header=BB81_7 Depth=1
	s_or_b64 exec, exec, s[30:31]
.LBB81_6:                               ;   in Loop: Header=BB81_7 Depth=1
	s_or_b64 exec, exec, s[28:29]
	v_add_co_u32_e32 v8, vcc, s8, v4
	v_addc_co_u32_e32 v9, vcc, v41, v5, vcc
	v_add_co_u32_e32 v10, vcc, s10, v4
	v_addc_co_u32_e32 v11, vcc, v42, v5, vcc
	global_load_ushort v14, v[8:9], off
	v_add_co_u32_e32 v8, vcc, s22, v8
	v_addc_co_u32_e32 v9, vcc, v9, v43, vcc
	global_load_ushort v15, v[10:11], off
	;; [unrolled: 3-line block ×3, first 2 shown]
	global_load_ushort v17, v[8:9], off
	v_add_co_u32_e32 v8, vcc, s22, v8
	v_addc_co_u32_e32 v9, vcc, v9, v43, vcc
	v_add_co_u32_e32 v10, vcc, s22, v10
	v_addc_co_u32_e32 v11, vcc, v11, v43, vcc
	global_load_ushort v53, v[8:9], off
	global_load_ushort v54, v[10:11], off
	v_add_co_u32_e32 v8, vcc, s22, v8
	v_addc_co_u32_e32 v9, vcc, v9, v43, vcc
	v_add_co_u32_e32 v10, vcc, s22, v10
	v_addc_co_u32_e32 v11, vcc, v11, v43, vcc
	global_load_ushort v55, v[8:9], off
	;; [unrolled: 6-line block ×4, first 2 shown]
	global_load_ushort v20, v[10:11], off
	v_add_co_u32_e32 v8, vcc, s22, v8
	v_addc_co_u32_e32 v9, vcc, v9, v43, vcc
	v_add_co_u32_e32 v10, vcc, s22, v10
	v_addc_co_u32_e32 v11, vcc, v11, v43, vcc
	;; [unrolled: 2-line block ×3, first 2 shown]
	v_add_co_u32_e32 v50, vcc, s22, v10
	global_load_ushort v19, v[8:9], off
	global_load_ushort v18, v[10:11], off
	v_addc_co_u32_e32 v51, vcc, v11, v43, vcc
	s_waitcnt vmcnt(15)
	ds_bpermute_b32 v11, v25, v48
	global_load_ushort v16, v[12:13], off
	s_add_u32 s2, s2, s4
	s_addc_u32 s3, s3, 0
	s_waitcnt vmcnt(14)
	v_cvt_f32_f16_e32 v10, v14
	v_add_co_u32_e32 v14, vcc, s22, v12
	s_waitcnt vmcnt(13)
	v_cvt_f32_f16_e32 v9, v15
	v_addc_co_u32_e32 v15, vcc, v13, v43, vcc
	v_add_co_u32_e32 v12, vcc, s22, v50
	s_waitcnt vmcnt(12)
	v_cvt_f32_f16_e32 v58, v52
	ds_bpermute_b32 v52, v25, v47
	v_addc_co_u32_e32 v13, vcc, v51, v43, vcc
	s_waitcnt vmcnt(11)
	v_cvt_f32_f16_e32 v8, v17
	global_load_ushort v17, v[50:51], off
	v_add_co_u32_e32 v50, vcc, s22, v14
	s_waitcnt lgkmcnt(1)
	v_sub_f32_e32 v9, v9, v11
	v_addc_co_u32_e32 v51, vcc, v15, v43, vcc
	v_mul_f32_e32 v9, v9, v10
	global_load_ushort v59, v[14:15], off
	s_waitcnt lgkmcnt(0)
	v_mul_f32_e32 v11, v9, v52
	v_add_co_u32_e32 v52, vcc, s22, v12
	ds_bpermute_b32 v15, v27, v48
	s_waitcnt vmcnt(12)
	v_cvt_f32_f16_e32 v14, v53
	v_addc_co_u32_e32 v53, vcc, v13, v43, vcc
	global_load_ushort v60, v[12:13], off
	s_waitcnt vmcnt(12)
	v_cvt_f32_f16_e32 v13, v54
	ds_bpermute_b32 v9, v26, v48
	ds_bpermute_b32 v54, v27, v47
	ds_bpermute_b32 v12, v26, v47
	s_waitcnt lgkmcnt(3)
	v_sub_f32_e32 v13, v13, v15
	v_mul_f32_e32 v13, v13, v14
	s_waitcnt lgkmcnt(2)
	v_sub_f32_e32 v9, v58, v9
	s_waitcnt lgkmcnt(1)
	v_mul_f32_e32 v15, v13, v54
	ds_bpermute_b32 v13, v28, v48
	v_mul_f32_e32 v9, v9, v8
	s_waitcnt vmcnt(10)
	v_cvt_f32_f16_e32 v56, v56
	s_waitcnt lgkmcnt(1)
	v_mul_f32_e32 v9, v9, v12
	v_cvt_f32_f16_e32 v12, v55
	v_add_co_u32_e32 v54, vcc, s22, v50
	global_load_ushort v58, v[50:51], off
	ds_bpermute_b32 v50, v28, v47
	s_waitcnt lgkmcnt(1)
	v_sub_f32_e32 v13, v56, v13
	v_addc_co_u32_e32 v55, vcc, v51, v43, vcc
	v_mul_f32_e32 v13, v13, v12
	ds_bpermute_b32 v56, v29, v48
	s_waitcnt vmcnt(9)
	v_cvt_f32_f16_e32 v57, v57
	s_waitcnt lgkmcnt(1)
	v_mul_f32_e32 v13, v13, v50
	v_add_co_u32_e32 v50, vcc, s22, v52
	v_addc_co_u32_e32 v51, vcc, v53, v43, vcc
	global_load_ushort v61, v[52:53], off
	v_cvt_f32_f16_e32 v52, v49
	ds_bpermute_b32 v53, v29, v47
	s_waitcnt lgkmcnt(1)
	v_sub_f32_e32 v49, v57, v56
	v_add_co_u32_e32 v56, vcc, s22, v54
	v_mul_f32_e32 v49, v49, v52
	s_waitcnt lgkmcnt(0)
	v_mul_f32_e32 v53, v49, v53
	global_load_ushort v49, v[54:55], off
	v_addc_co_u32_e32 v57, vcc, v55, v43, vcc
	global_load_ushort v62, v[50:51], off
	v_add_co_u32_e32 v54, vcc, s22, v50
	v_addc_co_u32_e32 v55, vcc, v51, v43, vcc
	v_pk_add_f32 v[6:7], v[6:7], v[10:11]
	v_add_co_u32_e32 v10, vcc, s22, v56
	v_addc_co_u32_e32 v11, vcc, v57, v43, vcc
	v_add_co_u32_e32 v50, vcc, s22, v54
	global_load_ushort v54, v[54:55], off
	v_addc_co_u32_e32 v51, vcc, v55, v43, vcc
	global_load_ushort v56, v[56:57], off
	v_pk_add_f32 v[6:7], v[6:7], v[8:9]
	v_add_co_u32_e32 v8, vcc, s22, v10
	v_addc_co_u32_e32 v9, vcc, v11, v43, vcc
	global_load_ushort v55, v[10:11], off
	v_add_co_u32_e32 v10, vcc, s22, v50
	v_addc_co_u32_e32 v11, vcc, v51, v43, vcc
	global_load_ushort v51, v[50:51], off
	v_pk_add_f32 v[6:7], v[6:7], v[14:15]
	v_add_co_u32_e32 v14, vcc, s22, v8
	v_addc_co_u32_e32 v15, vcc, v9, v43, vcc
	global_load_ushort v57, v[8:9], off
	v_add_co_u32_e32 v8, vcc, s22, v10
	global_load_ushort v63, v[10:11], off
	v_addc_co_u32_e32 v9, vcc, v11, v43, vcc
	v_add_co_u32_e32 v10, vcc, s22, v14
	v_addc_co_u32_e32 v11, vcc, v15, v43, vcc
	global_load_ushort v64, v[14:15], off
	v_add_co_u32_e32 v14, vcc, s22, v8
	v_addc_co_u32_e32 v15, vcc, v9, v43, vcc
	global_load_ushort v65, v[8:9], off
	global_load_ushort v66, v[10:11], off
	;; [unrolled: 1-line block ×3, first 2 shown]
	v_pk_add_f32 v[8:9], v[6:7], v[12:13]
	ds_bpermute_b32 v12, v30, v48
	s_waitcnt vmcnt(20)
	v_cvt_f32_f16_e32 v7, v20
	v_cvt_f32_f16_e32 v6, v21
	v_pk_add_f32 v[10:11], v[8:9], v[52:53]
	ds_bpermute_b32 v9, v30, v47
	s_waitcnt lgkmcnt(1)
	v_sub_f32_e32 v7, v7, v12
	ds_bpermute_b32 v14, v31, v48
	s_waitcnt vmcnt(18)
	v_cvt_f32_f16_e32 v13, v18
	v_mul_f32_e32 v7, v7, v6
	v_cvt_f32_f16_e32 v8, v19
	s_waitcnt lgkmcnt(1)
	v_mul_f32_e32 v7, v7, v9
	ds_bpermute_b32 v9, v31, v47
	s_waitcnt vmcnt(17)
	v_cvt_f32_f16_e32 v12, v16
	s_waitcnt lgkmcnt(1)
	v_sub_f32_e32 v13, v13, v14
	ds_bpermute_b32 v16, v32, v48
	s_waitcnt vmcnt(16)
	v_cvt_f32_f16_e32 v15, v17
	v_mul_f32_e32 v13, v13, v8
	s_waitcnt lgkmcnt(1)
	v_mul_f32_e32 v9, v13, v9
	ds_bpermute_b32 v13, v32, v47
	s_waitcnt lgkmcnt(1)
	v_sub_f32_e32 v15, v15, v16
	ds_bpermute_b32 v18, v33, v48
	s_waitcnt vmcnt(14)
	v_cvt_f32_f16_e32 v17, v60
	v_mul_f32_e32 v15, v15, v12
	v_cvt_f32_f16_e32 v14, v59
	s_waitcnt lgkmcnt(1)
	v_mul_f32_e32 v13, v15, v13
	ds_bpermute_b32 v15, v33, v47
	s_waitcnt lgkmcnt(1)
	v_sub_f32_e32 v17, v17, v18
	ds_bpermute_b32 v20, v34, v48
	s_waitcnt vmcnt(12)
	v_cvt_f32_f16_e32 v19, v61
	v_mul_f32_e32 v17, v17, v14
	v_cvt_f32_f16_e32 v16, v58
	s_waitcnt lgkmcnt(1)
	v_mul_f32_e32 v15, v17, v15
	ds_bpermute_b32 v17, v34, v47
	s_waitcnt vmcnt(11)
	v_cvt_f32_f16_e32 v18, v49
	s_waitcnt lgkmcnt(1)
	v_sub_f32_e32 v19, v19, v20
	ds_bpermute_b32 v49, v35, v48
	s_waitcnt vmcnt(10)
	v_cvt_f32_f16_e32 v21, v62
	v_mul_f32_e32 v19, v19, v16
	s_waitcnt lgkmcnt(1)
	v_mul_f32_e32 v17, v19, v17
	ds_bpermute_b32 v19, v35, v47
	s_waitcnt lgkmcnt(1)
	v_sub_f32_e32 v21, v21, v49
	ds_bpermute_b32 v49, v36, v48
	v_mul_f32_e32 v21, v21, v18
	s_waitcnt vmcnt(9)
	v_cvt_f32_f16_e32 v52, v54
	s_waitcnt lgkmcnt(1)
	v_mul_f32_e32 v19, v21, v19
	ds_bpermute_b32 v21, v36, v47
	s_waitcnt vmcnt(8)
	v_cvt_f32_f16_e32 v20, v56
	s_waitcnt lgkmcnt(1)
	v_sub_f32_e32 v49, v52, v49
	ds_bpermute_b32 v53, v37, v48
	v_pk_add_f32 v[6:7], v[10:11], v[6:7]
	v_mul_f32_e32 v49, v49, v20
	s_waitcnt lgkmcnt(1)
	v_mul_f32_e32 v21, v49, v21
	s_waitcnt vmcnt(7)
	v_cvt_f32_f16_e32 v50, v55
	ds_bpermute_b32 v49, v37, v47
	v_pk_add_f32 v[6:7], v[6:7], v[8:9]
	ds_bpermute_b32 v8, v40, v48
	v_pk_add_f32 v[6:7], v[6:7], v[12:13]
	s_waitcnt vmcnt(6)
	v_cvt_f32_f16_e32 v51, v51
	v_pk_add_f32 v[6:7], v[6:7], v[14:15]
	ds_bpermute_b32 v9, v40, v47
	v_add_co_u32_e32 v2, vcc, s24, v2
	s_waitcnt lgkmcnt(3)
	v_sub_f32_e32 v51, v51, v53
	ds_bpermute_b32 v53, v38, v48
	v_mul_f32_e32 v51, v51, v50
	s_waitcnt vmcnt(5)
	v_cvt_f32_f16_e32 v52, v57
	s_waitcnt vmcnt(4)
	v_cvt_f32_f16_e32 v55, v63
	s_waitcnt lgkmcnt(3)
	v_mul_f32_e32 v51, v51, v49
	ds_bpermute_b32 v49, v38, v47
	v_pk_add_f32 v[6:7], v[6:7], v[16:17]
	s_waitcnt lgkmcnt(1)
	v_sub_f32_e32 v53, v55, v53
	ds_bpermute_b32 v55, v39, v48
	v_mul_f32_e32 v53, v53, v52
	s_waitcnt vmcnt(3)
	v_cvt_f32_f16_e32 v54, v64
	s_waitcnt lgkmcnt(1)
	v_mul_f32_e32 v53, v53, v49
	ds_bpermute_b32 v49, v39, v47
	s_waitcnt vmcnt(2)
	v_cvt_f32_f16_e32 v57, v65
	s_waitcnt vmcnt(1)
	v_cvt_f32_f16_e32 v56, v66
	s_waitcnt vmcnt(0)
	v_cvt_f32_f16_e32 v58, v67
	v_addc_co_u32_e32 v3, vcc, v3, v44, vcc
	v_pk_add_f32 v[6:7], v[6:7], v[18:19]
	v_add_co_u32_e32 v0, vcc, s4, v0
	s_waitcnt lgkmcnt(1)
	v_sub_f32_e32 v55, v57, v55
	v_pk_add_f32 v[6:7], v[6:7], v[20:21]
	v_sub_f32_e32 v8, v58, v8
	v_addc_co_u32_e32 v1, vcc, v1, v45, vcc
	v_mul_f32_e32 v55, v55, v54
	v_pk_add_f32 v[6:7], v[6:7], v[50:51]
	v_mul_f32_e32 v8, v8, v56
	v_add_co_u32_e32 v4, vcc, s26, v4
	s_waitcnt lgkmcnt(0)
	v_mul_f32_e32 v55, v55, v49
	v_pk_add_f32 v[6:7], v[6:7], v[52:53]
	v_mul_f32_e32 v57, v8, v9
	v_addc_co_u32_e32 v5, vcc, v5, v46, vcc
	v_pk_mov_b32 v[8:9], s[20:21], s[20:21] op_sel:[0,1]
	v_pk_add_f32 v[6:7], v[6:7], v[54:55]
	v_cmp_lt_i64_e32 vcc, s[2:3], v[8:9]
	v_pk_add_f32 v[6:7], v[6:7], v[56:57]
	s_cbranch_vccz .LBB81_10
.LBB81_7:                               ; =>This Inner Loop Header: Depth=1
	v_mov_b32_e32 v47, 0
	v_mov_b32_e32 v48, 0
	s_and_saveexec_b64 s[28:29], s[0:1]
	s_cbranch_execz .LBB81_6
; %bb.8:                                ;   in Loop: Header=BB81_7 Depth=1
	v_cmp_gt_i64_e32 vcc, s[20:21], v[0:1]
	v_mov_b32_e32 v48, 0
	v_mov_b32_e32 v47, 0
	s_and_saveexec_b64 s[30:31], vcc
	s_cbranch_execz .LBB81_5
; %bb.9:                                ;   in Loop: Header=BB81_7 Depth=1
	v_mov_b32_e32 v9, s15
	v_add_co_u32_e32 v8, vcc, s14, v2
	v_addc_co_u32_e32 v9, vcc, v9, v3, vcc
	v_mov_b32_e32 v11, s13
	v_add_co_u32_e32 v10, vcc, s12, v2
	v_addc_co_u32_e32 v11, vcc, v11, v3, vcc
	global_load_dword v48, v[10:11], off
	global_load_dword v47, v[8:9], off
	s_branch .LBB81_5
.LBB81_10:
	v_mov_b32_e32 v4, v24
.LBB81_11:
	s_movk_i32 s0, 0x41
	v_mad_u32_u24 v0, v4, s0, v22
	v_lshl_add_u32 v0, v0, 2, 0
	v_lshrrev_b32_e32 v5, 6, v22
	ds_write_b32 v0, v7
	ds_write_b32 v0, v6 offset:4160
	v_add_u32_e32 v0, v5, v4
	s_mov_b32 s7, 0
	v_cmp_gt_u32_e32 vcc, 64, v0
	s_waitcnt lgkmcnt(0)
	s_barrier
	s_and_saveexec_b64 s[0:1], vcc
	s_cbranch_execz .LBB81_21
; %bb.12:
	v_and_b32_e32 v1, 63, v22
	v_cmp_gt_u32_e64 s[0:1], 16, v1
	v_mul_u32_u24_e32 v11, 0x41, v1
	v_mbcnt_hi_u32_b32 v1, -1, v23
	v_and_b32_e32 v2, 64, v1
	v_add_u32_e32 v2, 64, v2
	v_xor_b32_e32 v3, 8, v1
	v_cmp_lt_i32_e32 vcc, v3, v2
	v_cndmask_b32_e32 v3, v1, v3, vcc
	v_lshlrev_b32_e32 v6, 2, v3
	v_xor_b32_e32 v3, 4, v1
	v_cmp_lt_i32_e32 vcc, v3, v2
	v_cndmask_b32_e32 v3, v1, v3, vcc
	v_lshlrev_b32_e32 v7, 2, v3
	;; [unrolled: 4-line block ×3, first 2 shown]
	v_xor_b32_e32 v3, 1, v1
	s_lshl_b64 s[4:5], s[6:7], 6
	v_cmp_lt_i32_e32 vcc, v3, v2
	v_cndmask_b32_e32 v1, v1, v3, vcc
	v_add_u32_e32 v10, -16, v0
	v_or_b32_e32 v0, s4, v5
	v_lshlrev_b32_e32 v9, 2, v1
	v_mov_b32_e32 v1, s5
	v_add_co_u32_e32 v0, vcc, v0, v4
	v_addc_co_u32_e32 v1, vcc, 0, v1, vcc
	s_cmp_lg_u64 s[16:17], 0
	v_lshlrev_b64 v[2:3], 1, v[0:1]
	s_cselect_b64 s[6:7], -1, 0
	s_cmp_lg_u64 s[18:19], 0
	v_mov_b32_e32 v1, s19
	v_add_co_u32_e32 v0, vcc, s18, v2
	v_add3_u32 v4, v11, v4, v5
	v_addc_co_u32_e32 v1, vcc, v1, v3, vcc
	v_lshl_add_u32 v11, v4, 2, 0
	v_cndmask_b32_e64 v4, 0, 1, s[6:7]
	s_cselect_b64 s[6:7], -1, 0
	v_mov_b32_e32 v12, s17
	v_add_co_u32_e32 v2, vcc, s16, v2
	v_cmp_ne_u32_e64 s[4:5], 1, v4
	v_cndmask_b32_e64 v4, 0, 1, s[6:7]
	v_cmp_eq_u32_e64 s[2:3], 0, v22
	s_mov_b64 s[8:9], 0
	v_addc_co_u32_e32 v3, vcc, v12, v3, vcc
	v_cmp_ne_u32_e64 s[6:7], 1, v4
                                        ; implicit-def: $vgpr4
	s_branch .LBB81_14
.LBB81_13:                              ;   in Loop: Header=BB81_14 Depth=1
	s_or_b64 exec, exec, s[10:11]
	v_add_co_u32_e32 v0, vcc, 32, v0
	v_addc_co_u32_e32 v1, vcc, 0, v1, vcc
	v_add_co_u32_e32 v2, vcc, 32, v2
	v_add_u32_e32 v10, 16, v10
	v_addc_co_u32_e32 v3, vcc, 0, v3, vcc
	v_cmp_lt_u32_e32 vcc, 47, v10
	s_or_b64 s[8:9], vcc, s[8:9]
	v_add_u32_e32 v11, 64, v11
	s_andn2_b64 exec, exec, s[8:9]
	s_cbranch_execz .LBB81_21
.LBB81_14:                              ; =>This Inner Loop Header: Depth=1
	s_and_saveexec_b64 s[10:11], s[0:1]
	s_cbranch_execz .LBB81_16
; %bb.15:                               ;   in Loop: Header=BB81_14 Depth=1
	ds_read_b32 v5, v11
	ds_read_b32 v4, v11 offset:4160
.LBB81_16:                              ;   in Loop: Header=BB81_14 Depth=1
	s_or_b64 exec, exec, s[10:11]
	s_waitcnt lgkmcnt(1)
	ds_bpermute_b32 v13, v6, v5
	s_waitcnt lgkmcnt(1)
	ds_bpermute_b32 v12, v6, v4
	s_waitcnt lgkmcnt(0)
	v_pk_add_f32 v[4:5], v[4:5], v[12:13]
	ds_bpermute_b32 v13, v7, v5
	ds_bpermute_b32 v12, v7, v4
	s_waitcnt lgkmcnt(0)
	v_pk_add_f32 v[4:5], v[4:5], v[12:13]
	ds_bpermute_b32 v13, v8, v5
	;; [unrolled: 4-line block ×3, first 2 shown]
	ds_bpermute_b32 v12, v9, v4
	s_waitcnt lgkmcnt(0)
	v_pk_add_f32 v[4:5], v[4:5], v[12:13]
	s_and_saveexec_b64 s[10:11], s[2:3]
	s_cbranch_execz .LBB81_13
; %bb.17:                               ;   in Loop: Header=BB81_14 Depth=1
	s_and_b64 vcc, exec, s[4:5]
	s_cbranch_vccnz .LBB81_19
; %bb.18:                               ;   in Loop: Header=BB81_14 Depth=1
	v_cvt_f16_f32_e32 v12, v5
	global_store_short v[2:3], v12, off
.LBB81_19:                              ;   in Loop: Header=BB81_14 Depth=1
	s_and_b64 vcc, exec, s[6:7]
	s_cbranch_vccnz .LBB81_13
; %bb.20:                               ;   in Loop: Header=BB81_14 Depth=1
	v_cvt_f16_f32_e32 v12, v4
	global_store_short v[0:1], v12, off
	s_branch .LBB81_13
.LBB81_21:
	s_endpgm
	.section	.rodata,"a",@progbits
	.p2align	6, 0x0
	.amdhsa_kernel _ZN2at6native12_GLOBAL__N_135GammaBetaBackwardCUDAKernelTemplateIN3c104HalfEfLj64ELj16ELj256ELb0ELb1ELb0EEEvllPKT_S7_PKT0_SA_PS5_SB_
		.amdhsa_group_segment_fixed_size 0
		.amdhsa_private_segment_fixed_size 0
		.amdhsa_kernarg_size 320
		.amdhsa_user_sgpr_count 6
		.amdhsa_user_sgpr_private_segment_buffer 1
		.amdhsa_user_sgpr_dispatch_ptr 0
		.amdhsa_user_sgpr_queue_ptr 0
		.amdhsa_user_sgpr_kernarg_segment_ptr 1
		.amdhsa_user_sgpr_dispatch_id 0
		.amdhsa_user_sgpr_flat_scratch_init 0
		.amdhsa_user_sgpr_kernarg_preload_length 0
		.amdhsa_user_sgpr_kernarg_preload_offset 0
		.amdhsa_user_sgpr_private_segment_size 0
		.amdhsa_uses_dynamic_stack 0
		.amdhsa_system_sgpr_private_segment_wavefront_offset 0
		.amdhsa_system_sgpr_workgroup_id_x 1
		.amdhsa_system_sgpr_workgroup_id_y 1
		.amdhsa_system_sgpr_workgroup_id_z 0
		.amdhsa_system_sgpr_workgroup_info 0
		.amdhsa_system_vgpr_workitem_id 1
		.amdhsa_next_free_vgpr 68
		.amdhsa_next_free_sgpr 32
		.amdhsa_accum_offset 68
		.amdhsa_reserve_vcc 1
		.amdhsa_reserve_flat_scratch 0
		.amdhsa_float_round_mode_32 0
		.amdhsa_float_round_mode_16_64 0
		.amdhsa_float_denorm_mode_32 3
		.amdhsa_float_denorm_mode_16_64 3
		.amdhsa_dx10_clamp 1
		.amdhsa_ieee_mode 1
		.amdhsa_fp16_overflow 0
		.amdhsa_tg_split 0
		.amdhsa_exception_fp_ieee_invalid_op 0
		.amdhsa_exception_fp_denorm_src 0
		.amdhsa_exception_fp_ieee_div_zero 0
		.amdhsa_exception_fp_ieee_overflow 0
		.amdhsa_exception_fp_ieee_underflow 0
		.amdhsa_exception_fp_ieee_inexact 0
		.amdhsa_exception_int_div_zero 0
	.end_amdhsa_kernel
	.section	.text._ZN2at6native12_GLOBAL__N_135GammaBetaBackwardCUDAKernelTemplateIN3c104HalfEfLj64ELj16ELj256ELb0ELb1ELb0EEEvllPKT_S7_PKT0_SA_PS5_SB_,"axG",@progbits,_ZN2at6native12_GLOBAL__N_135GammaBetaBackwardCUDAKernelTemplateIN3c104HalfEfLj64ELj16ELj256ELb0ELb1ELb0EEEvllPKT_S7_PKT0_SA_PS5_SB_,comdat
.Lfunc_end81:
	.size	_ZN2at6native12_GLOBAL__N_135GammaBetaBackwardCUDAKernelTemplateIN3c104HalfEfLj64ELj16ELj256ELb0ELb1ELb0EEEvllPKT_S7_PKT0_SA_PS5_SB_, .Lfunc_end81-_ZN2at6native12_GLOBAL__N_135GammaBetaBackwardCUDAKernelTemplateIN3c104HalfEfLj64ELj16ELj256ELb0ELb1ELb0EEEvllPKT_S7_PKT0_SA_PS5_SB_
                                        ; -- End function
	.section	.AMDGPU.csdata,"",@progbits
; Kernel info:
; codeLenInByte = 2544
; NumSgprs: 36
; NumVgprs: 68
; NumAgprs: 0
; TotalNumVgprs: 68
; ScratchSize: 0
; MemoryBound: 0
; FloatMode: 240
; IeeeMode: 1
; LDSByteSize: 0 bytes/workgroup (compile time only)
; SGPRBlocks: 4
; VGPRBlocks: 8
; NumSGPRsForWavesPerEU: 36
; NumVGPRsForWavesPerEU: 68
; AccumOffset: 68
; Occupancy: 7
; WaveLimiterHint : 0
; COMPUTE_PGM_RSRC2:SCRATCH_EN: 0
; COMPUTE_PGM_RSRC2:USER_SGPR: 6
; COMPUTE_PGM_RSRC2:TRAP_HANDLER: 0
; COMPUTE_PGM_RSRC2:TGID_X_EN: 1
; COMPUTE_PGM_RSRC2:TGID_Y_EN: 1
; COMPUTE_PGM_RSRC2:TGID_Z_EN: 0
; COMPUTE_PGM_RSRC2:TIDIG_COMP_CNT: 1
; COMPUTE_PGM_RSRC3_GFX90A:ACCUM_OFFSET: 16
; COMPUTE_PGM_RSRC3_GFX90A:TG_SPLIT: 0
	.section	.text._ZN2at6native12_GLOBAL__N_135GammaBetaBackwardCUDAKernelTemplateIN3c104HalfEfLj64ELj16ELj256ELb0ELb0ELb0EEEvllPKT_S7_PKT0_SA_PS5_SB_,"axG",@progbits,_ZN2at6native12_GLOBAL__N_135GammaBetaBackwardCUDAKernelTemplateIN3c104HalfEfLj64ELj16ELj256ELb0ELb0ELb0EEEvllPKT_S7_PKT0_SA_PS5_SB_,comdat
	.globl	_ZN2at6native12_GLOBAL__N_135GammaBetaBackwardCUDAKernelTemplateIN3c104HalfEfLj64ELj16ELj256ELb0ELb0ELb0EEEvllPKT_S7_PKT0_SA_PS5_SB_ ; -- Begin function _ZN2at6native12_GLOBAL__N_135GammaBetaBackwardCUDAKernelTemplateIN3c104HalfEfLj64ELj16ELj256ELb0ELb0ELb0EEEvllPKT_S7_PKT0_SA_PS5_SB_
	.p2align	8
	.type	_ZN2at6native12_GLOBAL__N_135GammaBetaBackwardCUDAKernelTemplateIN3c104HalfEfLj64ELj16ELj256ELb0ELb0ELb0EEEvllPKT_S7_PKT0_SA_PS5_SB_,@function
_ZN2at6native12_GLOBAL__N_135GammaBetaBackwardCUDAKernelTemplateIN3c104HalfEfLj64ELj16ELj256ELb0ELb0ELb0EEEvllPKT_S7_PKT0_SA_PS5_SB_: ; @_ZN2at6native12_GLOBAL__N_135GammaBetaBackwardCUDAKernelTemplateIN3c104HalfEfLj64ELj16ELj256ELb0ELb0ELb0EEEvllPKT_S7_PKT0_SA_PS5_SB_
; %bb.0:
	s_mov_b64 s[54:55], s[2:3]
	s_load_dwordx8 s[36:43], s[4:5], 0x0
	s_load_dwordx4 s[28:31], s[4:5], 0x20
	s_mov_b64 s[52:53], s[0:1]
	s_add_u32 s52, s52, s8
	s_addc_u32 s53, s53, 0
	s_lshl_b32 s33, s6, 6
	s_mov_b32 s12, 0
	v_mov_b32_e32 v122, v0
	s_or_b32 s0, s33, 63
	s_mov_b32 s1, s12
	s_waitcnt lgkmcnt(0)
	v_pk_mov_b32 v[0:1], s[38:39], s[38:39] op_sel:[0,1]
	v_cmp_ge_i64_e32 vcc, s[0:1], v[0:1]
	s_lshl_b32 s34, s7, 8
	s_mov_b32 s35, s12
	v_pk_mov_b32 v[0:1], s[36:37], s[36:37] op_sel:[0,1]
	v_cmp_lt_i64_e64 s[0:1], s[34:35], v[0:1]
	v_cndmask_b32_e64 v0, 0, 1, s[0:1]
	v_cmp_ne_u32_e64 s[0:1], 1, v0
	s_cbranch_vccz .LBB82_80
; %bb.1:
	v_mov_b32_e32 v125, 0
	s_and_b64 vcc, exec, s[0:1]
	v_mov_b32_e32 v124, v125
	s_cbranch_vccnz .LBB82_81
; %bb.2:
	v_bfe_u32 v0, v122, 10, 10
	v_lshlrev_b32_e32 v50, 4, v0
	v_mov_b32_e32 v1, s35
	v_add_co_u32_e32 v2, vcc, s34, v50
	v_addc_co_u32_e32 v8, vcc, 0, v1, vcc
	v_add_co_u32_e32 v1, vcc, 15, v2
	v_addc_co_u32_e32 v3, vcc, 0, v8, vcc
	v_mul_lo_u32 v6, s39, v1
	v_mul_lo_u32 v3, s38, v3
	v_mad_u64_u32 v[4:5], s[2:3], s38, v1, 0
	v_add3_u32 v5, v5, v3, v6
	v_lshlrev_b64 v[6:7], 1, v[4:5]
	v_mov_b32_e32 v3, s41
	v_add_co_u32_e32 v52, vcc, s40, v6
	v_addc_co_u32_e32 v1, vcc, v3, v7, vcc
	v_mov_b32_e32 v4, s43
	v_add_co_u32_e32 v54, vcc, s42, v6
	v_addc_co_u32_e32 v51, vcc, v4, v7, vcc
	v_add_co_u32_e32 v5, vcc, 14, v2
	v_addc_co_u32_e32 v6, vcc, 0, v8, vcc
	v_mul_lo_u32 v9, s39, v5
	v_mul_lo_u32 v10, s38, v6
	v_mad_u64_u32 v[6:7], s[2:3], s38, v5, 0
	v_add3_u32 v7, v7, v10, v9
	v_lshlrev_b64 v[6:7], 1, v[6:7]
	v_add_co_u32_e32 v56, vcc, s40, v6
	v_addc_co_u32_e32 v53, vcc, v3, v7, vcc
	v_add_co_u32_e32 v58, vcc, s42, v6
	v_addc_co_u32_e32 v55, vcc, v4, v7, vcc
	v_add_co_u32_e32 v5, vcc, 13, v2
	v_addc_co_u32_e32 v6, vcc, 0, v8, vcc
	v_mul_lo_u32 v9, s39, v5
	v_mul_lo_u32 v10, s38, v6
	v_mad_u64_u32 v[6:7], s[2:3], s38, v5, 0
	v_add3_u32 v7, v7, v10, v9
	v_lshlrev_b64 v[6:7], 1, v[6:7]
	v_add_co_u32_e32 v60, vcc, s40, v6
	v_addc_co_u32_e32 v57, vcc, v3, v7, vcc
	;; [unrolled: 11-line block ×13, first 2 shown]
	v_add_co_u32_e32 v106, vcc, s42, v6
	v_addc_co_u32_e32 v103, vcc, v4, v7, vcc
	v_pk_mov_b32 v[6:7], s[38:39], s[38:39] op_sel:[0,1]
	v_mad_u64_u32 v[6:7], s[2:3], s38, v2, v[6:7]
	v_mul_lo_u32 v5, s38, v8
	v_mul_lo_u32 v10, s39, v2
	v_add3_u32 v7, v10, v7, v5
	v_lshlrev_b64 v[6:7], 1, v[6:7]
	v_add_co_u32_e32 v108, vcc, s40, v6
	s_load_dword s7, s[4:5], 0x44
	v_mad_u64_u32 v[8:9], s[2:3], s38, v2, 0
	v_addc_co_u32_e32 v105, vcc, v3, v7, vcc
	v_add3_u32 v9, v9, v5, v10
	v_add_co_u32_e32 v110, vcc, s42, v6
	v_addc_co_u32_e32 v107, vcc, v4, v7, vcc
	v_lshlrev_b64 v[6:7], 1, v[8:9]
	v_add_co_u32_e32 v112, vcc, s40, v6
	s_add_u32 s10, s4, 64
	v_addc_co_u32_e32 v109, vcc, v3, v7, vcc
	s_addc_u32 s11, s5, 0
	s_waitcnt lgkmcnt(0)
	s_lshl_b32 s7, s7, 8
	v_add_co_u32_e32 v114, vcc, s42, v6
	s_mul_i32 s8, s39, s7
	s_mul_hi_u32 s9, s38, s7
	v_addc_co_u32_e32 v111, vcc, v4, v7, vcc
	s_add_i32 s9, s9, s8
	s_mul_i32 s8, s38, s7
	v_mbcnt_lo_u32_b32 v4, -1, 0
	v_and_b32_e32 v113, 0x3ff, v122
	s_lshl_b64 s[44:45], s[8:9], 1
	v_mbcnt_hi_u32_b32 v4, -1, v4
	v_add_u32_e32 v2, s33, v113
	v_mov_b32_e32 v3, 0
	s_add_u32 s46, s34, 0xff
	v_lshlrev_b32_e32 v4, 2, v4
	v_cmp_gt_i64_e64 s[2:3], s[38:39], v[2:3]
	s_addc_u32 s47, 0, 0
	v_and_b32_e32 v115, 0x100, v4
	s_mov_b64 s[48:49], s[34:35]
	v_mov_b32_e32 v124, v3
	v_mov_b32_e32 v125, v3
	v_lshlrev_b64 v[116:117], 1, v[2:3]
	s_branch .LBB82_5
.LBB82_3:                               ;   in Loop: Header=BB82_5 Depth=1
	s_or_b64 exec, exec, s[8:9]
	s_waitcnt vmcnt(1)
	ds_bpermute_b32 v2, v115, v121
	ds_bpermute_b32 v4, v115, v121 offset:4
	s_waitcnt vmcnt(0)
	ds_bpermute_b32 v5, v115, v120
	ds_bpermute_b32 v6, v115, v120 offset:4
	ds_bpermute_b32 v8, v115, v120 offset:12
	s_waitcnt lgkmcnt(4)
	v_sub_f32_e32 v2, v18, v2
	v_mul_f32_e32 v2, v34, v2
	s_waitcnt lgkmcnt(3)
	v_sub_f32_e32 v4, v19, v4
	s_waitcnt lgkmcnt(2)
	v_mul_f32_e32 v5, v2, v5
	ds_bpermute_b32 v2, v115, v121 offset:8
	v_mul_f32_e32 v4, v35, v4
	s_waitcnt lgkmcnt(2)
	v_mul_f32_e32 v7, v4, v6
	ds_bpermute_b32 v4, v115, v120 offset:8
	ds_bpermute_b32 v6, v115, v121 offset:12
	s_waitcnt lgkmcnt(2)
	v_sub_f32_e32 v2, v20, v2
	v_mul_f32_e32 v2, v36, v2
	v_mov_b32_e32 v10, v37
	s_waitcnt lgkmcnt(1)
	v_mul_f32_e32 v9, v2, v4
	s_waitcnt lgkmcnt(0)
	v_sub_f32_e32 v2, v21, v6
	ds_bpermute_b32 v4, v115, v121 offset:16
	v_mul_f32_e32 v2, v37, v2
	v_mul_f32_e32 v11, v2, v8
	ds_bpermute_b32 v2, v115, v120 offset:16
	ds_bpermute_b32 v6, v115, v121 offset:20
	;; [unrolled: 1-line block ×3, first 2 shown]
	s_waitcnt lgkmcnt(3)
	v_sub_f32_e32 v4, v22, v4
	v_mul_f32_e32 v4, v38, v4
	s_waitcnt lgkmcnt(2)
	v_mul_f32_e32 v13, v4, v2
	s_waitcnt lgkmcnt(1)
	v_sub_f32_e32 v2, v23, v6
	v_mul_f32_e32 v2, v39, v2
	v_mov_b32_e32 v4, v34
	s_waitcnt lgkmcnt(0)
	v_mul_f32_e32 v15, v2, v8
	v_pk_add_f32 v[4:5], v[124:125], v[4:5]
	v_mov_b32_e32 v6, v35
	ds_bpermute_b32 v2, v115, v121 offset:24
	v_pk_add_f32 v[4:5], v[6:7], v[4:5]
	v_mov_b32_e32 v8, v36
	v_pk_add_f32 v[4:5], v[8:9], v[4:5]
	ds_bpermute_b32 v6, v115, v120 offset:24
	ds_bpermute_b32 v8, v115, v121 offset:28
	;; [unrolled: 1-line block ×3, first 2 shown]
	s_waitcnt lgkmcnt(3)
	v_sub_f32_e32 v2, v24, v2
	v_mul_f32_e32 v2, v40, v2
	s_waitcnt lgkmcnt(2)
	v_mul_f32_e32 v7, v2, v6
	s_waitcnt lgkmcnt(1)
	v_sub_f32_e32 v2, v25, v8
	ds_bpermute_b32 v6, v115, v121 offset:32
	v_mul_f32_e32 v2, v41, v2
	s_waitcnt lgkmcnt(1)
	v_mul_f32_e32 v9, v2, v9
	ds_bpermute_b32 v2, v115, v120 offset:32
	ds_bpermute_b32 v8, v115, v121 offset:36
	v_pk_add_f32 v[4:5], v[10:11], v[4:5]
	ds_bpermute_b32 v10, v115, v120 offset:36
	s_waitcnt lgkmcnt(3)
	v_sub_f32_e32 v6, v26, v6
	v_mul_f32_e32 v6, v42, v6
	s_waitcnt lgkmcnt(2)
	v_mul_f32_e32 v11, v6, v2
	s_waitcnt lgkmcnt(1)
	v_sub_f32_e32 v2, v27, v8
	ds_bpermute_b32 v6, v115, v121 offset:40
	v_mov_b32_e32 v12, v38
	v_mul_f32_e32 v2, v43, v2
	v_pk_add_f32 v[4:5], v[12:13], v[4:5]
	s_waitcnt lgkmcnt(1)
	v_mul_f32_e32 v13, v2, v10
	ds_bpermute_b32 v2, v115, v120 offset:40
	ds_bpermute_b32 v8, v115, v121 offset:44
	;; [unrolled: 1-line block ×3, first 2 shown]
	s_waitcnt lgkmcnt(3)
	v_sub_f32_e32 v6, v28, v6
	v_mov_b32_e32 v14, v39
	v_mul_f32_e32 v6, v44, v6
	v_pk_add_f32 v[4:5], v[14:15], v[4:5]
	s_waitcnt lgkmcnt(2)
	v_mul_f32_e32 v15, v6, v2
	s_waitcnt lgkmcnt(1)
	v_sub_f32_e32 v2, v29, v8
	ds_bpermute_b32 v6, v115, v121 offset:48
	v_mul_f32_e32 v2, v45, v2
	s_waitcnt lgkmcnt(1)
	v_mul_f32_e32 v17, v2, v10
	ds_bpermute_b32 v2, v115, v120 offset:48
	ds_bpermute_b32 v8, v115, v121 offset:52
	;; [unrolled: 1-line block ×3, first 2 shown]
	s_waitcnt lgkmcnt(3)
	v_sub_f32_e32 v6, v30, v6
	v_mul_f32_e32 v6, v46, v6
	s_waitcnt lgkmcnt(2)
	v_mul_f32_e32 v19, v6, v2
	s_waitcnt lgkmcnt(1)
	v_sub_f32_e32 v2, v31, v8
	v_mul_f32_e32 v2, v47, v2
	v_mov_b32_e32 v6, v40
	s_waitcnt lgkmcnt(0)
	v_mul_f32_e32 v21, v2, v10
	v_pk_add_f32 v[4:5], v[6:7], v[4:5]
	v_mov_b32_e32 v8, v41
	ds_bpermute_b32 v2, v115, v121 offset:56
	v_pk_add_f32 v[4:5], v[8:9], v[4:5]
	v_mov_b32_e32 v10, v42
	v_pk_add_f32 v[4:5], v[10:11], v[4:5]
	v_mov_b32_e32 v12, v43
	ds_bpermute_b32 v7, v115, v120 offset:56
	v_pk_add_f32 v[4:5], v[12:13], v[4:5]
	v_mov_b32_e32 v14, v44
	v_pk_add_f32 v[4:5], v[14:15], v[4:5]
	v_mov_b32_e32 v16, v45
	;; [unrolled: 2-line block ×3, first 2 shown]
	s_waitcnt lgkmcnt(1)
	v_sub_f32_e32 v8, v32, v2
	v_pk_add_f32 v[4:5], v[18:19], v[4:5]
	v_mov_b32_e32 v20, v47
	v_mul_f32_e32 v8, v48, v8
	v_pk_add_f32 v[4:5], v[20:21], v[4:5]
	s_waitcnt lgkmcnt(0)
	v_mul_f32_e32 v9, v8, v7
	v_mov_b32_e32 v8, v48
	ds_bpermute_b32 v2, v115, v120 offset:60
	ds_bpermute_b32 v6, v115, v121 offset:60
	v_pk_add_f32 v[4:5], v[8:9], v[4:5]
.LBB82_4:                               ;   in Loop: Header=BB82_5 Depth=1
	s_waitcnt lgkmcnt(0)
	v_sub_f32_e32 v6, v33, v6
	v_mul_f32_e32 v7, v49, v6
	v_mul_f32_e32 v7, v7, v2
	v_mov_b32_e32 v2, s45
	v_add_co_u32_e64 v52, s[8:9], s44, v52
	v_addc_co_u32_e64 v1, s[8:9], v1, v2, s[8:9]
	v_add_co_u32_e64 v54, s[8:9], s44, v54
	v_addc_co_u32_e64 v51, s[8:9], v51, v2, s[8:9]
	;; [unrolled: 2-line block ×30, first 2 shown]
	v_mov_b32_e32 v6, v49
	s_add_u32 s48, s48, s7
	v_add_co_u32_e64 v112, s[8:9], s44, v112
	v_pk_add_f32 v[124:125], v[4:5], v[6:7]
	s_addc_u32 s49, s49, 0
	v_pk_mov_b32 v[4:5], s[36:37], s[36:37] op_sel:[0,1]
	v_addc_co_u32_e64 v109, s[8:9], v109, v2, s[8:9]
	v_cmp_lt_i64_e32 vcc, s[48:49], v[4:5]
	v_add_co_u32_e64 v114, s[8:9], s44, v114
	s_add_u32 s46, s46, s7
	v_addc_co_u32_e64 v111, s[8:9], v111, v2, s[8:9]
	s_addc_u32 s47, s47, 0
	s_cbranch_vccz .LBB82_81
.LBB82_5:                               ; =>This Inner Loop Header: Depth=1
	v_pk_mov_b32 v[4:5], s[36:37], s[36:37] op_sel:[0,1]
	v_cmp_ge_i64_e32 vcc, s[46:47], v[4:5]
	v_mov_b32_e32 v2, s47
	v_add_co_u32_e64 v118, s[8:9], s46, v50
	v_addc_co_u32_e64 v119, s[8:9], 0, v2, s[8:9]
	s_cbranch_vccz .LBB82_43
; %bb.6:                                ;   in Loop: Header=BB82_5 Depth=1
	s_load_dword s8, s[10:11], 0xc
	v_mov_b32_e32 v120, 0
	v_mov_b32_e32 v121, 0
	s_waitcnt lgkmcnt(0)
	s_and_b32 s8, s8, 0xffff
	v_mad_u32_u24 v2, v0, s8, v113
	v_and_b32_e32 v2, 63, v2
	v_cmp_gt_u32_e32 vcc, 16, v2
	s_and_saveexec_b64 s[8:9], vcc
	s_cbranch_execz .LBB82_10
; %bb.7:                                ;   in Loop: Header=BB82_5 Depth=1
	v_add_co_u32_e32 v2, vcc, v118, v2
	v_addc_co_u32_e32 v5, vcc, 0, v119, vcc
	v_add_co_u32_e32 v4, vcc, 0xffffff01, v2
	v_addc_co_u32_e32 v5, vcc, -1, v5, vcc
	v_cmp_gt_i64_e32 vcc, s[36:37], v[4:5]
	v_mov_b32_e32 v121, 0
	v_mov_b32_e32 v120, 0
	s_and_saveexec_b64 s[14:15], vcc
	s_cbranch_execz .LBB82_9
; %bb.8:                                ;   in Loop: Header=BB82_5 Depth=1
	v_lshlrev_b64 v[4:5], 2, v[4:5]
	v_mov_b32_e32 v2, s31
	v_add_co_u32_e32 v6, vcc, s30, v4
	v_addc_co_u32_e32 v7, vcc, v2, v5, vcc
	v_mov_b32_e32 v2, s29
	v_add_co_u32_e32 v4, vcc, s28, v4
	v_addc_co_u32_e32 v5, vcc, v2, v5, vcc
	global_load_dword v121, v[4:5], off
	global_load_dword v120, v[6:7], off
.LBB82_9:                               ;   in Loop: Header=BB82_5 Depth=1
	s_or_b64 exec, exec, s[14:15]
.LBB82_10:                              ;   in Loop: Header=BB82_5 Depth=1
	s_or_b64 exec, exec, s[8:9]
	v_add_co_u32_e32 v4, vcc, 0xffffff01, v118
	s_mov_b32 s26, s12
	s_mov_b32 s27, s12
	v_addc_co_u32_e32 v5, vcc, -1, v119, vcc
	s_mov_b32 s13, s12
	s_mov_b32 s14, s12
	;; [unrolled: 1-line block ×13, first 2 shown]
	v_pk_mov_b32 v[32:33], s[26:27], s[26:27] op_sel:[0,1]
	v_cmp_gt_i64_e32 vcc, s[36:37], v[4:5]
	v_pk_mov_b32 v[30:31], s[24:25], s[24:25] op_sel:[0,1]
	v_pk_mov_b32 v[28:29], s[22:23], s[22:23] op_sel:[0,1]
	;; [unrolled: 1-line block ×8, first 2 shown]
	s_and_b64 s[50:51], s[2:3], vcc
	v_pk_mov_b32 v[46:47], v[30:31], v[30:31] op_sel:[0,1]
	v_pk_mov_b32 v[44:45], v[28:29], v[28:29] op_sel:[0,1]
	;; [unrolled: 1-line block ×7, first 2 shown]
	s_and_saveexec_b64 s[8:9], s[50:51]
	s_cbranch_execz .LBB82_12
; %bb.11:                               ;   in Loop: Header=BB82_5 Depth=1
	v_add_co_u32_e32 v4, vcc, v112, v116
	v_addc_co_u32_e32 v5, vcc, v109, v117, vcc
	global_load_ushort v2, v[4:5], off
	v_add_co_u32_e32 v4, vcc, v114, v116
	v_addc_co_u32_e32 v5, vcc, v111, v117, vcc
	global_load_ushort v18, v[4:5], off
	v_mov_b32_e32 v16, v3
	v_mov_b32_e32 v17, v3
	;; [unrolled: 1-line block ×29, first 2 shown]
	s_waitcnt vmcnt(1)
	v_cvt_f32_f16_e32 v2, v2
	v_pk_mov_b32 v[48:49], v[16:17], v[16:17] op_sel:[0,1]
	v_pk_mov_b32 v[46:47], v[14:15], v[14:15] op_sel:[0,1]
	;; [unrolled: 1-line block ×4, first 2 shown]
	s_waitcnt vmcnt(0)
	v_cvt_f32_f16_e32 v18, v18
	v_pk_mov_b32 v[40:41], v[8:9], v[8:9] op_sel:[0,1]
	v_pk_mov_b32 v[38:39], v[6:7], v[6:7] op_sel:[0,1]
	;; [unrolled: 1-line block ×4, first 2 shown]
.LBB82_12:                              ;   in Loop: Header=BB82_5 Depth=1
	s_or_b64 exec, exec, s[8:9]
	v_add_co_u32_e32 v4, vcc, 0xffffff02, v118
	v_addc_co_u32_e32 v5, vcc, -1, v119, vcc
	v_cmp_gt_i64_e32 vcc, s[36:37], v[4:5]
	s_and_b64 s[14:15], s[2:3], vcc
	s_and_saveexec_b64 s[8:9], s[14:15]
	s_cbranch_execz .LBB82_14
; %bb.13:                               ;   in Loop: Header=BB82_5 Depth=1
	v_add_co_u32_e32 v4, vcc, v108, v116
	v_addc_co_u32_e32 v5, vcc, v105, v117, vcc
	global_load_ushort v2, v[4:5], off
	v_add_co_u32_e32 v4, vcc, v110, v116
	v_addc_co_u32_e32 v5, vcc, v107, v117, vcc
	global_load_ushort v4, v[4:5], off
	s_waitcnt vmcnt(1)
	v_cvt_f32_f16_e32 v35, v2
	s_waitcnt vmcnt(0)
	v_cvt_f32_f16_e32 v19, v4
.LBB82_14:                              ;   in Loop: Header=BB82_5 Depth=1
	s_or_b64 exec, exec, s[8:9]
	v_add_co_u32_e32 v4, vcc, 0xffffff03, v118
	v_addc_co_u32_e32 v5, vcc, -1, v119, vcc
	v_cmp_gt_i64_e32 vcc, s[36:37], v[4:5]
	s_and_b64 s[14:15], s[2:3], vcc
	s_and_saveexec_b64 s[8:9], s[14:15]
	s_cbranch_execz .LBB82_16
; %bb.15:                               ;   in Loop: Header=BB82_5 Depth=1
	v_add_co_u32_e32 v4, vcc, v104, v116
	v_addc_co_u32_e32 v5, vcc, v101, v117, vcc
	global_load_ushort v2, v[4:5], off
	v_add_co_u32_e32 v4, vcc, v106, v116
	v_addc_co_u32_e32 v5, vcc, v103, v117, vcc
	global_load_ushort v4, v[4:5], off
	s_waitcnt vmcnt(1)
	v_cvt_f32_f16_e32 v36, v2
	s_waitcnt vmcnt(0)
	v_cvt_f32_f16_e32 v20, v4
.LBB82_16:                              ;   in Loop: Header=BB82_5 Depth=1
	;; [unrolled: 19-line block ×15, first 2 shown]
	s_or_b64 exec, exec, s[8:9]
	s_waitcnt vmcnt(1)
	ds_bpermute_b32 v2, v115, v121
	ds_bpermute_b32 v4, v115, v121 offset:4
	s_waitcnt vmcnt(0)
	ds_bpermute_b32 v5, v115, v120
	ds_bpermute_b32 v6, v115, v120 offset:4
	ds_bpermute_b32 v8, v115, v120 offset:12
	s_waitcnt lgkmcnt(4)
	v_sub_f32_e32 v2, v18, v2
	v_mul_f32_e32 v2, v34, v2
	s_waitcnt lgkmcnt(3)
	v_sub_f32_e32 v4, v19, v4
	s_waitcnt lgkmcnt(2)
	v_mul_f32_e32 v5, v2, v5
	ds_bpermute_b32 v2, v115, v121 offset:8
	v_mul_f32_e32 v4, v35, v4
	s_waitcnt lgkmcnt(2)
	v_mul_f32_e32 v7, v4, v6
	ds_bpermute_b32 v4, v115, v120 offset:8
	ds_bpermute_b32 v6, v115, v121 offset:12
	s_waitcnt lgkmcnt(2)
	v_sub_f32_e32 v2, v20, v2
	v_mul_f32_e32 v2, v36, v2
	v_mov_b32_e32 v10, v37
	s_waitcnt lgkmcnt(1)
	v_mul_f32_e32 v9, v2, v4
	s_waitcnt lgkmcnt(0)
	v_sub_f32_e32 v2, v21, v6
	ds_bpermute_b32 v4, v115, v121 offset:16
	v_mul_f32_e32 v2, v37, v2
	v_mul_f32_e32 v11, v2, v8
	ds_bpermute_b32 v2, v115, v120 offset:16
	ds_bpermute_b32 v6, v115, v121 offset:20
	;; [unrolled: 1-line block ×3, first 2 shown]
	s_waitcnt lgkmcnt(3)
	v_sub_f32_e32 v4, v22, v4
	v_mul_f32_e32 v4, v38, v4
	s_waitcnt lgkmcnt(2)
	v_mul_f32_e32 v13, v4, v2
	s_waitcnt lgkmcnt(1)
	v_sub_f32_e32 v2, v23, v6
	v_mul_f32_e32 v2, v39, v2
	v_mov_b32_e32 v4, v34
	s_waitcnt lgkmcnt(0)
	v_mul_f32_e32 v15, v2, v8
	v_pk_add_f32 v[4:5], v[124:125], v[4:5]
	v_mov_b32_e32 v6, v35
	ds_bpermute_b32 v2, v115, v121 offset:24
	v_pk_add_f32 v[4:5], v[6:7], v[4:5]
	v_mov_b32_e32 v8, v36
	v_pk_add_f32 v[4:5], v[8:9], v[4:5]
	ds_bpermute_b32 v6, v115, v120 offset:24
	ds_bpermute_b32 v8, v115, v121 offset:28
	;; [unrolled: 1-line block ×3, first 2 shown]
	s_waitcnt lgkmcnt(3)
	v_sub_f32_e32 v2, v24, v2
	v_mul_f32_e32 v2, v40, v2
	s_waitcnt lgkmcnt(2)
	v_mul_f32_e32 v7, v2, v6
	s_waitcnt lgkmcnt(1)
	v_sub_f32_e32 v2, v25, v8
	ds_bpermute_b32 v6, v115, v121 offset:32
	v_mul_f32_e32 v2, v41, v2
	s_waitcnt lgkmcnt(1)
	v_mul_f32_e32 v9, v2, v9
	ds_bpermute_b32 v2, v115, v120 offset:32
	ds_bpermute_b32 v8, v115, v121 offset:36
	v_pk_add_f32 v[4:5], v[10:11], v[4:5]
	ds_bpermute_b32 v10, v115, v120 offset:36
	s_waitcnt lgkmcnt(3)
	v_sub_f32_e32 v6, v26, v6
	v_mul_f32_e32 v6, v42, v6
	s_waitcnt lgkmcnt(2)
	v_mul_f32_e32 v11, v6, v2
	s_waitcnt lgkmcnt(1)
	v_sub_f32_e32 v2, v27, v8
	ds_bpermute_b32 v6, v115, v121 offset:40
	v_mov_b32_e32 v12, v38
	v_mul_f32_e32 v2, v43, v2
	v_pk_add_f32 v[4:5], v[12:13], v[4:5]
	s_waitcnt lgkmcnt(1)
	v_mul_f32_e32 v13, v2, v10
	ds_bpermute_b32 v2, v115, v120 offset:40
	ds_bpermute_b32 v8, v115, v121 offset:44
	;; [unrolled: 1-line block ×3, first 2 shown]
	s_waitcnt lgkmcnt(3)
	v_sub_f32_e32 v6, v28, v6
	v_mov_b32_e32 v14, v39
	v_mul_f32_e32 v6, v44, v6
	v_pk_add_f32 v[4:5], v[14:15], v[4:5]
	s_waitcnt lgkmcnt(2)
	v_mul_f32_e32 v15, v6, v2
	s_waitcnt lgkmcnt(1)
	v_sub_f32_e32 v2, v29, v8
	ds_bpermute_b32 v6, v115, v121 offset:48
	v_mul_f32_e32 v2, v45, v2
	s_waitcnt lgkmcnt(1)
	v_mul_f32_e32 v17, v2, v10
	ds_bpermute_b32 v2, v115, v120 offset:48
	ds_bpermute_b32 v8, v115, v121 offset:52
	;; [unrolled: 1-line block ×3, first 2 shown]
	s_waitcnt lgkmcnt(3)
	v_sub_f32_e32 v6, v30, v6
	v_mul_f32_e32 v6, v46, v6
	s_waitcnt lgkmcnt(2)
	v_mul_f32_e32 v19, v6, v2
	s_waitcnt lgkmcnt(1)
	v_sub_f32_e32 v2, v31, v8
	v_mul_f32_e32 v2, v47, v2
	s_waitcnt lgkmcnt(0)
	v_mul_f32_e32 v21, v2, v10
	ds_bpermute_b32 v2, v115, v121 offset:56
	v_mov_b32_e32 v6, v40
	v_pk_add_f32 v[4:5], v[6:7], v[4:5]
	v_mov_b32_e32 v8, v41
	v_pk_add_f32 v[4:5], v[8:9], v[4:5]
	;; [unrolled: 2-line block ×3, first 2 shown]
	v_mov_b32_e32 v12, v43
	ds_bpermute_b32 v7, v115, v120 offset:56
	v_pk_add_f32 v[4:5], v[12:13], v[4:5]
	v_mov_b32_e32 v14, v44
	s_waitcnt lgkmcnt(1)
	v_sub_f32_e32 v2, v32, v2
	v_pk_add_f32 v[4:5], v[14:15], v[4:5]
	v_mov_b32_e32 v16, v45
	v_mul_f32_e32 v8, v48, v2
	ds_bpermute_b32 v2, v115, v120 offset:60
	ds_bpermute_b32 v6, v115, v121 offset:60
	v_pk_add_f32 v[4:5], v[16:17], v[4:5]
	v_mov_b32_e32 v18, v46
	v_pk_add_f32 v[4:5], v[18:19], v[4:5]
	v_mov_b32_e32 v20, v47
	v_pk_add_f32 v[4:5], v[20:21], v[4:5]
	s_waitcnt lgkmcnt(2)
	v_mul_f32_e32 v9, v8, v7
	v_mov_b32_e32 v8, v48
	v_pk_add_f32 v[4:5], v[8:9], v[4:5]
	s_branch .LBB82_4
.LBB82_43:                              ;   in Loop: Header=BB82_5 Depth=1
                                        ; implicit-def: $vgpr4_vgpr5
                                        ; implicit-def: $vgpr2
                                        ; implicit-def: $vgpr18_vgpr19_vgpr20_vgpr21_vgpr22_vgpr23_vgpr24_vgpr25_vgpr26_vgpr27_vgpr28_vgpr29_vgpr30_vgpr31_vgpr32_vgpr33
                                        ; implicit-def: $vgpr34_vgpr35_vgpr36_vgpr37_vgpr38_vgpr39_vgpr40_vgpr41_vgpr42_vgpr43_vgpr44_vgpr45_vgpr46_vgpr47_vgpr48_vgpr49
                                        ; implicit-def: $vgpr6
	s_cbranch_execz .LBB82_4
; %bb.44:                               ;   in Loop: Header=BB82_5 Depth=1
	s_load_dword s8, s[10:11], 0x0
	v_mov_b32_e32 v120, 0
	v_mov_b32_e32 v121, 0
	s_waitcnt lgkmcnt(0)
	s_cmp_lt_u32 s6, s8
	s_cselect_b32 s8, 12, 18
	s_add_u32 s8, s10, s8
	s_addc_u32 s9, s11, 0
	global_load_ushort v2, v3, s[8:9]
	s_waitcnt vmcnt(0)
	v_mad_u32_u24 v2, v0, v2, v113
	v_and_b32_e32 v2, 63, v2
	v_cmp_gt_u32_e32 vcc, 16, v2
	s_and_saveexec_b64 s[8:9], vcc
	s_cbranch_execz .LBB82_48
; %bb.45:                               ;   in Loop: Header=BB82_5 Depth=1
	v_add_co_u32_e32 v2, vcc, v118, v2
	v_addc_co_u32_e32 v5, vcc, 0, v119, vcc
	v_add_co_u32_e32 v4, vcc, 0xffffff01, v2
	v_addc_co_u32_e32 v5, vcc, -1, v5, vcc
	v_cmp_gt_i64_e32 vcc, s[36:37], v[4:5]
	v_mov_b32_e32 v121, 0
	v_mov_b32_e32 v120, 0
	s_and_saveexec_b64 s[14:15], vcc
	s_cbranch_execz .LBB82_47
; %bb.46:                               ;   in Loop: Header=BB82_5 Depth=1
	v_lshlrev_b64 v[4:5], 2, v[4:5]
	v_mov_b32_e32 v2, s31
	v_add_co_u32_e32 v6, vcc, s30, v4
	v_addc_co_u32_e32 v7, vcc, v2, v5, vcc
	v_mov_b32_e32 v2, s29
	v_add_co_u32_e32 v4, vcc, s28, v4
	v_addc_co_u32_e32 v5, vcc, v2, v5, vcc
	global_load_dword v121, v[4:5], off
	global_load_dword v120, v[6:7], off
.LBB82_47:                              ;   in Loop: Header=BB82_5 Depth=1
	s_or_b64 exec, exec, s[14:15]
.LBB82_48:                              ;   in Loop: Header=BB82_5 Depth=1
	s_or_b64 exec, exec, s[8:9]
	s_mov_b32 s26, s12
	s_mov_b32 s27, s12
	;; [unrolled: 1-line block ×15, first 2 shown]
	v_pk_mov_b32 v[32:33], s[26:27], s[26:27] op_sel:[0,1]
	v_pk_mov_b32 v[30:31], s[24:25], s[24:25] op_sel:[0,1]
	;; [unrolled: 1-line block ×16, first 2 shown]
	s_and_saveexec_b64 s[8:9], s[2:3]
	s_cbranch_execnz .LBB82_64
; %bb.49:                               ;   in Loop: Header=BB82_5 Depth=1
	s_or_b64 exec, exec, s[8:9]
	s_and_saveexec_b64 s[8:9], s[2:3]
	s_cbranch_execnz .LBB82_65
.LBB82_50:                              ;   in Loop: Header=BB82_5 Depth=1
	s_or_b64 exec, exec, s[8:9]
	s_and_saveexec_b64 s[8:9], s[2:3]
	s_cbranch_execnz .LBB82_66
.LBB82_51:                              ;   in Loop: Header=BB82_5 Depth=1
	s_or_b64 exec, exec, s[8:9]
	s_and_saveexec_b64 s[8:9], s[2:3]
	s_cbranch_execnz .LBB82_67
.LBB82_52:                              ;   in Loop: Header=BB82_5 Depth=1
	s_or_b64 exec, exec, s[8:9]
	s_and_saveexec_b64 s[8:9], s[2:3]
	s_cbranch_execnz .LBB82_68
.LBB82_53:                              ;   in Loop: Header=BB82_5 Depth=1
	s_or_b64 exec, exec, s[8:9]
	s_and_saveexec_b64 s[8:9], s[2:3]
	s_cbranch_execnz .LBB82_69
.LBB82_54:                              ;   in Loop: Header=BB82_5 Depth=1
	s_or_b64 exec, exec, s[8:9]
	s_and_saveexec_b64 s[8:9], s[2:3]
	s_cbranch_execnz .LBB82_70
.LBB82_55:                              ;   in Loop: Header=BB82_5 Depth=1
	s_or_b64 exec, exec, s[8:9]
	s_and_saveexec_b64 s[8:9], s[2:3]
	s_cbranch_execnz .LBB82_71
.LBB82_56:                              ;   in Loop: Header=BB82_5 Depth=1
	s_or_b64 exec, exec, s[8:9]
	s_and_saveexec_b64 s[8:9], s[2:3]
	s_cbranch_execnz .LBB82_72
.LBB82_57:                              ;   in Loop: Header=BB82_5 Depth=1
	s_or_b64 exec, exec, s[8:9]
	s_and_saveexec_b64 s[8:9], s[2:3]
	s_cbranch_execnz .LBB82_73
.LBB82_58:                              ;   in Loop: Header=BB82_5 Depth=1
	s_or_b64 exec, exec, s[8:9]
	s_and_saveexec_b64 s[8:9], s[2:3]
	s_cbranch_execnz .LBB82_74
.LBB82_59:                              ;   in Loop: Header=BB82_5 Depth=1
	s_or_b64 exec, exec, s[8:9]
	s_and_saveexec_b64 s[8:9], s[2:3]
	s_cbranch_execnz .LBB82_75
.LBB82_60:                              ;   in Loop: Header=BB82_5 Depth=1
	s_or_b64 exec, exec, s[8:9]
	s_and_saveexec_b64 s[8:9], s[2:3]
	s_cbranch_execnz .LBB82_76
.LBB82_61:                              ;   in Loop: Header=BB82_5 Depth=1
	s_or_b64 exec, exec, s[8:9]
	s_and_saveexec_b64 s[8:9], s[2:3]
	s_cbranch_execnz .LBB82_77
.LBB82_62:                              ;   in Loop: Header=BB82_5 Depth=1
	s_or_b64 exec, exec, s[8:9]
	s_and_saveexec_b64 s[8:9], s[2:3]
	s_cbranch_execnz .LBB82_78
.LBB82_63:                              ;   in Loop: Header=BB82_5 Depth=1
	s_or_b64 exec, exec, s[8:9]
	s_and_saveexec_b64 s[8:9], s[2:3]
	s_cbranch_execz .LBB82_3
	s_branch .LBB82_79
.LBB82_64:                              ;   in Loop: Header=BB82_5 Depth=1
	v_add_co_u32_e32 v4, vcc, v112, v116
	v_addc_co_u32_e32 v5, vcc, v109, v117, vcc
	global_load_ushort v2, v[4:5], off
	v_add_co_u32_e32 v4, vcc, v114, v116
	v_addc_co_u32_e32 v5, vcc, v111, v117, vcc
	global_load_ushort v18, v[4:5], off
	v_mov_b32_e32 v16, v3
	v_mov_b32_e32 v17, v3
	;; [unrolled: 1-line block ×29, first 2 shown]
	s_waitcnt vmcnt(1)
	v_cvt_f32_f16_e32 v2, v2
	v_pk_mov_b32 v[48:49], v[16:17], v[16:17] op_sel:[0,1]
	v_pk_mov_b32 v[46:47], v[14:15], v[14:15] op_sel:[0,1]
	;; [unrolled: 1-line block ×4, first 2 shown]
	s_waitcnt vmcnt(0)
	v_cvt_f32_f16_e32 v18, v18
	v_pk_mov_b32 v[40:41], v[8:9], v[8:9] op_sel:[0,1]
	v_pk_mov_b32 v[38:39], v[6:7], v[6:7] op_sel:[0,1]
	v_pk_mov_b32 v[36:37], v[4:5], v[4:5] op_sel:[0,1]
	v_pk_mov_b32 v[34:35], v[2:3], v[2:3] op_sel:[0,1]
	s_or_b64 exec, exec, s[8:9]
	s_and_saveexec_b64 s[8:9], s[2:3]
	s_cbranch_execz .LBB82_50
.LBB82_65:                              ;   in Loop: Header=BB82_5 Depth=1
	v_add_co_u32_e32 v4, vcc, v108, v116
	v_addc_co_u32_e32 v5, vcc, v105, v117, vcc
	global_load_ushort v2, v[4:5], off
	v_add_co_u32_e32 v4, vcc, v110, v116
	v_addc_co_u32_e32 v5, vcc, v107, v117, vcc
	global_load_ushort v4, v[4:5], off
	s_waitcnt vmcnt(1)
	v_cvt_f32_f16_e32 v35, v2
	s_waitcnt vmcnt(0)
	v_cvt_f32_f16_e32 v19, v4
	s_or_b64 exec, exec, s[8:9]
	s_and_saveexec_b64 s[8:9], s[2:3]
	s_cbranch_execz .LBB82_51
.LBB82_66:                              ;   in Loop: Header=BB82_5 Depth=1
	v_add_co_u32_e32 v4, vcc, v104, v116
	v_addc_co_u32_e32 v5, vcc, v101, v117, vcc
	global_load_ushort v2, v[4:5], off
	v_add_co_u32_e32 v4, vcc, v106, v116
	v_addc_co_u32_e32 v5, vcc, v103, v117, vcc
	global_load_ushort v4, v[4:5], off
	s_waitcnt vmcnt(1)
	v_cvt_f32_f16_e32 v36, v2
	s_waitcnt vmcnt(0)
	v_cvt_f32_f16_e32 v20, v4
	s_or_b64 exec, exec, s[8:9]
	s_and_saveexec_b64 s[8:9], s[2:3]
	s_cbranch_execz .LBB82_52
.LBB82_67:                              ;   in Loop: Header=BB82_5 Depth=1
	v_add_co_u32_e32 v4, vcc, v100, v116
	v_addc_co_u32_e32 v5, vcc, v97, v117, vcc
	global_load_ushort v2, v[4:5], off
	v_add_co_u32_e32 v4, vcc, v102, v116
	v_addc_co_u32_e32 v5, vcc, v99, v117, vcc
	global_load_ushort v4, v[4:5], off
	s_waitcnt vmcnt(1)
	v_cvt_f32_f16_e32 v37, v2
	s_waitcnt vmcnt(0)
	v_cvt_f32_f16_e32 v21, v4
	s_or_b64 exec, exec, s[8:9]
	s_and_saveexec_b64 s[8:9], s[2:3]
	s_cbranch_execz .LBB82_53
.LBB82_68:                              ;   in Loop: Header=BB82_5 Depth=1
	v_add_co_u32_e32 v4, vcc, v96, v116
	v_addc_co_u32_e32 v5, vcc, v93, v117, vcc
	global_load_ushort v2, v[4:5], off
	v_add_co_u32_e32 v4, vcc, v98, v116
	v_addc_co_u32_e32 v5, vcc, v95, v117, vcc
	global_load_ushort v4, v[4:5], off
	s_waitcnt vmcnt(1)
	v_cvt_f32_f16_e32 v38, v2
	s_waitcnt vmcnt(0)
	v_cvt_f32_f16_e32 v22, v4
	s_or_b64 exec, exec, s[8:9]
	s_and_saveexec_b64 s[8:9], s[2:3]
	s_cbranch_execz .LBB82_54
.LBB82_69:                              ;   in Loop: Header=BB82_5 Depth=1
	v_add_co_u32_e32 v4, vcc, v92, v116
	v_addc_co_u32_e32 v5, vcc, v89, v117, vcc
	global_load_ushort v2, v[4:5], off
	v_add_co_u32_e32 v4, vcc, v94, v116
	v_addc_co_u32_e32 v5, vcc, v91, v117, vcc
	global_load_ushort v4, v[4:5], off
	s_waitcnt vmcnt(1)
	v_cvt_f32_f16_e32 v39, v2
	s_waitcnt vmcnt(0)
	v_cvt_f32_f16_e32 v23, v4
	s_or_b64 exec, exec, s[8:9]
	s_and_saveexec_b64 s[8:9], s[2:3]
	s_cbranch_execz .LBB82_55
.LBB82_70:                              ;   in Loop: Header=BB82_5 Depth=1
	v_add_co_u32_e32 v4, vcc, v88, v116
	v_addc_co_u32_e32 v5, vcc, v85, v117, vcc
	global_load_ushort v2, v[4:5], off
	v_add_co_u32_e32 v4, vcc, v90, v116
	v_addc_co_u32_e32 v5, vcc, v87, v117, vcc
	global_load_ushort v4, v[4:5], off
	s_waitcnt vmcnt(1)
	v_cvt_f32_f16_e32 v40, v2
	s_waitcnt vmcnt(0)
	v_cvt_f32_f16_e32 v24, v4
	s_or_b64 exec, exec, s[8:9]
	s_and_saveexec_b64 s[8:9], s[2:3]
	s_cbranch_execz .LBB82_56
.LBB82_71:                              ;   in Loop: Header=BB82_5 Depth=1
	v_add_co_u32_e32 v4, vcc, v84, v116
	v_addc_co_u32_e32 v5, vcc, v81, v117, vcc
	global_load_ushort v2, v[4:5], off
	v_add_co_u32_e32 v4, vcc, v86, v116
	v_addc_co_u32_e32 v5, vcc, v83, v117, vcc
	global_load_ushort v4, v[4:5], off
	s_waitcnt vmcnt(1)
	v_cvt_f32_f16_e32 v41, v2
	s_waitcnt vmcnt(0)
	v_cvt_f32_f16_e32 v25, v4
	s_or_b64 exec, exec, s[8:9]
	s_and_saveexec_b64 s[8:9], s[2:3]
	s_cbranch_execz .LBB82_57
.LBB82_72:                              ;   in Loop: Header=BB82_5 Depth=1
	v_add_co_u32_e32 v4, vcc, v80, v116
	v_addc_co_u32_e32 v5, vcc, v77, v117, vcc
	global_load_ushort v2, v[4:5], off
	v_add_co_u32_e32 v4, vcc, v82, v116
	v_addc_co_u32_e32 v5, vcc, v79, v117, vcc
	global_load_ushort v4, v[4:5], off
	s_waitcnt vmcnt(1)
	v_cvt_f32_f16_e32 v42, v2
	s_waitcnt vmcnt(0)
	v_cvt_f32_f16_e32 v26, v4
	s_or_b64 exec, exec, s[8:9]
	s_and_saveexec_b64 s[8:9], s[2:3]
	s_cbranch_execz .LBB82_58
.LBB82_73:                              ;   in Loop: Header=BB82_5 Depth=1
	v_add_co_u32_e32 v4, vcc, v76, v116
	v_addc_co_u32_e32 v5, vcc, v73, v117, vcc
	global_load_ushort v2, v[4:5], off
	v_add_co_u32_e32 v4, vcc, v78, v116
	v_addc_co_u32_e32 v5, vcc, v75, v117, vcc
	global_load_ushort v4, v[4:5], off
	s_waitcnt vmcnt(1)
	v_cvt_f32_f16_e32 v43, v2
	s_waitcnt vmcnt(0)
	v_cvt_f32_f16_e32 v27, v4
	s_or_b64 exec, exec, s[8:9]
	s_and_saveexec_b64 s[8:9], s[2:3]
	s_cbranch_execz .LBB82_59
.LBB82_74:                              ;   in Loop: Header=BB82_5 Depth=1
	v_add_co_u32_e32 v4, vcc, v72, v116
	v_addc_co_u32_e32 v5, vcc, v69, v117, vcc
	global_load_ushort v2, v[4:5], off
	v_add_co_u32_e32 v4, vcc, v74, v116
	v_addc_co_u32_e32 v5, vcc, v71, v117, vcc
	global_load_ushort v4, v[4:5], off
	s_waitcnt vmcnt(1)
	v_cvt_f32_f16_e32 v44, v2
	s_waitcnt vmcnt(0)
	v_cvt_f32_f16_e32 v28, v4
	s_or_b64 exec, exec, s[8:9]
	s_and_saveexec_b64 s[8:9], s[2:3]
	s_cbranch_execz .LBB82_60
.LBB82_75:                              ;   in Loop: Header=BB82_5 Depth=1
	v_add_co_u32_e32 v4, vcc, v68, v116
	v_addc_co_u32_e32 v5, vcc, v65, v117, vcc
	global_load_ushort v2, v[4:5], off
	v_add_co_u32_e32 v4, vcc, v70, v116
	v_addc_co_u32_e32 v5, vcc, v67, v117, vcc
	global_load_ushort v4, v[4:5], off
	s_waitcnt vmcnt(1)
	v_cvt_f32_f16_e32 v45, v2
	s_waitcnt vmcnt(0)
	v_cvt_f32_f16_e32 v29, v4
	s_or_b64 exec, exec, s[8:9]
	s_and_saveexec_b64 s[8:9], s[2:3]
	s_cbranch_execz .LBB82_61
.LBB82_76:                              ;   in Loop: Header=BB82_5 Depth=1
	v_add_co_u32_e32 v4, vcc, v64, v116
	v_addc_co_u32_e32 v5, vcc, v61, v117, vcc
	global_load_ushort v2, v[4:5], off
	v_add_co_u32_e32 v4, vcc, v66, v116
	v_addc_co_u32_e32 v5, vcc, v63, v117, vcc
	global_load_ushort v4, v[4:5], off
	s_waitcnt vmcnt(1)
	v_cvt_f32_f16_e32 v46, v2
	s_waitcnt vmcnt(0)
	v_cvt_f32_f16_e32 v30, v4
	s_or_b64 exec, exec, s[8:9]
	s_and_saveexec_b64 s[8:9], s[2:3]
	s_cbranch_execz .LBB82_62
.LBB82_77:                              ;   in Loop: Header=BB82_5 Depth=1
	v_add_co_u32_e32 v4, vcc, v60, v116
	v_addc_co_u32_e32 v5, vcc, v57, v117, vcc
	global_load_ushort v2, v[4:5], off
	v_add_co_u32_e32 v4, vcc, v62, v116
	v_addc_co_u32_e32 v5, vcc, v59, v117, vcc
	global_load_ushort v4, v[4:5], off
	s_waitcnt vmcnt(1)
	v_cvt_f32_f16_e32 v47, v2
	s_waitcnt vmcnt(0)
	v_cvt_f32_f16_e32 v31, v4
	s_or_b64 exec, exec, s[8:9]
	s_and_saveexec_b64 s[8:9], s[2:3]
	s_cbranch_execz .LBB82_63
.LBB82_78:                              ;   in Loop: Header=BB82_5 Depth=1
	v_add_co_u32_e32 v4, vcc, v56, v116
	v_addc_co_u32_e32 v5, vcc, v53, v117, vcc
	global_load_ushort v2, v[4:5], off
	v_add_co_u32_e32 v4, vcc, v58, v116
	v_addc_co_u32_e32 v5, vcc, v55, v117, vcc
	global_load_ushort v4, v[4:5], off
	s_waitcnt vmcnt(1)
	v_cvt_f32_f16_e32 v48, v2
	s_waitcnt vmcnt(0)
	v_cvt_f32_f16_e32 v32, v4
	s_or_b64 exec, exec, s[8:9]
	s_and_saveexec_b64 s[8:9], s[2:3]
	s_cbranch_execz .LBB82_3
.LBB82_79:                              ;   in Loop: Header=BB82_5 Depth=1
	v_add_co_u32_e32 v4, vcc, v52, v116
	v_addc_co_u32_e32 v5, vcc, v1, v117, vcc
	global_load_ushort v2, v[4:5], off
	v_add_co_u32_e32 v4, vcc, v54, v116
	v_addc_co_u32_e32 v5, vcc, v51, v117, vcc
	global_load_ushort v4, v[4:5], off
	s_waitcnt vmcnt(1)
	v_cvt_f32_f16_e32 v49, v2
	s_waitcnt vmcnt(0)
	v_cvt_f32_f16_e32 v33, v4
	s_branch .LBB82_3
.LBB82_80:
                                        ; implicit-def: $vgpr125
	s_branch .LBB82_82
.LBB82_81:
	s_cbranch_execnz .LBB82_130
.LBB82_82:
	v_mov_b32_e32 v125, 0
	s_mov_b32 s8, 0
	s_and_b64 vcc, exec, s[0:1]
	v_mov_b32_e32 v124, v125
	s_cbranch_vccnz .LBB82_130
; %bb.83:
	s_load_dword s0, s[4:5], 0x44
	s_add_u32 s2, s4, 64
	s_addc_u32 s3, s5, 0
	v_bfe_u32 v36, v122, 10, 10
	v_lshlrev_b32_e32 v0, 5, v36
	s_waitcnt lgkmcnt(0)
	s_lshl_b32 s7, s0, 8
	s_add_u32 s24, s34, 0xff
	s_addc_u32 s25, 0, 0
	s_lshl_b64 s[0:1], s[34:35], 1
	v_mov_b32_e32 v1, s1
	v_add_co_u32_e32 v4, vcc, s0, v0
	v_addc_co_u32_e32 v5, vcc, 0, v1, vcc
	v_add_co_u32_e32 v6, vcc, 2, v4
	v_addc_co_u32_e32 v0, vcc, 0, v5, vcc
	v_add_co_u32_e32 v9, vcc, 4, v4
	v_mul_lo_u32 v7, s38, v0
	v_addc_co_u32_e32 v0, vcc, 0, v5, vcc
	v_add_co_u32_e32 v12, vcc, 6, v4
	v_mul_lo_u32 v10, s38, v0
	;; [unrolled: 3-line block ×9, first 2 shown]
	v_addc_co_u32_e32 v0, vcc, 0, v5, vcc
	v_pk_mov_b32 v[2:3], s[40:41], s[40:41] op_sel:[0,1]
	v_mul_lo_u32 v34, s38, v0
	v_pk_mov_b32 v[0:1], s[42:43], s[42:43] op_sel:[0,1]
	v_mad_u64_u32 v[50:51], s[0:1], s38, v6, v[2:3]
	v_mul_lo_u32 v8, s39, v6
	v_mad_u64_u32 v[70:71], s[0:1], s38, v6, v[0:1]
	v_add_co_u32_e32 v6, vcc, 22, v4
	v_add3_u32 v51, v8, v51, v7
	v_add3_u32 v71, v8, v71, v7
	v_addc_co_u32_e32 v7, vcc, 0, v5, vcc
	v_mad_u64_u32 v[52:53], s[0:1], s38, v9, v[2:3]
	v_mul_lo_u32 v11, s39, v9
	v_mad_u64_u32 v[72:73], s[0:1], s38, v9, v[0:1]
	v_add_co_u32_e32 v9, vcc, 24, v4
	v_add3_u32 v53, v11, v53, v10
	v_add3_u32 v73, v11, v73, v10
	v_addc_co_u32_e32 v10, vcc, 0, v5, vcc
	v_mad_u64_u32 v[76:77], s[0:1], s38, v6, v[2:3]
	v_mul_lo_u32 v7, s38, v7
	v_mul_lo_u32 v8, s39, v6
	v_mad_u64_u32 v[94:95], s[0:1], s38, v6, v[0:1]
	v_add_co_u32_e32 v6, vcc, 26, v4
	v_add3_u32 v77, v8, v77, v7
	v_add3_u32 v95, v8, v95, v7
	v_addc_co_u32_e32 v7, vcc, 0, v5, vcc
	v_mad_u64_u32 v[98:99], s[0:1], s38, v6, v[2:3]
	v_mul_lo_u32 v7, s38, v7
	v_mul_lo_u32 v8, s39, v6
	v_mad_u64_u32 v[100:101], s[0:1], s38, v6, v[0:1]
	v_add_co_u32_e32 v6, vcc, 28, v4
	v_add3_u32 v99, v8, v99, v7
	v_add3_u32 v101, v8, v101, v7
	v_addc_co_u32_e32 v7, vcc, 0, v5, vcc
	v_add_co_u32_e32 v4, vcc, 30, v4
	v_addc_co_u32_e32 v5, vcc, 0, v5, vcc
	v_mad_u64_u32 v[54:55], s[0:1], s38, v12, v[2:3]
	v_mad_u64_u32 v[56:57], s[0:1], s38, v15, v[2:3]
	;; [unrolled: 1-line block ×21, first 2 shown]
	v_mul_lo_u32 v2, s38, v5
	v_mad_u64_u32 v[108:109], s[0:1], s38, v4, v[0:1]
	v_mul_lo_u32 v0, s39, v4
	v_add3_u32 v107, v0, v107, v2
	v_add3_u32 v109, v0, v109, v2
	v_lshlrev_b32_e32 v2, 4, v36
	v_mov_b32_e32 v1, s35
	v_mov_b32_e32 v0, v2
	buffer_store_dword v36, off, s[52:55], 0 offset:424 ; 4-byte Folded Spill
	buffer_store_dword v0, off, s[52:55], 0 offset:428 ; 4-byte Folded Spill
	s_nop 0
	buffer_store_dword v1, off, s[52:55], 0 offset:432 ; 4-byte Folded Spill
	v_add_co_u32_e32 v0, vcc, s34, v2
	v_mul_lo_u32 v7, s38, v7
	v_mul_lo_u32 v8, s39, v6
	v_add3_u32 v103, v8, v103, v7
	v_add3_u32 v105, v8, v105, v7
	v_mul_lo_u32 v11, s39, v9
	v_mul_lo_u32 v10, s38, v10
	v_add3_u32 v89, v11, v89, v10
	v_add3_u32 v97, v11, v97, v10
	v_mul_lo_u32 v14, s39, v12
	v_add3_u32 v55, v14, v55, v13
	v_add3_u32 v75, v14, v75, v13
	;; [unrolled: 3-line block ×8, first 2 shown]
	v_mul_lo_u32 v35, s39, v33
	v_mul_lo_u32 v33, s39, v0
	v_add3_u32 v69, v35, v69, v34
	v_add3_u32 v93, v35, v93, v34
	v_mov_b32_e32 v34, s43
	v_addc_co_u32_e32 v1, vcc, 0, v1, vcc
	v_add_co_u32_e32 v2, vcc, 15, v0
	v_addc_co_u32_e32 v3, vcc, 0, v1, vcc
	v_mul_lo_u32 v4, s38, v3
	v_mul_lo_u32 v5, s39, v2
	v_mad_u64_u32 v[2:3], s[0:1], s38, v2, 0
	v_add3_u32 v3, v3, v4, v5
	v_add_co_u32_e32 v4, vcc, 14, v0
	v_addc_co_u32_e32 v5, vcc, 0, v1, vcc
	v_mul_lo_u32 v6, s38, v5
	v_mul_lo_u32 v7, s39, v4
	v_mad_u64_u32 v[4:5], s[0:1], s38, v4, 0
	v_add3_u32 v5, v5, v6, v7
	;; [unrolled: 6-line block ×14, first 2 shown]
	v_pk_mov_b32 v[30:31], s[38:39], s[38:39] op_sel:[0,1]
	v_mul_lo_u32 v32, s38, v1
	v_mad_u64_u32 v[30:31], s[0:1], s38, v0, v[30:31]
	v_mad_u64_u32 v[0:1], s[0:1], s38, v0, 0
	v_add3_u32 v1, v1, v32, v33
	v_add3_u32 v31, v33, v31, v32
	v_lshlrev_b64 v[32:33], 1, v[0:1]
	v_mov_b32_e32 v0, s41
	v_add_co_u32_e32 v112, vcc, s40, v32
	v_addc_co_u32_e32 v1, vcc, v0, v33, vcc
	v_add_co_u32_e32 v114, vcc, s42, v32
	v_addc_co_u32_e32 v111, vcc, v34, v33, vcc
	v_lshlrev_b64 v[2:3], 1, v[2:3]
	v_add_co_u32_e32 v32, vcc, s40, v2
	buffer_store_dword v32, off, s[52:55], 0 ; 4-byte Folded Spill
	s_nop 0
	buffer_store_dword v33, off, s[52:55], 0 offset:4 ; 4-byte Folded Spill
	v_addc_co_u32_e32 v33, vcc, v0, v3, vcc
	v_add_co_u32_e32 v2, vcc, s42, v2
	buffer_store_dword v32, off, s[52:55], 0 offset:8 ; 4-byte Folded Spill
	s_nop 0
	buffer_store_dword v33, off, s[52:55], 0 offset:12 ; 4-byte Folded Spill
	buffer_store_dword v2, off, s[52:55], 0 offset:16 ; 4-byte Folded Spill
	s_nop 0
	buffer_store_dword v3, off, s[52:55], 0 offset:20 ; 4-byte Folded Spill
	s_mul_i32 s0, s39, s7
	s_mul_hi_u32 s1, s38, s7
	s_add_i32 s1, s1, s0
	s_mul_i32 s0, s38, s7
	s_lshl_b64 s[26:27], s[0:1], 1
	v_addc_co_u32_e32 v115, vcc, v34, v3, vcc
	v_lshlrev_b64 v[2:3], 1, v[4:5]
	v_add_co_u32_e32 v4, vcc, s40, v2
	buffer_store_dword v4, off, s[52:55], 0 offset:24 ; 4-byte Folded Spill
	s_nop 0
	buffer_store_dword v5, off, s[52:55], 0 offset:28 ; 4-byte Folded Spill
	v_addc_co_u32_e32 v5, vcc, v0, v3, vcc
	buffer_store_dword v4, off, s[52:55], 0 offset:32 ; 4-byte Folded Spill
	s_nop 0
	buffer_store_dword v5, off, s[52:55], 0 offset:36 ; 4-byte Folded Spill
	v_mov_b32_e32 v4, v122
	v_add_co_u32_e32 v122, vcc, s42, v2
	v_addc_co_u32_e32 v3, vcc, v34, v3, vcc
	buffer_store_dword v2, off, s[52:55], 0 offset:40 ; 4-byte Folded Spill
	s_nop 0
	buffer_store_dword v3, off, s[52:55], 0 offset:44 ; 4-byte Folded Spill
	v_lshlrev_b64 v[2:3], 1, v[6:7]
	v_add_co_u32_e32 v6, vcc, s40, v2
	buffer_store_dword v6, off, s[52:55], 0 offset:48 ; 4-byte Folded Spill
	s_nop 0
	buffer_store_dword v7, off, s[52:55], 0 offset:52 ; 4-byte Folded Spill
	v_addc_co_u32_e32 v121, vcc, v0, v3, vcc
	v_add_co_u32_e32 v126, vcc, s42, v2
	v_addc_co_u32_e32 v3, vcc, v34, v3, vcc
	buffer_store_dword v2, off, s[52:55], 0 offset:56 ; 4-byte Folded Spill
	s_nop 0
	buffer_store_dword v3, off, s[52:55], 0 offset:60 ; 4-byte Folded Spill
	v_lshlrev_b64 v[2:3], 1, v[8:9]
	v_add_co_u32_e32 v6, vcc, s40, v2
	v_addc_co_u32_e32 v5, vcc, v0, v3, vcc
	v_add_co_u32_e32 v2, vcc, s42, v2
	buffer_store_dword v6, off, s[52:55], 0 offset:64 ; 4-byte Folded Spill
	s_nop 0
	buffer_store_dword v7, off, s[52:55], 0 offset:68 ; 4-byte Folded Spill
	buffer_store_dword v4, off, s[52:55], 0 offset:72 ; 4-byte Folded Spill
	s_nop 0
	buffer_store_dword v5, off, s[52:55], 0 offset:76 ; 4-byte Folded Spill
	buffer_store_dword v2, off, s[52:55], 0 offset:80 ; 4-byte Folded Spill
	s_nop 0
	buffer_store_dword v3, off, s[52:55], 0 offset:84 ; 4-byte Folded Spill
	v_addc_co_u32_e32 v3, vcc, v34, v3, vcc
	buffer_store_dword v2, off, s[52:55], 0 offset:88 ; 4-byte Folded Spill
	s_nop 0
	buffer_store_dword v3, off, s[52:55], 0 offset:92 ; 4-byte Folded Spill
	v_lshlrev_b64 v[2:3], 1, v[10:11]
	v_add_co_u32_e32 v6, vcc, s40, v2
	v_addc_co_u32_e32 v5, vcc, v0, v3, vcc
	v_add_co_u32_e32 v2, vcc, s42, v2
	buffer_store_dword v6, off, s[52:55], 0 offset:96 ; 4-byte Folded Spill
	s_nop 0
	buffer_store_dword v7, off, s[52:55], 0 offset:100 ; 4-byte Folded Spill
	buffer_store_dword v4, off, s[52:55], 0 offset:104 ; 4-byte Folded Spill
	s_nop 0
	buffer_store_dword v5, off, s[52:55], 0 offset:108 ; 4-byte Folded Spill
	buffer_store_dword v2, off, s[52:55], 0 offset:112 ; 4-byte Folded Spill
	s_nop 0
	buffer_store_dword v3, off, s[52:55], 0 offset:116 ; 4-byte Folded Spill
	;; [unrolled: 17-line block ×11, first 2 shown]
	v_addc_co_u32_e32 v3, vcc, v34, v3, vcc
	buffer_store_dword v2, off, s[52:55], 0 offset:408 ; 4-byte Folded Spill
	s_nop 0
	buffer_store_dword v3, off, s[52:55], 0 offset:412 ; 4-byte Folded Spill
	v_lshlrev_b64 v[2:3], 1, v[30:31]
	v_add_co_u32_e32 v6, vcc, s40, v2
	v_addc_co_u32_e32 v127, vcc, v0, v3, vcc
	v_and_b32_e32 v0, 0x3ff, v4
	buffer_store_dword v6, off, s[52:55], 0 offset:416 ; 4-byte Folded Spill
	s_nop 0
	buffer_store_dword v7, off, s[52:55], 0 offset:420 ; 4-byte Folded Spill
	v_add_co_u32_e32 v120, vcc, s42, v2
	buffer_store_dword v0, off, s[52:55], 0 offset:436 ; 4-byte Folded Spill
	v_add_u32_e32 v2, s33, v0
	v_mbcnt_lo_u32_b32 v0, -1, 0
	v_mbcnt_hi_u32_b32 v0, -1, v0
	v_addc_co_u32_e32 v123, vcc, v34, v3, vcc
	v_mov_b32_e32 v3, 0
	v_lshlrev_b32_e32 v0, 2, v0
	v_and_b32_e32 v110, 0x100, v0
	v_mov_b32_e32 v124, v3
	v_mov_b32_e32 v125, v3
	v_lshlrev_b64 v[116:117], 1, v[2:3]
	buffer_store_dword v4, off, s[52:55], 0 offset:440 ; 4-byte Folded Spill
	s_branch .LBB82_87
.LBB82_84:                              ;   in Loop: Header=BB82_87 Depth=1
	s_or_b64 exec, exec, s[10:11]
.LBB82_85:                              ;   in Loop: Header=BB82_87 Depth=1
	s_or_b64 exec, exec, s[0:1]
	v_add_co_u32_e32 v4, vcc, v112, v116
	v_addc_co_u32_e32 v5, vcc, v1, v117, vcc
	global_load_ushort v0, v[4:5], off
	v_add_co_u32_e32 v4, vcc, v114, v116
	v_addc_co_u32_e32 v5, vcc, v111, v117, vcc
	s_waitcnt vmcnt(0)
	v_cvt_f32_f16_e32 v24, v0
	global_load_ushort v0, v[4:5], off
	v_add_co_u32_e32 v4, vcc, v50, v116
	v_addc_co_u32_e32 v5, vcc, v51, v117, vcc
	s_waitcnt vmcnt(0)
	v_cvt_f32_f16_e32 v25, v0
	;; [unrolled: 5-line block ×11, first 2 shown]
	global_load_ushort v0, v[4:5], off
	v_add_co_u32_e32 v4, vcc, v60, v116
	v_addc_co_u32_e32 v5, vcc, v61, v117, vcc
	v_add_co_u32_e32 v6, vcc, v82, v116
	v_addc_co_u32_e32 v7, vcc, v83, v117, vcc
	s_waitcnt vmcnt(0)
	v_cvt_f32_f16_e32 v35, v0
	global_load_ushort v0, v[4:5], off
	s_waitcnt vmcnt(0)
	v_cvt_f32_f16_e32 v4, v0
	global_load_ushort v0, v[6:7], off
	v_add_co_u32_e32 v6, vcc, v62, v116
	v_addc_co_u32_e32 v7, vcc, v63, v117, vcc
	v_add_co_u32_e32 v8, vcc, v84, v116
	v_addc_co_u32_e32 v9, vcc, v85, v117, vcc
	s_waitcnt vmcnt(0)
	v_cvt_f32_f16_e32 v5, v0
	global_load_ushort v0, v[6:7], off
	s_waitcnt vmcnt(0)
	v_cvt_f32_f16_e32 v6, v0
	;; [unrolled: 10-line block ×9, first 2 shown]
	global_load_ushort v0, v[36:37], off
	v_add_co_u32_e32 v36, vcc, v106, v116
	v_addc_co_u32_e32 v37, vcc, v107, v117, vcc
	s_waitcnt vmcnt(0)
	v_cvt_f32_f16_e32 v23, v0
	global_load_ushort v0, v[36:37], off
	v_add_co_u32_e32 v36, vcc, v108, v116
	v_addc_co_u32_e32 v37, vcc, v109, v117, vcc
	s_waitcnt vmcnt(0)
	v_cvt_f32_f16_e32 v18, v0
	global_load_ushort v0, v[36:37], off
	ds_bpermute_b32 v37, v110, v2
	ds_bpermute_b32 v36, v110, v19
	s_waitcnt lgkmcnt(1)
	v_sub_f32_e32 v25, v25, v37
	ds_bpermute_b32 v37, v110, v2 offset:4
	v_mul_f32_e32 v25, v25, v24
	s_waitcnt lgkmcnt(1)
	v_mul_f32_e32 v25, v25, v36
	ds_bpermute_b32 v36, v110, v19 offset:4
	v_pk_add_f32 v[24:25], v[118:119], v[24:25]
	s_waitcnt lgkmcnt(1)
	v_sub_f32_e32 v27, v27, v37
	v_mul_f32_e32 v27, v27, v26
	ds_bpermute_b32 v37, v110, v2 offset:8
	s_waitcnt lgkmcnt(1)
	v_mul_f32_e32 v27, v27, v36
	v_pk_add_f32 v[24:25], v[24:25], v[26:27]
	ds_bpermute_b32 v27, v110, v2 offset:24
	ds_bpermute_b32 v26, v110, v19 offset:24
	;; [unrolled: 1-line block ×3, first 2 shown]
	s_waitcnt lgkmcnt(3)
	v_sub_f32_e32 v29, v29, v37
	ds_bpermute_b32 v37, v110, v2 offset:12
	s_waitcnt lgkmcnt(3)
	v_sub_f32_e32 v5, v5, v27
	ds_bpermute_b32 v27, v110, v2 offset:28
	v_mul_f32_e32 v5, v5, v4
	s_waitcnt lgkmcnt(3)
	v_mul_f32_e32 v5, v5, v26
	ds_bpermute_b32 v26, v110, v19 offset:28
	v_mul_f32_e32 v29, v29, v28
	s_waitcnt lgkmcnt(1)
	v_sub_f32_e32 v7, v7, v27
	ds_bpermute_b32 v27, v110, v2 offset:32
	v_mul_f32_e32 v7, v7, v6
	s_waitcnt lgkmcnt(1)
	v_mul_f32_e32 v7, v7, v26
	ds_bpermute_b32 v26, v110, v19 offset:32
	v_mul_f32_e32 v29, v29, v36
	s_waitcnt lgkmcnt(1)
	v_sub_f32_e32 v9, v9, v27
	ds_bpermute_b32 v27, v110, v2 offset:36
	v_mul_f32_e32 v9, v9, v8
	s_waitcnt lgkmcnt(1)
	v_mul_f32_e32 v9, v9, v26
	ds_bpermute_b32 v26, v110, v19 offset:36
	ds_bpermute_b32 v36, v110, v19 offset:12
	s_waitcnt lgkmcnt(2)
	v_sub_f32_e32 v11, v11, v27
	ds_bpermute_b32 v27, v110, v2 offset:40
	v_mul_f32_e32 v11, v11, v10
	s_waitcnt lgkmcnt(2)
	v_mul_f32_e32 v11, v11, v26
	ds_bpermute_b32 v26, v110, v19 offset:40
	v_sub_f32_e32 v31, v31, v37
	s_waitcnt lgkmcnt(1)
	v_sub_f32_e32 v13, v13, v27
	ds_bpermute_b32 v27, v110, v2 offset:44
	ds_bpermute_b32 v37, v110, v2 offset:16
	v_mul_f32_e32 v13, v13, v12
	v_mul_f32_e32 v31, v31, v30
	s_waitcnt lgkmcnt(2)
	v_mul_f32_e32 v13, v13, v26
	ds_bpermute_b32 v26, v110, v19 offset:44
	v_mul_f32_e32 v31, v31, v36
	ds_bpermute_b32 v36, v110, v19 offset:16
	s_waitcnt lgkmcnt(3)
	v_sub_f32_e32 v15, v15, v27
	ds_bpermute_b32 v27, v110, v2 offset:48
	s_waitcnt lgkmcnt(3)
	v_sub_f32_e32 v33, v33, v37
	ds_bpermute_b32 v37, v110, v2 offset:20
	v_mul_f32_e32 v15, v15, v14
	v_mul_f32_e32 v33, v33, v32
	s_waitcnt lgkmcnt(3)
	v_mul_f32_e32 v15, v15, v26
	ds_bpermute_b32 v26, v110, v19 offset:48
	s_waitcnt lgkmcnt(3)
	v_mul_f32_e32 v33, v33, v36
	ds_bpermute_b32 v36, v110, v19 offset:20
	s_waitcnt lgkmcnt(3)
	v_sub_f32_e32 v17, v17, v27
	ds_bpermute_b32 v27, v110, v2 offset:52
	s_waitcnt lgkmcnt(3)
	v_sub_f32_e32 v35, v35, v37
	v_pk_add_f32 v[24:25], v[24:25], v[28:29]
	v_mul_f32_e32 v17, v17, v16
	v_mul_f32_e32 v35, v35, v34
	v_pk_add_f32 v[24:25], v[24:25], v[30:31]
	s_waitcnt lgkmcnt(2)
	v_mul_f32_e32 v17, v17, v26
	ds_bpermute_b32 v26, v110, v19 offset:52
	s_waitcnt lgkmcnt(2)
	v_mul_f32_e32 v35, v35, v36
	v_pk_add_f32 v[24:25], v[24:25], v[32:33]
	v_pk_add_f32 v[24:25], v[24:25], v[34:35]
	s_waitcnt lgkmcnt(1)
	v_sub_f32_e32 v21, v21, v27
	ds_bpermute_b32 v27, v110, v2 offset:56
	v_pk_add_f32 v[4:5], v[24:25], v[4:5]
	v_mul_f32_e32 v21, v21, v20
	v_pk_add_f32 v[4:5], v[4:5], v[6:7]
	ds_bpermute_b32 v2, v110, v2 offset:60
	s_waitcnt vmcnt(0)
	v_cvt_f32_f16_e32 v0, v0
	s_waitcnt lgkmcnt(2)
	v_mul_f32_e32 v21, v21, v26
	ds_bpermute_b32 v26, v110, v19 offset:56
	v_pk_add_f32 v[4:5], v[4:5], v[8:9]
	v_pk_add_f32 v[4:5], v[4:5], v[10:11]
	ds_bpermute_b32 v6, v110, v19 offset:60
	v_pk_add_f32 v[4:5], v[4:5], v[12:13]
	s_waitcnt lgkmcnt(3)
	v_sub_f32_e32 v23, v23, v27
	v_pk_add_f32 v[4:5], v[4:5], v[14:15]
	v_mul_f32_e32 v23, v23, v22
	v_pk_add_f32 v[4:5], v[4:5], v[16:17]
	s_waitcnt lgkmcnt(2)
	v_sub_f32_e32 v0, v0, v2
	s_waitcnt lgkmcnt(1)
	v_mul_f32_e32 v23, v23, v26
	v_pk_add_f32 v[4:5], v[4:5], v[20:21]
	v_mul_f32_e32 v0, v0, v18
	v_pk_add_f32 v[4:5], v[4:5], v[22:23]
	s_waitcnt lgkmcnt(0)
	v_mul_f32_e32 v19, v0, v6
	v_pk_add_f32 v[124:125], v[4:5], v[18:19]
.LBB82_86:                              ;   in Loop: Header=BB82_87 Depth=1
	buffer_load_dword v4, off, s[52:55], 0  ; 4-byte Folded Reload
	buffer_load_dword v5, off, s[52:55], 0 offset:4 ; 4-byte Folded Reload
	v_add_co_u32_e32 v50, vcc, s26, v50
	v_mov_b32_e32 v0, s27
	v_addc_co_u32_e32 v51, vcc, v51, v0, vcc
	v_add_co_u32_e32 v52, vcc, s26, v52
	v_addc_co_u32_e32 v53, vcc, v53, v0, vcc
	v_add_co_u32_e32 v54, vcc, s26, v54
	;; [unrolled: 2-line block ×31, first 2 shown]
	v_addc_co_u32_e32 v111, vcc, v111, v0, vcc
	s_waitcnt vmcnt(1)
	v_add_co_u32_e32 v4, vcc, s26, v4
	s_waitcnt vmcnt(0)
	buffer_store_dword v4, off, s[52:55], 0 ; 4-byte Folded Spill
	s_nop 0
	buffer_store_dword v5, off, s[52:55], 0 offset:4 ; 4-byte Folded Spill
	buffer_load_dword v4, off, s[52:55], 0 offset:8 ; 4-byte Folded Reload
	s_nop 0
	buffer_load_dword v5, off, s[52:55], 0 offset:12 ; 4-byte Folded Reload
	s_add_u32 s34, s34, s7
	s_addc_u32 s35, s35, 0
	s_add_u32 s24, s24, s7
	s_addc_u32 s25, s25, 0
	s_waitcnt vmcnt(0)
	v_addc_co_u32_e32 v5, vcc, v5, v0, vcc
	buffer_store_dword v4, off, s[52:55], 0 offset:8 ; 4-byte Folded Spill
	s_nop 0
	buffer_store_dword v5, off, s[52:55], 0 offset:12 ; 4-byte Folded Spill
	buffer_load_dword v4, off, s[52:55], 0 offset:16 ; 4-byte Folded Reload
	s_nop 0
	buffer_load_dword v5, off, s[52:55], 0 offset:20 ; 4-byte Folded Reload
	s_waitcnt vmcnt(1)
	v_add_co_u32_e32 v4, vcc, s26, v4
	s_waitcnt vmcnt(0)
	buffer_store_dword v4, off, s[52:55], 0 offset:16 ; 4-byte Folded Spill
	s_nop 0
	buffer_store_dword v5, off, s[52:55], 0 offset:20 ; 4-byte Folded Spill
	buffer_load_dword v4, off, s[52:55], 0 offset:24 ; 4-byte Folded Reload
	s_nop 0
	buffer_load_dword v5, off, s[52:55], 0 offset:28 ; 4-byte Folded Reload
	v_addc_co_u32_e32 v115, vcc, v115, v0, vcc
	s_waitcnt vmcnt(1)
	v_add_co_u32_e32 v4, vcc, s26, v4
	s_waitcnt vmcnt(0)
	buffer_store_dword v4, off, s[52:55], 0 offset:24 ; 4-byte Folded Spill
	s_nop 0
	buffer_store_dword v5, off, s[52:55], 0 offset:28 ; 4-byte Folded Spill
	buffer_load_dword v4, off, s[52:55], 0 offset:32 ; 4-byte Folded Reload
	s_nop 0
	buffer_load_dword v5, off, s[52:55], 0 offset:36 ; 4-byte Folded Reload
	s_waitcnt vmcnt(0)
	v_addc_co_u32_e32 v5, vcc, v5, v0, vcc
	buffer_store_dword v4, off, s[52:55], 0 offset:32 ; 4-byte Folded Spill
	s_nop 0
	buffer_store_dword v5, off, s[52:55], 0 offset:36 ; 4-byte Folded Spill
	buffer_load_dword v4, off, s[52:55], 0 offset:40 ; 4-byte Folded Reload
	s_nop 0
	buffer_load_dword v5, off, s[52:55], 0 offset:44 ; 4-byte Folded Reload
	v_add_co_u32_e32 v122, vcc, s26, v122
	s_waitcnt vmcnt(0)
	v_addc_co_u32_e32 v5, vcc, v5, v0, vcc
	buffer_store_dword v4, off, s[52:55], 0 offset:40 ; 4-byte Folded Spill
	s_nop 0
	buffer_store_dword v5, off, s[52:55], 0 offset:44 ; 4-byte Folded Spill
	buffer_load_dword v4, off, s[52:55], 0 offset:48 ; 4-byte Folded Reload
	s_nop 0
	buffer_load_dword v5, off, s[52:55], 0 offset:52 ; 4-byte Folded Reload
	s_waitcnt vmcnt(1)
	v_add_co_u32_e32 v4, vcc, s26, v4
	s_waitcnt vmcnt(0)
	buffer_store_dword v4, off, s[52:55], 0 offset:48 ; 4-byte Folded Spill
	s_nop 0
	buffer_store_dword v5, off, s[52:55], 0 offset:52 ; 4-byte Folded Spill
	buffer_load_dword v4, off, s[52:55], 0 offset:56 ; 4-byte Folded Reload
	s_nop 0
	buffer_load_dword v5, off, s[52:55], 0 offset:60 ; 4-byte Folded Reload
	v_addc_co_u32_e32 v121, vcc, v121, v0, vcc
	v_add_co_u32_e32 v126, vcc, s26, v126
	s_waitcnt vmcnt(0)
	v_addc_co_u32_e32 v5, vcc, v5, v0, vcc
	buffer_store_dword v4, off, s[52:55], 0 offset:56 ; 4-byte Folded Spill
	s_nop 0
	buffer_store_dword v5, off, s[52:55], 0 offset:60 ; 4-byte Folded Spill
	buffer_load_dword v4, off, s[52:55], 0 offset:64 ; 4-byte Folded Reload
	s_nop 0
	buffer_load_dword v5, off, s[52:55], 0 offset:68 ; 4-byte Folded Reload
	s_waitcnt vmcnt(1)
	v_add_co_u32_e32 v4, vcc, s26, v4
	s_waitcnt vmcnt(0)
	buffer_store_dword v4, off, s[52:55], 0 offset:64 ; 4-byte Folded Spill
	s_nop 0
	buffer_store_dword v5, off, s[52:55], 0 offset:68 ; 4-byte Folded Spill
	buffer_load_dword v4, off, s[52:55], 0 offset:72 ; 4-byte Folded Reload
	s_nop 0
	buffer_load_dword v5, off, s[52:55], 0 offset:76 ; 4-byte Folded Reload
	s_waitcnt vmcnt(0)
	v_addc_co_u32_e32 v5, vcc, v5, v0, vcc
	buffer_store_dword v4, off, s[52:55], 0 offset:72 ; 4-byte Folded Spill
	s_nop 0
	buffer_store_dword v5, off, s[52:55], 0 offset:76 ; 4-byte Folded Spill
	buffer_load_dword v4, off, s[52:55], 0 offset:80 ; 4-byte Folded Reload
	s_nop 0
	buffer_load_dword v5, off, s[52:55], 0 offset:84 ; 4-byte Folded Reload
	s_waitcnt vmcnt(1)
	v_add_co_u32_e32 v4, vcc, s26, v4
	s_waitcnt vmcnt(0)
	buffer_store_dword v4, off, s[52:55], 0 offset:80 ; 4-byte Folded Spill
	s_nop 0
	buffer_store_dword v5, off, s[52:55], 0 offset:84 ; 4-byte Folded Spill
	buffer_load_dword v4, off, s[52:55], 0 offset:88 ; 4-byte Folded Reload
	s_nop 0
	buffer_load_dword v5, off, s[52:55], 0 offset:92 ; 4-byte Folded Reload
	;; [unrolled: 17-line block ×22, first 2 shown]
	s_waitcnt vmcnt(0)
	v_addc_co_u32_e32 v5, vcc, v5, v0, vcc
	buffer_store_dword v4, off, s[52:55], 0 offset:408 ; 4-byte Folded Spill
	s_nop 0
	buffer_store_dword v5, off, s[52:55], 0 offset:412 ; 4-byte Folded Spill
	buffer_load_dword v4, off, s[52:55], 0 offset:416 ; 4-byte Folded Reload
	s_nop 0
	buffer_load_dword v5, off, s[52:55], 0 offset:420 ; 4-byte Folded Reload
	s_waitcnt vmcnt(1)
	v_add_co_u32_e32 v4, vcc, s26, v4
	v_addc_co_u32_e32 v127, vcc, v127, v0, vcc
	s_waitcnt vmcnt(0)
	buffer_store_dword v4, off, s[52:55], 0 offset:416 ; 4-byte Folded Spill
	s_nop 0
	buffer_store_dword v5, off, s[52:55], 0 offset:420 ; 4-byte Folded Spill
	v_add_co_u32_e32 v120, vcc, s26, v120
	v_addc_co_u32_e32 v123, vcc, v123, v0, vcc
	v_pk_mov_b32 v[4:5], s[36:37], s[36:37] op_sel:[0,1]
	v_cmp_ge_i64_e32 vcc, s[34:35], v[4:5]
	s_cbranch_vccnz .LBB82_129
.LBB82_87:                              ; =>This Inner Loop Header: Depth=1
	v_pk_mov_b32 v[4:5], s[36:37], s[36:37] op_sel:[0,1]
	v_cmp_ge_i64_e32 vcc, s[24:25], v[4:5]
	buffer_load_dword v4, off, s[52:55], 0 offset:428 ; 4-byte Folded Reload
	buffer_load_dword v5, off, s[52:55], 0 offset:432 ; 4-byte Folded Reload
	v_mov_b32_e32 v2, s25
	v_mov_b32_e32 v118, v124
	;; [unrolled: 1-line block ×3, first 2 shown]
	s_waitcnt vmcnt(1)
	v_add_co_u32_e64 v0, s[0:1], s24, v4
	v_addc_co_u32_e64 v113, s[0:1], 0, v2, s[0:1]
	s_cbranch_vccz .LBB82_125
; %bb.88:                               ;   in Loop: Header=BB82_87 Depth=1
	s_load_dword s0, s[2:3], 0xc
	buffer_load_dword v2, off, s[52:55], 0 offset:424 ; 4-byte Folded Reload
	buffer_load_dword v4, off, s[52:55], 0 offset:436 ; 4-byte Folded Reload
	v_mov_b32_e32 v125, 0
	v_mov_b32_e32 v124, 0
	s_waitcnt lgkmcnt(0)
	s_and_b32 s0, s0, 0xffff
	s_waitcnt vmcnt(0)
	v_mad_u32_u24 v2, v2, s0, v4
	v_and_b32_e32 v2, 63, v2
	v_cmp_gt_u32_e32 vcc, 16, v2
	s_and_saveexec_b64 s[0:1], vcc
	s_cbranch_execz .LBB82_92
; %bb.89:                               ;   in Loop: Header=BB82_87 Depth=1
	v_add_co_u32_e32 v2, vcc, v0, v2
	v_addc_co_u32_e32 v5, vcc, 0, v113, vcc
	v_add_co_u32_e32 v4, vcc, 0xffffff01, v2
	v_addc_co_u32_e32 v5, vcc, -1, v5, vcc
	v_cmp_gt_i64_e32 vcc, s[36:37], v[4:5]
	v_mov_b32_e32 v124, 0
	v_mov_b32_e32 v125, 0
	s_and_saveexec_b64 s[10:11], vcc
	s_cbranch_execz .LBB82_91
; %bb.90:                               ;   in Loop: Header=BB82_87 Depth=1
	v_lshlrev_b64 v[4:5], 2, v[4:5]
	v_mov_b32_e32 v2, s31
	v_add_co_u32_e32 v6, vcc, s30, v4
	v_addc_co_u32_e32 v7, vcc, v2, v5, vcc
	v_mov_b32_e32 v2, s29
	v_add_co_u32_e32 v4, vcc, s28, v4
	v_addc_co_u32_e32 v5, vcc, v2, v5, vcc
	global_load_dword v124, v[4:5], off
	global_load_dword v125, v[6:7], off
.LBB82_91:                              ;   in Loop: Header=BB82_87 Depth=1
	s_or_b64 exec, exec, s[10:11]
.LBB82_92:                              ;   in Loop: Header=BB82_87 Depth=1
	s_or_b64 exec, exec, s[0:1]
	s_mov_b32 s22, s8
	s_mov_b32 s23, s8
	v_add_co_u32_e32 v4, vcc, 0xffffff01, v0
	s_mov_b32 s9, s8
	s_mov_b32 s10, s8
	;; [unrolled: 1-line block ×13, first 2 shown]
	v_pk_mov_b32 v[32:33], s[22:23], s[22:23] op_sel:[0,1]
	v_addc_co_u32_e32 v5, vcc, -1, v113, vcc
	v_pk_mov_b32 v[30:31], s[20:21], s[20:21] op_sel:[0,1]
	v_pk_mov_b32 v[28:29], s[18:19], s[18:19] op_sel:[0,1]
	;; [unrolled: 1-line block ×8, first 2 shown]
	v_cmp_gt_i64_e32 vcc, s[36:37], v[4:5]
	v_pk_mov_b32 v[46:47], v[30:31], v[30:31] op_sel:[0,1]
	v_pk_mov_b32 v[44:45], v[28:29], v[28:29] op_sel:[0,1]
	;; [unrolled: 1-line block ×7, first 2 shown]
	s_and_saveexec_b64 s[0:1], vcc
	s_cbranch_execz .LBB82_94
; %bb.93:                               ;   in Loop: Header=BB82_87 Depth=1
	v_add_co_u32_e32 v4, vcc, v112, v116
	v_addc_co_u32_e32 v5, vcc, v1, v117, vcc
	global_load_ushort v2, v[4:5], off
	v_add_co_u32_e32 v4, vcc, v114, v116
	v_addc_co_u32_e32 v5, vcc, v111, v117, vcc
	global_load_ushort v18, v[4:5], off
	v_mov_b32_e32 v16, v3
	v_mov_b32_e32 v17, v3
	;; [unrolled: 1-line block ×29, first 2 shown]
	s_waitcnt vmcnt(1)
	v_cvt_f32_f16_e32 v2, v2
	v_pk_mov_b32 v[48:49], v[16:17], v[16:17] op_sel:[0,1]
	v_pk_mov_b32 v[46:47], v[14:15], v[14:15] op_sel:[0,1]
	;; [unrolled: 1-line block ×4, first 2 shown]
	s_waitcnt vmcnt(0)
	v_cvt_f32_f16_e32 v18, v18
	v_pk_mov_b32 v[40:41], v[8:9], v[8:9] op_sel:[0,1]
	v_pk_mov_b32 v[38:39], v[6:7], v[6:7] op_sel:[0,1]
	;; [unrolled: 1-line block ×4, first 2 shown]
.LBB82_94:                              ;   in Loop: Header=BB82_87 Depth=1
	s_or_b64 exec, exec, s[0:1]
	v_add_co_u32_e32 v4, vcc, 0xffffff02, v0
	v_addc_co_u32_e32 v5, vcc, -1, v113, vcc
	v_cmp_gt_i64_e32 vcc, s[36:37], v[4:5]
	s_and_saveexec_b64 s[0:1], vcc
	s_cbranch_execz .LBB82_96
; %bb.95:                               ;   in Loop: Header=BB82_87 Depth=1
	buffer_load_dword v4, off, s[52:55], 0 offset:416 ; 4-byte Folded Reload
	buffer_load_dword v5, off, s[52:55], 0 offset:420 ; 4-byte Folded Reload
	s_waitcnt vmcnt(1)
	v_add_co_u32_e32 v4, vcc, v4, v116
	s_waitcnt vmcnt(0)
	v_addc_co_u32_e32 v5, vcc, v127, v117, vcc
	global_load_ushort v2, v[4:5], off
	v_add_co_u32_e32 v4, vcc, v120, v116
	v_addc_co_u32_e32 v5, vcc, v123, v117, vcc
	global_load_ushort v4, v[4:5], off
	s_waitcnt vmcnt(1)
	v_cvt_f32_f16_e32 v35, v2
	s_waitcnt vmcnt(0)
	v_cvt_f32_f16_e32 v19, v4
.LBB82_96:                              ;   in Loop: Header=BB82_87 Depth=1
	s_or_b64 exec, exec, s[0:1]
	v_add_co_u32_e32 v4, vcc, 0xffffff03, v0
	v_addc_co_u32_e32 v5, vcc, -1, v113, vcc
	v_cmp_gt_i64_e32 vcc, s[36:37], v[4:5]
	s_and_saveexec_b64 s[0:1], vcc
	s_cbranch_execz .LBB82_98
; %bb.97:                               ;   in Loop: Header=BB82_87 Depth=1
	buffer_load_dword v4, off, s[52:55], 0 offset:384 ; 4-byte Folded Reload
	buffer_load_dword v5, off, s[52:55], 0 offset:388 ; 4-byte Folded Reload
	;; [unrolled: 1-line block ×4, first 2 shown]
	s_waitcnt vmcnt(3)
	v_add_co_u32_e32 v4, vcc, v4, v116
	s_waitcnt vmcnt(0)
	v_addc_co_u32_e32 v5, vcc, v7, v117, vcc
	global_load_ushort v2, v[4:5], off
	s_nop 0
	buffer_load_dword v4, off, s[52:55], 0 offset:400 ; 4-byte Folded Reload
	buffer_load_dword v5, off, s[52:55], 0 offset:404 ; 4-byte Folded Reload
	buffer_load_dword v6, off, s[52:55], 0 offset:408 ; 4-byte Folded Reload
	buffer_load_dword v7, off, s[52:55], 0 offset:412 ; 4-byte Folded Reload
	s_waitcnt vmcnt(4)
	v_cvt_f32_f16_e32 v36, v2
	s_waitcnt vmcnt(3)
	v_add_co_u32_e32 v4, vcc, v4, v116
	s_waitcnt vmcnt(0)
	v_addc_co_u32_e32 v5, vcc, v7, v117, vcc
	global_load_ushort v4, v[4:5], off
	s_waitcnt vmcnt(0)
	v_cvt_f32_f16_e32 v20, v4
.LBB82_98:                              ;   in Loop: Header=BB82_87 Depth=1
	s_or_b64 exec, exec, s[0:1]
	v_add_co_u32_e32 v4, vcc, 0xffffff04, v0
	v_addc_co_u32_e32 v5, vcc, -1, v113, vcc
	v_cmp_gt_i64_e32 vcc, s[36:37], v[4:5]
	s_and_saveexec_b64 s[0:1], vcc
	s_cbranch_execz .LBB82_100
; %bb.99:                               ;   in Loop: Header=BB82_87 Depth=1
	buffer_load_dword v4, off, s[52:55], 0 offset:352 ; 4-byte Folded Reload
	buffer_load_dword v5, off, s[52:55], 0 offset:356 ; 4-byte Folded Reload
	;; [unrolled: 1-line block ×4, first 2 shown]
	s_waitcnt vmcnt(3)
	v_add_co_u32_e32 v4, vcc, v4, v116
	s_waitcnt vmcnt(0)
	v_addc_co_u32_e32 v5, vcc, v7, v117, vcc
	global_load_ushort v2, v[4:5], off
	s_nop 0
	buffer_load_dword v4, off, s[52:55], 0 offset:368 ; 4-byte Folded Reload
	buffer_load_dword v5, off, s[52:55], 0 offset:372 ; 4-byte Folded Reload
	;; [unrolled: 1-line block ×4, first 2 shown]
	s_waitcnt vmcnt(4)
	v_cvt_f32_f16_e32 v37, v2
	s_waitcnt vmcnt(3)
	v_add_co_u32_e32 v4, vcc, v4, v116
	s_waitcnt vmcnt(0)
	v_addc_co_u32_e32 v5, vcc, v7, v117, vcc
	global_load_ushort v4, v[4:5], off
	s_waitcnt vmcnt(0)
	v_cvt_f32_f16_e32 v21, v4
.LBB82_100:                             ;   in Loop: Header=BB82_87 Depth=1
	s_or_b64 exec, exec, s[0:1]
	v_add_co_u32_e32 v4, vcc, 0xffffff05, v0
	v_addc_co_u32_e32 v5, vcc, -1, v113, vcc
	v_cmp_gt_i64_e32 vcc, s[36:37], v[4:5]
	s_and_saveexec_b64 s[0:1], vcc
	s_cbranch_execz .LBB82_102
; %bb.101:                              ;   in Loop: Header=BB82_87 Depth=1
	buffer_load_dword v4, off, s[52:55], 0 offset:320 ; 4-byte Folded Reload
	buffer_load_dword v5, off, s[52:55], 0 offset:324 ; 4-byte Folded Reload
	buffer_load_dword v6, off, s[52:55], 0 offset:328 ; 4-byte Folded Reload
	buffer_load_dword v7, off, s[52:55], 0 offset:332 ; 4-byte Folded Reload
	s_waitcnt vmcnt(3)
	v_add_co_u32_e32 v4, vcc, v4, v116
	s_waitcnt vmcnt(0)
	v_addc_co_u32_e32 v5, vcc, v7, v117, vcc
	global_load_ushort v2, v[4:5], off
	s_nop 0
	buffer_load_dword v4, off, s[52:55], 0 offset:336 ; 4-byte Folded Reload
	buffer_load_dword v5, off, s[52:55], 0 offset:340 ; 4-byte Folded Reload
	buffer_load_dword v6, off, s[52:55], 0 offset:344 ; 4-byte Folded Reload
	buffer_load_dword v7, off, s[52:55], 0 offset:348 ; 4-byte Folded Reload
	s_waitcnt vmcnt(4)
	v_cvt_f32_f16_e32 v38, v2
	s_waitcnt vmcnt(3)
	v_add_co_u32_e32 v4, vcc, v4, v116
	s_waitcnt vmcnt(0)
	v_addc_co_u32_e32 v5, vcc, v7, v117, vcc
	global_load_ushort v4, v[4:5], off
	s_waitcnt vmcnt(0)
	v_cvt_f32_f16_e32 v22, v4
.LBB82_102:                             ;   in Loop: Header=BB82_87 Depth=1
	s_or_b64 exec, exec, s[0:1]
	v_add_co_u32_e32 v4, vcc, 0xffffff06, v0
	v_addc_co_u32_e32 v5, vcc, -1, v113, vcc
	v_cmp_gt_i64_e32 vcc, s[36:37], v[4:5]
	s_and_saveexec_b64 s[0:1], vcc
	s_cbranch_execz .LBB82_104
; %bb.103:                              ;   in Loop: Header=BB82_87 Depth=1
	buffer_load_dword v4, off, s[52:55], 0 offset:288 ; 4-byte Folded Reload
	buffer_load_dword v5, off, s[52:55], 0 offset:292 ; 4-byte Folded Reload
	buffer_load_dword v6, off, s[52:55], 0 offset:296 ; 4-byte Folded Reload
	buffer_load_dword v7, off, s[52:55], 0 offset:300 ; 4-byte Folded Reload
	s_waitcnt vmcnt(3)
	v_add_co_u32_e32 v4, vcc, v4, v116
	s_waitcnt vmcnt(0)
	v_addc_co_u32_e32 v5, vcc, v7, v117, vcc
	global_load_ushort v2, v[4:5], off
	s_nop 0
	buffer_load_dword v4, off, s[52:55], 0 offset:304 ; 4-byte Folded Reload
	buffer_load_dword v5, off, s[52:55], 0 offset:308 ; 4-byte Folded Reload
	buffer_load_dword v6, off, s[52:55], 0 offset:312 ; 4-byte Folded Reload
	buffer_load_dword v7, off, s[52:55], 0 offset:316 ; 4-byte Folded Reload
	s_waitcnt vmcnt(4)
	v_cvt_f32_f16_e32 v39, v2
	s_waitcnt vmcnt(3)
	v_add_co_u32_e32 v4, vcc, v4, v116
	s_waitcnt vmcnt(0)
	v_addc_co_u32_e32 v5, vcc, v7, v117, vcc
	global_load_ushort v4, v[4:5], off
	s_waitcnt vmcnt(0)
	v_cvt_f32_f16_e32 v23, v4
.LBB82_104:                             ;   in Loop: Header=BB82_87 Depth=1
	;; [unrolled: 31-line block ×9, first 2 shown]
	s_or_b64 exec, exec, s[0:1]
	v_add_co_u32_e32 v4, vcc, 0xffffff0e, v0
	v_addc_co_u32_e32 v5, vcc, -1, v113, vcc
	v_cmp_gt_i64_e32 vcc, s[36:37], v[4:5]
	s_and_saveexec_b64 s[0:1], vcc
	s_cbranch_execz .LBB82_120
; %bb.119:                              ;   in Loop: Header=BB82_87 Depth=1
	buffer_load_dword v4, off, s[52:55], 0 offset:48 ; 4-byte Folded Reload
	buffer_load_dword v5, off, s[52:55], 0 offset:52 ; 4-byte Folded Reload
	s_waitcnt vmcnt(1)
	v_add_co_u32_e32 v4, vcc, v4, v116
	s_waitcnt vmcnt(0)
	v_addc_co_u32_e32 v5, vcc, v121, v117, vcc
	global_load_ushort v2, v[4:5], off
	buffer_load_dword v6, off, s[52:55], 0 offset:56 ; 4-byte Folded Reload
	buffer_load_dword v7, off, s[52:55], 0 offset:60 ; 4-byte Folded Reload
	v_add_co_u32_e32 v4, vcc, v126, v116
	s_waitcnt vmcnt(2)
	v_cvt_f32_f16_e32 v47, v2
	s_waitcnt vmcnt(0)
	v_addc_co_u32_e32 v5, vcc, v7, v117, vcc
	global_load_ushort v4, v[4:5], off
	s_waitcnt vmcnt(0)
	v_cvt_f32_f16_e32 v31, v4
.LBB82_120:                             ;   in Loop: Header=BB82_87 Depth=1
	s_or_b64 exec, exec, s[0:1]
	v_add_co_u32_e32 v4, vcc, 0xffffff0f, v0
	v_addc_co_u32_e32 v5, vcc, -1, v113, vcc
	v_cmp_gt_i64_e32 vcc, s[36:37], v[4:5]
	s_and_saveexec_b64 s[0:1], vcc
	s_cbranch_execz .LBB82_122
; %bb.121:                              ;   in Loop: Header=BB82_87 Depth=1
	buffer_load_dword v4, off, s[52:55], 0 offset:24 ; 4-byte Folded Reload
	buffer_load_dword v5, off, s[52:55], 0 offset:28 ; 4-byte Folded Reload
	;; [unrolled: 1-line block ×4, first 2 shown]
	s_waitcnt vmcnt(3)
	v_add_co_u32_e32 v4, vcc, v4, v116
	s_waitcnt vmcnt(0)
	v_addc_co_u32_e32 v5, vcc, v7, v117, vcc
	global_load_ushort v2, v[4:5], off
	buffer_load_dword v6, off, s[52:55], 0 offset:40 ; 4-byte Folded Reload
	buffer_load_dword v7, off, s[52:55], 0 offset:44 ; 4-byte Folded Reload
	v_add_co_u32_e32 v4, vcc, v122, v116
	s_waitcnt vmcnt(2)
	v_cvt_f32_f16_e32 v48, v2
	s_waitcnt vmcnt(0)
	v_addc_co_u32_e32 v5, vcc, v7, v117, vcc
	global_load_ushort v4, v[4:5], off
	s_waitcnt vmcnt(0)
	v_cvt_f32_f16_e32 v32, v4
.LBB82_122:                             ;   in Loop: Header=BB82_87 Depth=1
	s_or_b64 exec, exec, s[0:1]
	v_add_co_u32_e32 v4, vcc, 0xffffff10, v0
	v_addc_co_u32_e32 v5, vcc, -1, v113, vcc
	v_cmp_gt_i64_e32 vcc, s[36:37], v[4:5]
	s_and_saveexec_b64 s[0:1], vcc
	s_cbranch_execz .LBB82_124
; %bb.123:                              ;   in Loop: Header=BB82_87 Depth=1
	buffer_load_dword v4, off, s[52:55], 0  ; 4-byte Folded Reload
	buffer_load_dword v5, off, s[52:55], 0 offset:4 ; 4-byte Folded Reload
	buffer_load_dword v6, off, s[52:55], 0 offset:8 ; 4-byte Folded Reload
	;; [unrolled: 1-line block ×3, first 2 shown]
	s_waitcnt vmcnt(3)
	v_add_co_u32_e32 v4, vcc, v4, v116
	s_waitcnt vmcnt(0)
	v_addc_co_u32_e32 v5, vcc, v7, v117, vcc
	global_load_ushort v2, v[4:5], off
	s_nop 0
	buffer_load_dword v4, off, s[52:55], 0 offset:16 ; 4-byte Folded Reload
	buffer_load_dword v5, off, s[52:55], 0 offset:20 ; 4-byte Folded Reload
	s_waitcnt vmcnt(2)
	v_cvt_f32_f16_e32 v49, v2
	s_waitcnt vmcnt(1)
	v_add_co_u32_e32 v4, vcc, v4, v116
	s_waitcnt vmcnt(0)
	v_addc_co_u32_e32 v5, vcc, v115, v117, vcc
	global_load_ushort v4, v[4:5], off
	s_waitcnt vmcnt(0)
	v_cvt_f32_f16_e32 v33, v4
.LBB82_124:                             ;   in Loop: Header=BB82_87 Depth=1
	s_or_b64 exec, exec, s[0:1]
	s_waitcnt vmcnt(1)
	ds_bpermute_b32 v4, v110, v124
	s_waitcnt vmcnt(0)
	ds_bpermute_b32 v2, v110, v125
	v_mov_b32_e32 v6, v35
	v_mov_b32_e32 v8, v36
	;; [unrolled: 1-line block ×3, first 2 shown]
	s_waitcnt lgkmcnt(1)
	v_sub_f32_e32 v4, v18, v4
	v_mul_f32_e32 v4, v34, v4
	s_waitcnt lgkmcnt(0)
	v_mul_f32_e32 v5, v4, v2
	ds_bpermute_b32 v4, v110, v124 offset:4
	ds_bpermute_b32 v2, v110, v125 offset:4
	v_mov_b32_e32 v12, v38
	v_mov_b32_e32 v14, v39
	;; [unrolled: 1-line block ×3, first 2 shown]
	s_waitcnt lgkmcnt(1)
	v_sub_f32_e32 v4, v19, v4
	v_mul_f32_e32 v4, v35, v4
	s_waitcnt lgkmcnt(0)
	v_mul_f32_e32 v7, v4, v2
	ds_bpermute_b32 v4, v110, v124 offset:8
	ds_bpermute_b32 v2, v110, v125 offset:8
	v_mov_b32_e32 v18, v46
	s_waitcnt lgkmcnt(1)
	v_sub_f32_e32 v4, v20, v4
	v_mul_f32_e32 v4, v36, v4
	s_waitcnt lgkmcnt(0)
	v_mul_f32_e32 v9, v4, v2
	ds_bpermute_b32 v4, v110, v124 offset:12
	ds_bpermute_b32 v2, v110, v125 offset:12
	v_mov_b32_e32 v20, v47
	s_waitcnt lgkmcnt(1)
	v_sub_f32_e32 v4, v21, v4
	v_mul_f32_e32 v4, v37, v4
	s_waitcnt lgkmcnt(0)
	v_mul_f32_e32 v11, v4, v2
	ds_bpermute_b32 v4, v110, v124 offset:16
	ds_bpermute_b32 v2, v110, v125 offset:16
	s_waitcnt lgkmcnt(1)
	v_sub_f32_e32 v4, v22, v4
	v_mul_f32_e32 v4, v38, v4
	s_waitcnt lgkmcnt(0)
	v_mul_f32_e32 v13, v4, v2
	ds_bpermute_b32 v4, v110, v124 offset:20
	ds_bpermute_b32 v2, v110, v125 offset:20
	v_mov_b32_e32 v22, v48
	s_waitcnt lgkmcnt(1)
	v_sub_f32_e32 v4, v23, v4
	v_mul_f32_e32 v4, v39, v4
	s_waitcnt lgkmcnt(0)
	v_mul_f32_e32 v15, v4, v2
	v_mov_b32_e32 v4, v34
	v_pk_add_f32 v[4:5], v[118:119], v[4:5]
	v_pk_add_f32 v[4:5], v[6:7], v[4:5]
	ds_bpermute_b32 v6, v110, v124 offset:24
	ds_bpermute_b32 v2, v110, v125 offset:24
	v_pk_add_f32 v[4:5], v[8:9], v[4:5]
	v_pk_add_f32 v[4:5], v[10:11], v[4:5]
	v_pk_add_f32 v[4:5], v[12:13], v[4:5]
	s_waitcnt lgkmcnt(1)
	v_sub_f32_e32 v6, v24, v6
	v_mul_f32_e32 v6, v40, v6
	s_waitcnt lgkmcnt(0)
	v_mul_f32_e32 v7, v6, v2
	ds_bpermute_b32 v6, v110, v124 offset:28
	ds_bpermute_b32 v2, v110, v125 offset:28
	v_pk_add_f32 v[4:5], v[14:15], v[4:5]
	v_mov_b32_e32 v8, v41
	v_mov_b32_e32 v10, v42
	s_waitcnt lgkmcnt(1)
	v_sub_f32_e32 v6, v25, v6
	v_mul_f32_e32 v6, v41, v6
	s_waitcnt lgkmcnt(0)
	v_mul_f32_e32 v9, v6, v2
	ds_bpermute_b32 v6, v110, v124 offset:32
	ds_bpermute_b32 v2, v110, v125 offset:32
	v_mov_b32_e32 v12, v43
	v_mov_b32_e32 v14, v44
	s_waitcnt lgkmcnt(1)
	v_sub_f32_e32 v6, v26, v6
	v_mul_f32_e32 v6, v42, v6
	s_waitcnt lgkmcnt(0)
	v_mul_f32_e32 v11, v6, v2
	ds_bpermute_b32 v6, v110, v124 offset:36
	ds_bpermute_b32 v2, v110, v125 offset:36
	s_waitcnt lgkmcnt(1)
	v_sub_f32_e32 v6, v27, v6
	v_mul_f32_e32 v6, v43, v6
	s_waitcnt lgkmcnt(0)
	v_mul_f32_e32 v13, v6, v2
	ds_bpermute_b32 v6, v110, v124 offset:40
	ds_bpermute_b32 v2, v110, v125 offset:40
	;; [unrolled: 7-line block ×6, first 2 shown]
	s_waitcnt lgkmcnt(1)
	v_sub_f32_e32 v6, v32, v6
	v_mul_f32_e32 v6, v48, v6
	s_waitcnt lgkmcnt(0)
	v_mul_f32_e32 v23, v6, v2
	v_mov_b32_e32 v6, v40
	v_pk_add_f32 v[4:5], v[6:7], v[4:5]
	v_pk_add_f32 v[4:5], v[8:9], v[4:5]
	ds_bpermute_b32 v6, v110, v124 offset:60
	v_pk_add_f32 v[4:5], v[10:11], v[4:5]
	v_pk_add_f32 v[4:5], v[12:13], v[4:5]
	ds_bpermute_b32 v2, v110, v125 offset:60
	v_pk_add_f32 v[4:5], v[14:15], v[4:5]
	v_pk_add_f32 v[4:5], v[16:17], v[4:5]
	;; [unrolled: 1-line block ×3, first 2 shown]
	s_waitcnt lgkmcnt(1)
	v_sub_f32_e32 v6, v33, v6
	v_pk_add_f32 v[4:5], v[20:21], v[4:5]
	v_mul_f32_e32 v6, v49, v6
	v_pk_add_f32 v[4:5], v[22:23], v[4:5]
	s_waitcnt lgkmcnt(0)
	v_mul_f32_e32 v7, v6, v2
	v_mov_b32_e32 v6, v49
	v_pk_add_f32 v[124:125], v[6:7], v[4:5]
	s_branch .LBB82_86
.LBB82_125:                             ;   in Loop: Header=BB82_87 Depth=1
                                        ; implicit-def: $vgpr125
	s_cbranch_execz .LBB82_86
; %bb.126:                              ;   in Loop: Header=BB82_87 Depth=1
	s_load_dword s0, s[2:3], 0x0
	v_mov_b32_e32 v19, 0
	s_waitcnt lgkmcnt(0)
	s_cmp_lt_u32 s6, s0
	s_cselect_b32 s0, 12, 18
	s_add_u32 s0, s2, s0
	s_addc_u32 s1, s3, 0
	global_load_ushort v2, v3, s[0:1]
	buffer_load_dword v4, off, s[52:55], 0 offset:424 ; 4-byte Folded Reload
	buffer_load_dword v5, off, s[52:55], 0 offset:436 ; 4-byte Folded Reload
	s_waitcnt vmcnt(0)
	v_mad_u32_u24 v2, v4, v2, v5
	v_and_b32_e32 v4, 63, v2
	v_cmp_gt_u32_e32 vcc, 16, v4
	v_mov_b32_e32 v2, 0
	s_and_saveexec_b64 s[0:1], vcc
	s_cbranch_execz .LBB82_85
; %bb.127:                              ;   in Loop: Header=BB82_87 Depth=1
	v_add_co_u32_e32 v0, vcc, v0, v4
	v_addc_co_u32_e32 v2, vcc, 0, v113, vcc
	v_add_co_u32_e32 v4, vcc, 0xffffff01, v0
	v_addc_co_u32_e32 v5, vcc, -1, v2, vcc
	v_cmp_gt_i64_e32 vcc, s[36:37], v[4:5]
	v_mov_b32_e32 v2, 0
	v_mov_b32_e32 v19, 0
	s_and_saveexec_b64 s[10:11], vcc
	s_cbranch_execz .LBB82_84
; %bb.128:                              ;   in Loop: Header=BB82_87 Depth=1
	v_lshlrev_b64 v[4:5], 2, v[4:5]
	v_mov_b32_e32 v0, s31
	v_add_co_u32_e32 v6, vcc, s30, v4
	v_addc_co_u32_e32 v7, vcc, v0, v5, vcc
	v_mov_b32_e32 v0, s29
	v_add_co_u32_e32 v4, vcc, s28, v4
	v_addc_co_u32_e32 v5, vcc, v0, v5, vcc
	global_load_dword v2, v[4:5], off
	global_load_dword v19, v[6:7], off
	s_branch .LBB82_84
.LBB82_129:
	buffer_load_dword v122, off, s[52:55], 0 offset:440 ; 4-byte Folded Reload
.LBB82_130:
	s_waitcnt vmcnt(0)
	v_bfe_u32 v6, v122, 10, 10
	v_and_b32_e32 v0, 0x3ff, v122
	s_movk_i32 s0, 0x41
	v_mad_u32_u24 v1, v6, s0, v0
	v_lshl_add_u32 v1, v1, 2, 0
	v_lshrrev_b32_e32 v7, 6, v0
	ds_write_b32 v1, v125
	ds_write_b32 v1, v124 offset:4160
	v_add_u32_e32 v1, v7, v6
	s_mov_b32 s7, 0
	v_cmp_gt_u32_e32 vcc, 64, v1
	s_waitcnt lgkmcnt(0)
	s_barrier
	s_and_saveexec_b64 s[0:1], vcc
	s_cbranch_execz .LBB82_140
; %bb.131:
	v_and_b32_e32 v1, 63, v0
	v_cmp_gt_u32_e64 s[0:1], 16, v1
	v_mul_u32_u24_e32 v12, 0x41, v1
	v_mbcnt_lo_u32_b32 v1, -1, 0
	v_mbcnt_hi_u32_b32 v1, -1, v1
	v_and_b32_e32 v2, 64, v1
	v_add_u32_e32 v2, 64, v2
	v_cmp_eq_u32_e64 s[2:3], 0, v0
	v_xor_b32_e32 v0, 8, v1
	v_cmp_lt_i32_e32 vcc, v0, v2
	v_cndmask_b32_e32 v0, v1, v0, vcc
	v_lshlrev_b32_e32 v8, 2, v0
	v_xor_b32_e32 v0, 4, v1
	v_cmp_lt_i32_e32 vcc, v0, v2
	v_cndmask_b32_e32 v0, v1, v0, vcc
	v_lshlrev_b32_e32 v9, 2, v0
	v_xor_b32_e32 v0, 2, v1
	v_cmp_lt_i32_e32 vcc, v0, v2
	v_cndmask_b32_e32 v0, v1, v0, vcc
	v_lshlrev_b32_e32 v10, 2, v0
	v_xor_b32_e32 v0, 1, v1
	s_load_dwordx4 s[8:11], s[4:5], 0x30
	v_cmp_lt_i32_e32 vcc, v0, v2
	v_cndmask_b32_e32 v0, v1, v0, vcc
	s_lshl_b64 s[12:13], s[6:7], 6
	v_lshlrev_b32_e32 v11, 2, v0
	v_add_co_u32_e32 v0, vcc, v7, v6
	v_addc_co_u32_e64 v1, s[6:7], 0, 0, vcc
	v_mov_b32_e32 v3, s13
	v_add_co_u32_e32 v2, vcc, s12, v0
	v_addc_co_u32_e32 v3, vcc, v1, v3, vcc
	s_waitcnt lgkmcnt(0)
	s_cmp_lg_u64 s[8:9], 0
	v_lshlrev_b64 v[4:5], 1, v[2:3]
	s_cselect_b64 s[4:5], -1, 0
	s_cmp_lg_u64 s[10:11], 0
	v_mov_b32_e32 v3, s11
	v_add_co_u32_e32 v2, vcc, s10, v4
	v_add3_u32 v6, v12, v6, v7
	v_addc_co_u32_e32 v3, vcc, v3, v5, vcc
	v_lshl_add_u32 v12, v6, 2, 0
	v_cndmask_b32_e64 v6, 0, 1, s[4:5]
	s_cselect_b64 s[6:7], -1, 0
	v_mov_b32_e32 v13, s9
	v_add_co_u32_e32 v4, vcc, s8, v4
	v_cmp_ne_u32_e64 s[4:5], 1, v6
	v_cndmask_b32_e64 v6, 0, 1, s[6:7]
	s_mov_b64 s[14:15], 0
	v_addc_co_u32_e32 v5, vcc, v13, v5, vcc
	v_mov_b32_e32 v13, s13
	v_cmp_ne_u32_e64 s[6:7], 1, v6
                                        ; implicit-def: $vgpr6
	s_branch .LBB82_133
.LBB82_132:                             ;   in Loop: Header=BB82_133 Depth=1
	s_or_b64 exec, exec, s[8:9]
	v_add_co_u32_e32 v0, vcc, 16, v0
	v_addc_co_u32_e32 v1, vcc, 0, v1, vcc
	v_add_co_u32_e32 v2, vcc, 32, v2
	v_addc_co_u32_e32 v3, vcc, 0, v3, vcc
	v_add_co_u32_e32 v4, vcc, 32, v4
	v_add_u32_e32 v14, -16, v0
	v_addc_co_u32_e32 v5, vcc, 0, v5, vcc
	v_cmp_lt_u32_e32 vcc, 47, v14
	s_or_b64 s[14:15], vcc, s[14:15]
	v_add_u32_e32 v12, 64, v12
	s_andn2_b64 exec, exec, s[14:15]
	s_cbranch_execz .LBB82_140
.LBB82_133:                             ; =>This Inner Loop Header: Depth=1
	s_and_saveexec_b64 s[8:9], s[0:1]
	s_cbranch_execz .LBB82_135
; %bb.134:                              ;   in Loop: Header=BB82_133 Depth=1
	ds_read_b32 v7, v12
	ds_read_b32 v6, v12 offset:4160
.LBB82_135:                             ;   in Loop: Header=BB82_133 Depth=1
	s_or_b64 exec, exec, s[8:9]
	s_waitcnt lgkmcnt(1)
	ds_bpermute_b32 v15, v8, v7
	s_waitcnt lgkmcnt(1)
	ds_bpermute_b32 v14, v8, v6
	v_add_co_u32_e32 v16, vcc, s12, v0
	v_addc_co_u32_e32 v17, vcc, v13, v1, vcc
	s_waitcnt lgkmcnt(0)
	v_pk_add_f32 v[6:7], v[6:7], v[14:15]
	ds_bpermute_b32 v15, v9, v7
	ds_bpermute_b32 v14, v9, v6
	v_cmp_gt_i64_e32 vcc, s[38:39], v[16:17]
	s_and_b64 s[10:11], s[2:3], vcc
	s_waitcnt lgkmcnt(0)
	v_pk_add_f32 v[6:7], v[6:7], v[14:15]
	ds_bpermute_b32 v15, v10, v7
	ds_bpermute_b32 v14, v10, v6
	s_waitcnt lgkmcnt(0)
	v_pk_add_f32 v[6:7], v[6:7], v[14:15]
	ds_bpermute_b32 v15, v11, v7
	ds_bpermute_b32 v14, v11, v6
	s_waitcnt lgkmcnt(0)
	v_pk_add_f32 v[6:7], v[6:7], v[14:15]
	s_and_saveexec_b64 s[8:9], s[10:11]
	s_cbranch_execz .LBB82_132
; %bb.136:                              ;   in Loop: Header=BB82_133 Depth=1
	s_and_b64 vcc, exec, s[4:5]
	s_cbranch_vccnz .LBB82_138
; %bb.137:                              ;   in Loop: Header=BB82_133 Depth=1
	v_cvt_f16_f32_e32 v14, v7
	global_store_short v[4:5], v14, off
.LBB82_138:                             ;   in Loop: Header=BB82_133 Depth=1
	s_and_b64 vcc, exec, s[6:7]
	s_cbranch_vccnz .LBB82_132
; %bb.139:                              ;   in Loop: Header=BB82_133 Depth=1
	v_cvt_f16_f32_e32 v14, v6
	global_store_short v[2:3], v14, off
	s_branch .LBB82_132
.LBB82_140:
	s_endpgm
	.section	.rodata,"a",@progbits
	.p2align	6, 0x0
	.amdhsa_kernel _ZN2at6native12_GLOBAL__N_135GammaBetaBackwardCUDAKernelTemplateIN3c104HalfEfLj64ELj16ELj256ELb0ELb0ELb0EEEvllPKT_S7_PKT0_SA_PS5_SB_
		.amdhsa_group_segment_fixed_size 0
		.amdhsa_private_segment_fixed_size 448
		.amdhsa_kernarg_size 320
		.amdhsa_user_sgpr_count 6
		.amdhsa_user_sgpr_private_segment_buffer 1
		.amdhsa_user_sgpr_dispatch_ptr 0
		.amdhsa_user_sgpr_queue_ptr 0
		.amdhsa_user_sgpr_kernarg_segment_ptr 1
		.amdhsa_user_sgpr_dispatch_id 0
		.amdhsa_user_sgpr_flat_scratch_init 0
		.amdhsa_user_sgpr_kernarg_preload_length 0
		.amdhsa_user_sgpr_kernarg_preload_offset 0
		.amdhsa_user_sgpr_private_segment_size 0
		.amdhsa_uses_dynamic_stack 0
		.amdhsa_system_sgpr_private_segment_wavefront_offset 1
		.amdhsa_system_sgpr_workgroup_id_x 1
		.amdhsa_system_sgpr_workgroup_id_y 1
		.amdhsa_system_sgpr_workgroup_id_z 0
		.amdhsa_system_sgpr_workgroup_info 0
		.amdhsa_system_vgpr_workitem_id 1
		.amdhsa_next_free_vgpr 128
		.amdhsa_next_free_sgpr 56
		.amdhsa_accum_offset 128
		.amdhsa_reserve_vcc 1
		.amdhsa_reserve_flat_scratch 0
		.amdhsa_float_round_mode_32 0
		.amdhsa_float_round_mode_16_64 0
		.amdhsa_float_denorm_mode_32 3
		.amdhsa_float_denorm_mode_16_64 3
		.amdhsa_dx10_clamp 1
		.amdhsa_ieee_mode 1
		.amdhsa_fp16_overflow 0
		.amdhsa_tg_split 0
		.amdhsa_exception_fp_ieee_invalid_op 0
		.amdhsa_exception_fp_denorm_src 0
		.amdhsa_exception_fp_ieee_div_zero 0
		.amdhsa_exception_fp_ieee_overflow 0
		.amdhsa_exception_fp_ieee_underflow 0
		.amdhsa_exception_fp_ieee_inexact 0
		.amdhsa_exception_int_div_zero 0
	.end_amdhsa_kernel
	.section	.text._ZN2at6native12_GLOBAL__N_135GammaBetaBackwardCUDAKernelTemplateIN3c104HalfEfLj64ELj16ELj256ELb0ELb0ELb0EEEvllPKT_S7_PKT0_SA_PS5_SB_,"axG",@progbits,_ZN2at6native12_GLOBAL__N_135GammaBetaBackwardCUDAKernelTemplateIN3c104HalfEfLj64ELj16ELj256ELb0ELb0ELb0EEEvllPKT_S7_PKT0_SA_PS5_SB_,comdat
.Lfunc_end82:
	.size	_ZN2at6native12_GLOBAL__N_135GammaBetaBackwardCUDAKernelTemplateIN3c104HalfEfLj64ELj16ELj256ELb0ELb0ELb0EEEvllPKT_S7_PKT0_SA_PS5_SB_, .Lfunc_end82-_ZN2at6native12_GLOBAL__N_135GammaBetaBackwardCUDAKernelTemplateIN3c104HalfEfLj64ELj16ELj256ELb0ELb0ELb0EEEvllPKT_S7_PKT0_SA_PS5_SB_
                                        ; -- End function
	.section	.AMDGPU.csdata,"",@progbits
; Kernel info:
; codeLenInByte = 19008
; NumSgprs: 60
; NumVgprs: 128
; NumAgprs: 0
; TotalNumVgprs: 128
; ScratchSize: 448
; MemoryBound: 0
; FloatMode: 240
; IeeeMode: 1
; LDSByteSize: 0 bytes/workgroup (compile time only)
; SGPRBlocks: 7
; VGPRBlocks: 15
; NumSGPRsForWavesPerEU: 60
; NumVGPRsForWavesPerEU: 128
; AccumOffset: 128
; Occupancy: 4
; WaveLimiterHint : 0
; COMPUTE_PGM_RSRC2:SCRATCH_EN: 1
; COMPUTE_PGM_RSRC2:USER_SGPR: 6
; COMPUTE_PGM_RSRC2:TRAP_HANDLER: 0
; COMPUTE_PGM_RSRC2:TGID_X_EN: 1
; COMPUTE_PGM_RSRC2:TGID_Y_EN: 1
; COMPUTE_PGM_RSRC2:TGID_Z_EN: 0
; COMPUTE_PGM_RSRC2:TIDIG_COMP_CNT: 1
; COMPUTE_PGM_RSRC3_GFX90A:ACCUM_OFFSET: 31
; COMPUTE_PGM_RSRC3_GFX90A:TG_SPLIT: 0
	.section	.text._ZN2at6native12_GLOBAL__N_135GammaBetaBackwardCUDAKernelTemplateIN3c104HalfEfLj32ELj1ELj32ELb1ELb1ELb0EEEvllPKT_S7_PKT0_SA_PS5_SB_,"axG",@progbits,_ZN2at6native12_GLOBAL__N_135GammaBetaBackwardCUDAKernelTemplateIN3c104HalfEfLj32ELj1ELj32ELb1ELb1ELb0EEEvllPKT_S7_PKT0_SA_PS5_SB_,comdat
	.globl	_ZN2at6native12_GLOBAL__N_135GammaBetaBackwardCUDAKernelTemplateIN3c104HalfEfLj32ELj1ELj32ELb1ELb1ELb0EEEvllPKT_S7_PKT0_SA_PS5_SB_ ; -- Begin function _ZN2at6native12_GLOBAL__N_135GammaBetaBackwardCUDAKernelTemplateIN3c104HalfEfLj32ELj1ELj32ELb1ELb1ELb0EEEvllPKT_S7_PKT0_SA_PS5_SB_
	.p2align	8
	.type	_ZN2at6native12_GLOBAL__N_135GammaBetaBackwardCUDAKernelTemplateIN3c104HalfEfLj32ELj1ELj32ELb1ELb1ELb0EEEvllPKT_S7_PKT0_SA_PS5_SB_,@function
_ZN2at6native12_GLOBAL__N_135GammaBetaBackwardCUDAKernelTemplateIN3c104HalfEfLj32ELj1ELj32ELb1ELb1ELb0EEEvllPKT_S7_PKT0_SA_PS5_SB_: ; @_ZN2at6native12_GLOBAL__N_135GammaBetaBackwardCUDAKernelTemplateIN3c104HalfEfLj32ELj1ELj32ELb1ELb1ELb0EEEvllPKT_S7_PKT0_SA_PS5_SB_
; %bb.0:
	s_load_dwordx4 s[16:19], s[4:5], 0x0
	s_lshl_b32 s24, s7, 5
	s_mov_b32 s25, 0
	s_mov_b32 s2, s7
	v_bfe_u32 v12, v0, 10, 10
	s_waitcnt lgkmcnt(0)
	v_pk_mov_b32 v[2:3], s[16:17], s[16:17] op_sel:[0,1]
	v_cmp_lt_i64_e32 vcc, s[24:25], v[2:3]
	s_cbranch_vccnz .LBB83_2
; %bb.1:
	s_add_u32 s26, s4, 64
	s_addc_u32 s27, s5, 0
	s_mov_b64 s[0:1], 0
	v_bfe_u32 v2, v0, 10, 10
	s_branch .LBB83_3
.LBB83_2:
	s_mov_b64 s[0:1], -1
                                        ; implicit-def: $sgpr26_sgpr27
                                        ; implicit-def: $vgpr2
.LBB83_3:
	s_load_dwordx4 s[20:23], s[4:5], 0x30
	v_and_b32_e32 v13, 0x3ff, v0
	s_andn2_b64 vcc, exec, s[0:1]
	v_mov_b32_e32 v4, s25
	s_cbranch_vccnz .LBB83_11
; %bb.4:
	s_load_dword s0, s[4:5], 0x4c
	s_load_dword s3, s[4:5], 0x44
	s_load_dwordx8 s[8:15], s[4:5], 0x10
	v_mbcnt_lo_u32_b32 v2, -1, 0
	s_add_u32 s26, s4, 64
	v_mbcnt_hi_u32_b32 v2, -1, v2
	s_addc_u32 s27, s5, 0
	s_waitcnt lgkmcnt(0)
	s_and_b32 s0, s0, 0xffff
	v_lshlrev_b32_e32 v1, 5, v12
	v_lshlrev_b32_e32 v2, 2, v2
	v_mad_u32_u24 v0, v12, s0, v13
	v_and_b32_e32 v14, 0x100, v2
	v_mov_b32_e32 v2, s25
	v_add_co_u32_e32 v4, vcc, s24, v1
	v_and_b32_e32 v0, 63, v0
	v_addc_co_u32_e32 v5, vcc, 0, v2, vcc
	v_cmp_gt_u32_e64 s[0:1], 32, v0
	v_add_co_u32_e32 v0, vcc, v4, v0
	v_addc_co_u32_e32 v1, vcc, 0, v5, vcc
	v_mul_lo_u32 v8, s19, v4
	v_mul_lo_u32 v9, s18, v5
	v_mad_u64_u32 v[4:5], s[30:31], s18, v4, 0
	v_mov_b32_e32 v7, 0
	v_lshl_add_u32 v6, s6, 5, v13
	s_lshl_b32 s4, s3, 5
	v_add3_u32 v5, v5, v9, v8
	v_lshlrev_b64 v[4:5], 1, v[4:5]
	v_lshlrev_b64 v[8:9], 1, v[6:7]
	s_mul_i32 s3, s19, s4
	s_mul_hi_u32 s7, s18, s4
	s_mov_b32 s5, 0
	v_add_co_u32_e32 v4, vcc, v4, v8
	s_add_i32 s31, s7, s3
	s_mul_i32 s30, s18, s4
	v_or_b32_e32 v15, 4, v14
	v_or_b32_e32 v16, 8, v14
	;; [unrolled: 1-line block ×31, first 2 shown]
	v_lshlrev_b64 v[2:3], 2, v[0:1]
	s_lshl_b64 s[28:29], s[4:5], 2
	v_addc_co_u32_e32 v5, vcc, v5, v9, vcc
	s_lshl_b64 s[30:31], s[30:31], 1
	s_lshl_b64 s[34:35], s[18:19], 1
	v_mov_b32_e32 v6, v7
	s_branch .LBB83_7
.LBB83_5:                               ;   in Loop: Header=BB83_7 Depth=1
	s_or_b64 exec, exec, s[38:39]
.LBB83_6:                               ;   in Loop: Header=BB83_7 Depth=1
	s_or_b64 exec, exec, s[36:37]
	v_mov_b32_e32 v9, s11
	v_add_co_u32_e32 v8, vcc, s10, v4
	v_addc_co_u32_e32 v9, vcc, v9, v5, vcc
	global_load_ushort v49, v[8:9], off
	v_mov_b32_e32 v11, s9
	v_add_co_u32_e32 v10, vcc, s8, v4
	v_addc_co_u32_e32 v11, vcc, v11, v5, vcc
	v_mov_b32_e32 v48, s35
	v_add_co_u32_e32 v8, vcc, s34, v8
	global_load_ushort v50, v[10:11], off
	v_addc_co_u32_e32 v9, vcc, v9, v48, vcc
	global_load_ushort v52, v[8:9], off
	v_add_co_u32_e32 v10, vcc, s34, v10
	v_addc_co_u32_e32 v11, vcc, v11, v48, vcc
	v_add_co_u32_e32 v56, vcc, s34, v8
	v_addc_co_u32_e32 v57, vcc, v9, v48, vcc
	global_load_ushort v51, v[10:11], off
	v_add_co_u32_e32 v8, vcc, s34, v10
	global_load_ushort v53, v[56:57], off
	v_addc_co_u32_e32 v9, vcc, v11, v48, vcc
	global_load_ushort v54, v[8:9], off
	v_add_co_u32_e32 v10, vcc, s34, v56
	v_addc_co_u32_e32 v11, vcc, v57, v48, vcc
	global_load_ushort v55, v[10:11], off
	v_add_co_u32_e32 v10, vcc, s34, v10
	v_addc_co_u32_e32 v11, vcc, v11, v48, vcc
	v_add_co_u32_e32 v8, vcc, s34, v8
	v_addc_co_u32_e32 v9, vcc, v9, v48, vcc
	global_load_ushort v61, v[8:9], off
	v_add_co_u32_e32 v8, vcc, s34, v8
	v_addc_co_u32_e32 v9, vcc, v9, v48, vcc
	global_load_ushort v60, v[10:11], off
	v_add_co_u32_e32 v10, vcc, s34, v10
	global_load_ushort v62, v[8:9], off
	v_addc_co_u32_e32 v11, vcc, v11, v48, vcc
	v_add_co_u32_e32 v8, vcc, s34, v8
	global_load_ushort v63, v[10:11], off
	v_addc_co_u32_e32 v9, vcc, v9, v48, vcc
	v_add_co_u32_e32 v56, vcc, s34, v10
	v_addc_co_u32_e32 v57, vcc, v11, v48, vcc
	v_add_co_u32_e32 v10, vcc, s34, v8
	global_load_ushort v64, v[8:9], off
	global_load_ushort v65, v[56:57], off
	v_addc_co_u32_e32 v11, vcc, v9, v48, vcc
	global_load_ushort v66, v[10:11], off
	v_add_co_u32_e32 v8, vcc, s34, v56
	v_addc_co_u32_e32 v9, vcc, v57, v48, vcc
	v_add_co_u32_e32 v56, vcc, s34, v10
	v_addc_co_u32_e32 v57, vcc, v11, v48, vcc
	v_add_co_u32_e32 v10, vcc, s34, v8
	global_load_ushort v67, v[8:9], off
	v_addc_co_u32_e32 v11, vcc, v9, v48, vcc
	v_add_co_u32_e32 v8, vcc, s34, v56
	global_load_ushort v68, v[56:57], off
	global_load_ushort v69, v[10:11], off
	v_addc_co_u32_e32 v9, vcc, v57, v48, vcc
	v_add_co_u32_e32 v10, vcc, s34, v10
	v_addc_co_u32_e32 v11, vcc, v11, v48, vcc
	global_load_ushort v70, v[8:9], off
	global_load_ushort v71, v[10:11], off
	v_add_co_u32_e32 v8, vcc, s34, v8
	v_addc_co_u32_e32 v9, vcc, v9, v48, vcc
	global_load_ushort v72, v[8:9], off
	v_add_co_u32_e32 v10, vcc, s34, v10
	v_addc_co_u32_e32 v11, vcc, v11, v48, vcc
	v_add_co_u32_e32 v56, vcc, s34, v8
	global_load_ushort v73, v[10:11], off
	v_addc_co_u32_e32 v57, vcc, v9, v48, vcc
	global_load_ushort v74, v[56:57], off
	s_waitcnt vmcnt(23)
	ds_bpermute_b32 v8, v14, v47
	s_waitcnt vmcnt(21)
	v_cvt_f32_f16_e32 v9, v49
	ds_bpermute_b32 v49, v14, v46
	s_waitcnt vmcnt(20)
	v_cvt_f32_f16_e32 v58, v50
	s_waitcnt vmcnt(19)
	v_cvt_f32_f16_e32 v50, v52
	s_waitcnt lgkmcnt(1)
	v_sub_f32_e32 v8, v9, v8
	ds_bpermute_b32 v9, v15, v47
	v_mul_f32_e32 v8, v8, v58
	s_waitcnt lgkmcnt(1)
	v_mul_f32_e32 v59, v8, v49
	ds_bpermute_b32 v8, v15, v46
	ds_bpermute_b32 v49, v16, v47
	s_waitcnt lgkmcnt(2)
	v_sub_f32_e32 v9, v50, v9
	s_waitcnt vmcnt(18)
	v_cvt_f32_f16_e32 v50, v51
	s_waitcnt vmcnt(17)
	v_cvt_f32_f16_e32 v53, v53
	ds_bpermute_b32 v75, v16, v46
	s_waitcnt vmcnt(16)
	v_cvt_f32_f16_e32 v52, v54
	v_mul_f32_e32 v9, v9, v50
	s_waitcnt lgkmcnt(2)
	v_mul_f32_e32 v51, v9, v8
	s_waitcnt lgkmcnt(1)
	v_sub_f32_e32 v8, v53, v49
	v_mul_f32_e32 v8, v8, v52
	s_waitcnt lgkmcnt(0)
	v_mul_f32_e32 v53, v8, v75
	ds_bpermute_b32 v8, v17, v47
	s_waitcnt vmcnt(15)
	v_cvt_f32_f16_e32 v9, v55
	ds_bpermute_b32 v49, v18, v47
	s_waitcnt vmcnt(13)
	v_cvt_f32_f16_e32 v55, v60
	v_cvt_f32_f16_e32 v54, v61
	s_waitcnt lgkmcnt(1)
	v_sub_f32_e32 v8, v9, v8
	ds_bpermute_b32 v9, v17, v46
	s_waitcnt vmcnt(12)
	v_cvt_f32_f16_e32 v60, v62
	ds_bpermute_b32 v61, v18, v46
	ds_bpermute_b32 v62, v19, v47
	s_waitcnt vmcnt(11)
	v_cvt_f32_f16_e32 v63, v63
	s_waitcnt lgkmcnt(3)
	v_sub_f32_e32 v49, v55, v49
	v_mul_f32_e32 v8, v8, v54
	s_waitcnt lgkmcnt(2)
	v_mul_f32_e32 v55, v8, v9
	v_mul_f32_e32 v8, v49, v60
	s_waitcnt lgkmcnt(1)
	v_mul_f32_e32 v61, v8, v61
	s_waitcnt lgkmcnt(0)
	v_sub_f32_e32 v8, v63, v62
	s_waitcnt vmcnt(10)
	v_cvt_f32_f16_e32 v62, v64
	ds_bpermute_b32 v9, v19, v46
	s_waitcnt vmcnt(9)
	v_cvt_f32_f16_e32 v49, v65
	ds_bpermute_b32 v65, v20, v47
	;; [unrolled: 3-line block ×3, first 2 shown]
	v_mul_f32_e32 v8, v8, v62
	s_waitcnt lgkmcnt(2)
	v_mul_f32_e32 v63, v8, v9
	s_waitcnt lgkmcnt(1)
	v_sub_f32_e32 v8, v49, v65
	v_mul_f32_e32 v8, v8, v64
	ds_bpermute_b32 v9, v21, v47
	s_waitcnt lgkmcnt(1)
	v_mul_f32_e32 v65, v8, v66
	ds_bpermute_b32 v49, v21, v46
	v_add_co_u32_e32 v10, vcc, s34, v10
	s_waitcnt vmcnt(7)
	v_cvt_f32_f16_e32 v8, v67
	v_addc_co_u32_e32 v11, vcc, v11, v48, vcc
	s_waitcnt vmcnt(6)
	v_cvt_f32_f16_e32 v66, v68
	ds_bpermute_b32 v68, v22, v47
	s_waitcnt vmcnt(5)
	v_cvt_f32_f16_e32 v69, v69
	s_waitcnt lgkmcnt(2)
	v_sub_f32_e32 v8, v8, v9
	v_mul_f32_e32 v8, v8, v66
	s_waitcnt lgkmcnt(1)
	v_mul_f32_e32 v67, v8, v49
	s_waitcnt lgkmcnt(0)
	v_sub_f32_e32 v9, v69, v68
	s_waitcnt vmcnt(4)
	v_cvt_f32_f16_e32 v68, v70
	ds_bpermute_b32 v49, v22, v46
	s_waitcnt vmcnt(3)
	v_cvt_f32_f16_e32 v70, v71
	ds_bpermute_b32 v71, v23, v47
	v_mul_f32_e32 v9, v9, v68
	v_pk_add_f32 v[6:7], v[6:7], v[58:59]
	s_waitcnt vmcnt(2)
	v_cvt_f32_f16_e32 v8, v72
	ds_bpermute_b32 v72, v23, v46
	s_waitcnt lgkmcnt(2)
	v_mul_f32_e32 v69, v9, v49
	s_waitcnt lgkmcnt(1)
	v_sub_f32_e32 v9, v70, v71
	ds_bpermute_b32 v71, v24, v47
	v_mul_f32_e32 v9, v9, v8
	s_waitcnt lgkmcnt(1)
	v_mul_f32_e32 v9, v9, v72
	s_waitcnt vmcnt(1)
	v_cvt_f32_f16_e32 v49, v73
	ds_bpermute_b32 v72, v24, v46
	v_add_co_u32_e32 v56, vcc, s34, v56
	s_waitcnt vmcnt(0)
	v_cvt_f32_f16_e32 v70, v74
	s_waitcnt lgkmcnt(1)
	v_sub_f32_e32 v49, v49, v71
	v_pk_add_f32 v[6:7], v[6:7], v[50:51]
	v_addc_co_u32_e32 v57, vcc, v57, v48, vcc
	v_mul_f32_e32 v49, v49, v70
	v_pk_add_f32 v[6:7], v[6:7], v[52:53]
	s_waitcnt lgkmcnt(0)
	v_mul_f32_e32 v71, v49, v72
	v_pk_add_f32 v[6:7], v[6:7], v[54:55]
	global_load_ushort v49, v[56:57], off
	global_load_ushort v54, v[10:11], off
	v_add_co_u32_e32 v50, vcc, s34, v56
	v_addc_co_u32_e32 v51, vcc, v57, v48, vcc
	v_add_co_u32_e32 v10, vcc, s34, v10
	v_addc_co_u32_e32 v11, vcc, v11, v48, vcc
	global_load_ushort v56, v[50:51], off
	global_load_ushort v57, v[10:11], off
	v_add_co_u32_e32 v52, vcc, s34, v50
	v_addc_co_u32_e32 v53, vcc, v51, v48, vcc
	v_add_co_u32_e32 v10, vcc, s34, v10
	v_addc_co_u32_e32 v11, vcc, v11, v48, vcc
	;; [unrolled: 6-line block ×3, first 2 shown]
	v_pk_add_f32 v[6:7], v[6:7], v[60:61]
	global_load_ushort v60, v[10:11], off
	global_load_ushort v61, v[50:51], off
	v_add_co_u32_e32 v52, vcc, s34, v10
	v_addc_co_u32_e32 v53, vcc, v11, v48, vcc
	v_add_co_u32_e32 v10, vcc, s34, v50
	v_addc_co_u32_e32 v11, vcc, v51, v48, vcc
	v_add_co_u32_e32 v50, vcc, s34, v52
	v_pk_add_f32 v[6:7], v[6:7], v[62:63]
	global_load_ushort v62, v[52:53], off
	global_load_ushort v63, v[10:11], off
	v_addc_co_u32_e32 v51, vcc, v53, v48, vcc
	v_pk_add_f32 v[6:7], v[6:7], v[64:65]
	v_add_co_u32_e32 v10, vcc, s34, v10
	global_load_ushort v64, v[50:51], off
	v_addc_co_u32_e32 v11, vcc, v11, v48, vcc
	v_add_co_u32_e32 v52, vcc, s34, v50
	v_addc_co_u32_e32 v53, vcc, v51, v48, vcc
	v_add_co_u32_e32 v50, vcc, s34, v10
	global_load_ushort v65, v[10:11], off
	v_pk_add_f32 v[6:7], v[6:7], v[66:67]
	v_addc_co_u32_e32 v51, vcc, v11, v48, vcc
	global_load_ushort v66, v[52:53], off
	global_load_ushort v67, v[50:51], off
	v_add_co_u32_e32 v10, vcc, s34, v52
	v_addc_co_u32_e32 v11, vcc, v53, v48, vcc
	v_add_co_u32_e32 v52, vcc, s34, v50
	v_addc_co_u32_e32 v53, vcc, v51, v48, vcc
	v_add_co_u32_e32 v50, vcc, s34, v10
	global_load_ushort v72, v[10:11], off
	v_addc_co_u32_e32 v51, vcc, v11, v48, vcc
	v_add_co_u32_e32 v10, vcc, s34, v52
	global_load_ushort v73, v[52:53], off
	global_load_ushort v74, v[50:51], off
	v_addc_co_u32_e32 v11, vcc, v53, v48, vcc
	v_add_co_u32_e32 v50, vcc, s34, v50
	v_addc_co_u32_e32 v51, vcc, v51, v48, vcc
	global_load_ushort v75, v[10:11], off
	global_load_ushort v76, v[50:51], off
	v_add_co_u32_e32 v10, vcc, s34, v10
	v_addc_co_u32_e32 v11, vcc, v11, v48, vcc
	global_load_ushort v77, v[10:11], off
	v_add_co_u32_e32 v50, vcc, s34, v50
	v_addc_co_u32_e32 v51, vcc, v51, v48, vcc
	v_add_co_u32_e32 v10, vcc, s34, v10
	global_load_ushort v78, v[50:51], off
	v_addc_co_u32_e32 v11, vcc, v11, v48, vcc
	global_load_ushort v79, v[10:11], off
	v_pk_add_f32 v[6:7], v[6:7], v[68:69]
	v_pk_add_f32 v[6:7], v[6:7], v[8:9]
	ds_bpermute_b32 v8, v25, v47
	s_waitcnt vmcnt(20)
	v_cvt_f32_f16_e32 v9, v54
	v_cvt_f32_f16_e32 v52, v49
	v_pk_add_f32 v[54:55], v[6:7], v[70:71]
	ds_bpermute_b32 v6, v25, v46
	s_waitcnt lgkmcnt(1)
	v_sub_f32_e32 v7, v9, v8
	ds_bpermute_b32 v8, v26, v47
	s_waitcnt vmcnt(18)
	v_cvt_f32_f16_e32 v9, v57
	v_mul_f32_e32 v7, v7, v52
	s_waitcnt lgkmcnt(1)
	v_mul_f32_e32 v53, v7, v6
	v_cvt_f32_f16_e32 v56, v56
	ds_bpermute_b32 v6, v26, v46
	s_waitcnt lgkmcnt(1)
	v_sub_f32_e32 v7, v9, v8
	ds_bpermute_b32 v8, v27, v47
	s_waitcnt vmcnt(16)
	v_cvt_f32_f16_e32 v9, v59
	v_mul_f32_e32 v7, v7, v56
	s_waitcnt lgkmcnt(1)
	v_mul_f32_e32 v57, v7, v6
	v_cvt_f32_f16_e32 v58, v58
	s_waitcnt lgkmcnt(0)
	v_sub_f32_e32 v6, v9, v8
	ds_bpermute_b32 v7, v27, v46
	ds_bpermute_b32 v8, v28, v47
	s_waitcnt vmcnt(15)
	v_cvt_f32_f16_e32 v9, v60
	s_waitcnt vmcnt(14)
	v_cvt_f32_f16_e32 v60, v61
	ds_bpermute_b32 v49, v28, v46
	v_mul_f32_e32 v6, v6, v58
	s_waitcnt lgkmcnt(2)
	v_mul_f32_e32 v59, v6, v7
	s_waitcnt lgkmcnt(1)
	v_sub_f32_e32 v6, v9, v8
	v_mul_f32_e32 v6, v6, v60
	s_waitcnt lgkmcnt(0)
	v_mul_f32_e32 v61, v6, v49
	ds_bpermute_b32 v6, v29, v47
	s_waitcnt vmcnt(13)
	v_cvt_f32_f16_e32 v7, v62
	s_waitcnt vmcnt(12)
	v_cvt_f32_f16_e32 v62, v63
	ds_bpermute_b32 v8, v29, v46
	ds_bpermute_b32 v9, v30, v47
	s_waitcnt vmcnt(11)
	v_cvt_f32_f16_e32 v49, v64
	s_waitcnt lgkmcnt(2)
	v_sub_f32_e32 v6, v7, v6
	v_mul_f32_e32 v6, v6, v62
	s_waitcnt lgkmcnt(1)
	v_mul_f32_e32 v63, v6, v8
	s_waitcnt lgkmcnt(0)
	v_sub_f32_e32 v7, v49, v9
	s_waitcnt vmcnt(10)
	v_cvt_f32_f16_e32 v6, v65
	ds_bpermute_b32 v9, v30, v46
	ds_bpermute_b32 v64, v31, v47
	s_waitcnt vmcnt(9)
	v_cvt_f32_f16_e32 v49, v66
	s_waitcnt vmcnt(8)
	v_cvt_f32_f16_e32 v8, v67
	ds_bpermute_b32 v65, v31, v46
	v_mul_f32_e32 v7, v7, v6
	s_waitcnt lgkmcnt(2)
	v_mul_f32_e32 v7, v7, v9
	s_waitcnt lgkmcnt(1)
	v_sub_f32_e32 v9, v49, v64
	v_mul_f32_e32 v9, v9, v8
	s_waitcnt lgkmcnt(0)
	v_mul_f32_e32 v9, v9, v65
	ds_bpermute_b32 v65, v32, v47
	s_waitcnt vmcnt(7)
	v_cvt_f32_f16_e32 v49, v72
	ds_bpermute_b32 v66, v32, v46
	ds_bpermute_b32 v67, v33, v47
	s_waitcnt vmcnt(6)
	v_cvt_f32_f16_e32 v64, v73
	s_waitcnt vmcnt(5)
	v_cvt_f32_f16_e32 v68, v74
	s_waitcnt lgkmcnt(2)
	v_sub_f32_e32 v49, v49, v65
	ds_bpermute_b32 v70, v34, v47
	v_mul_f32_e32 v49, v49, v64
	s_waitcnt lgkmcnt(2)
	v_mul_f32_e32 v65, v49, v66
	s_waitcnt lgkmcnt(1)
	v_sub_f32_e32 v49, v68, v67
	s_waitcnt vmcnt(4)
	v_cvt_f32_f16_e32 v66, v75
	ds_bpermute_b32 v67, v33, v46
	s_waitcnt vmcnt(3)
	v_cvt_f32_f16_e32 v69, v76
	ds_bpermute_b32 v71, v34, v46
	v_mul_f32_e32 v49, v49, v66
	v_add_co_u32_e32 v50, vcc, s34, v50
	s_waitcnt vmcnt(2)
	v_cvt_f32_f16_e32 v68, v77
	s_waitcnt lgkmcnt(1)
	v_mul_f32_e32 v67, v49, v67
	v_sub_f32_e32 v49, v69, v70
	ds_bpermute_b32 v72, v35, v46
	v_mul_f32_e32 v49, v49, v68
	s_waitcnt lgkmcnt(1)
	v_mul_f32_e32 v69, v49, v71
	ds_bpermute_b32 v71, v35, v47
	s_waitcnt vmcnt(1)
	v_cvt_f32_f16_e32 v49, v78
	v_addc_co_u32_e32 v51, vcc, v51, v48, vcc
	s_waitcnt vmcnt(0)
	v_cvt_f32_f16_e32 v70, v79
	v_add_co_u32_e32 v10, vcc, s34, v10
	v_addc_co_u32_e32 v11, vcc, v11, v48, vcc
	s_waitcnt lgkmcnt(0)
	v_sub_f32_e32 v49, v49, v71
	v_mul_f32_e32 v49, v49, v70
	v_pk_add_f32 v[52:53], v[54:55], v[52:53]
	v_add_co_u32_e32 v54, vcc, s34, v10
	v_mul_f32_e32 v71, v49, v72
	v_pk_add_f32 v[52:53], v[52:53], v[56:57]
	v_addc_co_u32_e32 v55, vcc, v11, v48, vcc
	global_load_ushort v49, v[10:11], off
	global_load_ushort v56, v[50:51], off
	v_add_co_u32_e32 v10, vcc, s34, v50
	v_pk_add_f32 v[52:53], v[52:53], v[58:59]
	v_addc_co_u32_e32 v11, vcc, v51, v48, vcc
	global_load_ushort v57, v[54:55], off
	global_load_ushort v58, v[10:11], off
	v_add_co_u32_e32 v50, vcc, s34, v54
	v_addc_co_u32_e32 v51, vcc, v55, v48, vcc
	v_add_co_u32_e32 v10, vcc, s34, v10
	v_pk_add_f32 v[52:53], v[52:53], v[60:61]
	v_addc_co_u32_e32 v11, vcc, v11, v48, vcc
	global_load_ushort v59, v[50:51], off
	global_load_ushort v60, v[10:11], off
	v_add_co_u32_e32 v54, vcc, s34, v50
	v_addc_co_u32_e32 v55, vcc, v51, v48, vcc
	v_add_co_u32_e32 v10, vcc, s34, v10
	v_addc_co_u32_e32 v11, vcc, v11, v48, vcc
	;; [unrolled: 2-line block ×3, first 2 shown]
	v_pk_add_f32 v[52:53], v[52:53], v[62:63]
	global_load_ushort v61, v[10:11], off
	global_load_ushort v62, v[54:55], off
	v_add_co_u32_e32 v10, vcc, s34, v54
	v_addc_co_u32_e32 v11, vcc, v55, v48, vcc
	global_load_ushort v63, v[50:51], off
	global_load_ushort v72, v[10:11], off
	v_add_co_u32_e32 v50, vcc, s34, v50
	v_addc_co_u32_e32 v51, vcc, v51, v48, vcc
	v_add_co_u32_e32 v10, vcc, s34, v10
	v_addc_co_u32_e32 v11, vcc, v11, v48, vcc
	v_add_co_u32_e32 v54, vcc, s34, v50
	global_load_ushort v73, v[50:51], off
	v_addc_co_u32_e32 v55, vcc, v51, v48, vcc
	global_load_ushort v74, v[10:11], off
	v_add_co_u32_e32 v50, vcc, s34, v10
	v_addc_co_u32_e32 v51, vcc, v11, v48, vcc
	v_add_co_u32_e32 v10, vcc, s34, v54
	v_addc_co_u32_e32 v11, vcc, v55, v48, vcc
	global_load_ushort v75, v[54:55], off
	v_add_co_u32_e32 v54, vcc, s34, v50
	v_addc_co_u32_e32 v55, vcc, v51, v48, vcc
	global_load_ushort v76, v[50:51], off
	;; [unrolled: 3-line block ×6, first 2 shown]
	global_load_ushort v81, v[50:51], off
	global_load_ushort v82, v[54:55], off
	v_pk_add_f32 v[6:7], v[52:53], v[6:7]
	v_pk_add_f32 v[6:7], v[6:7], v[8:9]
	ds_bpermute_b32 v9, v36, v47
	s_waitcnt vmcnt(18)
	v_cvt_f32_f16_e32 v10, v56
	v_cvt_f32_f16_e32 v8, v49
	ds_bpermute_b32 v11, v36, v46
	ds_bpermute_b32 v48, v37, v47
	s_waitcnt vmcnt(16)
	v_cvt_f32_f16_e32 v49, v58
	s_waitcnt lgkmcnt(2)
	v_sub_f32_e32 v9, v10, v9
	v_mul_f32_e32 v9, v9, v8
	s_waitcnt lgkmcnt(1)
	v_mul_f32_e32 v9, v9, v11
	v_cvt_f32_f16_e32 v10, v57
	s_waitcnt lgkmcnt(0)
	v_sub_f32_e32 v11, v49, v48
	ds_bpermute_b32 v49, v37, v46
	ds_bpermute_b32 v50, v38, v47
	s_waitcnt vmcnt(14)
	v_cvt_f32_f16_e32 v51, v60
	v_cvt_f32_f16_e32 v48, v59
	ds_bpermute_b32 v52, v38, v46
	v_mul_f32_e32 v11, v11, v10
	s_waitcnt lgkmcnt(2)
	v_mul_f32_e32 v11, v11, v49
	s_waitcnt lgkmcnt(1)
	v_sub_f32_e32 v49, v51, v50
	v_mul_f32_e32 v49, v49, v48
	ds_bpermute_b32 v51, v39, v47
	s_waitcnt lgkmcnt(1)
	v_mul_f32_e32 v49, v49, v52
	ds_bpermute_b32 v53, v39, v46
	s_waitcnt vmcnt(13)
	v_cvt_f32_f16_e32 v52, v61
	s_waitcnt vmcnt(12)
	v_cvt_f32_f16_e32 v50, v62
	ds_bpermute_b32 v54, v40, v47
	ds_bpermute_b32 v57, v41, v47
	s_waitcnt lgkmcnt(3)
	v_sub_f32_e32 v51, v52, v51
	s_waitcnt vmcnt(11)
	v_cvt_f32_f16_e32 v55, v63
	v_mul_f32_e32 v51, v51, v50
	s_waitcnt lgkmcnt(2)
	v_mul_f32_e32 v51, v51, v53
	s_waitcnt vmcnt(10)
	v_cvt_f32_f16_e32 v52, v72
	s_waitcnt lgkmcnt(1)
	v_sub_f32_e32 v53, v55, v54
	ds_bpermute_b32 v55, v40, v46
	ds_bpermute_b32 v58, v41, v46
	v_mul_f32_e32 v53, v53, v52
	ds_bpermute_b32 v59, v42, v46
	ds_bpermute_b32 v60, v43, v47
	s_waitcnt lgkmcnt(3)
	v_mul_f32_e32 v53, v53, v55
	v_pk_add_f32 v[6:7], v[6:7], v[64:65]
	s_waitcnt vmcnt(9)
	v_cvt_f32_f16_e32 v56, v73
	v_pk_add_f32 v[6:7], v[6:7], v[66:67]
	v_pk_add_f32 v[6:7], v[6:7], v[68:69]
	s_waitcnt vmcnt(8)
	v_cvt_f32_f16_e32 v54, v74
	v_sub_f32_e32 v55, v56, v57
	v_pk_add_f32 v[6:7], v[6:7], v[70:71]
	ds_bpermute_b32 v63, v44, v47
	v_mul_f32_e32 v55, v55, v54
	s_waitcnt lgkmcnt(3)
	v_mul_f32_e32 v55, v55, v58
	ds_bpermute_b32 v58, v42, v47
	v_pk_add_f32 v[6:7], v[6:7], v[8:9]
	v_pk_add_f32 v[6:7], v[6:7], v[10:11]
	s_waitcnt vmcnt(7)
	v_cvt_f32_f16_e32 v57, v75
	ds_bpermute_b32 v10, v45, v47
	ds_bpermute_b32 v64, v44, v46
	v_pk_add_f32 v[6:7], v[6:7], v[48:49]
	s_waitcnt lgkmcnt(2)
	v_sub_f32_e32 v57, v57, v58
	s_waitcnt vmcnt(6)
	v_cvt_f32_f16_e32 v56, v76
	v_pk_add_f32 v[6:7], v[6:7], v[50:51]
	ds_bpermute_b32 v11, v45, v46
	v_pk_add_f32 v[6:7], v[6:7], v[52:53]
	v_mul_f32_e32 v57, v57, v56
	s_waitcnt vmcnt(5)
	v_cvt_f32_f16_e32 v61, v77
	v_mul_f32_e32 v57, v57, v59
	v_pk_add_f32 v[6:7], v[6:7], v[54:55]
	v_pk_add_f32 v[6:7], v[6:7], v[56:57]
	v_sub_f32_e32 v59, v61, v60
	s_waitcnt vmcnt(4)
	v_cvt_f32_f16_e32 v58, v78
	ds_bpermute_b32 v61, v43, v46
	v_add_co_u32_e32 v2, vcc, s28, v2
	v_mul_f32_e32 v59, v59, v58
	s_waitcnt vmcnt(3)
	v_cvt_f32_f16_e32 v62, v79
	s_waitcnt lgkmcnt(0)
	v_mul_f32_e32 v59, v59, v61
	v_pk_add_f32 v[6:7], v[6:7], v[58:59]
	s_waitcnt vmcnt(2)
	v_cvt_f32_f16_e32 v60, v80
	s_waitcnt vmcnt(1)
	v_cvt_f32_f16_e32 v8, v81
	;; [unrolled: 2-line block ×3, first 2 shown]
	v_sub_f32_e32 v61, v62, v63
	v_mul_f32_e32 v61, v61, v60
	v_mul_f32_e32 v61, v61, v64
	v_sub_f32_e32 v9, v9, v10
	v_mul_f32_e32 v9, v9, v8
	v_pk_add_f32 v[6:7], v[6:7], v[60:61]
	v_mul_f32_e32 v9, v9, v11
	v_pk_add_f32 v[6:7], v[6:7], v[8:9]
	v_mov_b32_e32 v8, s29
	v_addc_co_u32_e32 v3, vcc, v3, v8, vcc
	v_mov_b32_e32 v8, s5
	v_add_co_u32_e32 v0, vcc, s4, v0
	v_addc_co_u32_e32 v1, vcc, v1, v8, vcc
	s_add_u32 s24, s24, s4
	v_mov_b32_e32 v8, s31
	v_add_co_u32_e32 v4, vcc, s30, v4
	s_addc_u32 s25, s25, 0
	v_addc_co_u32_e32 v5, vcc, v5, v8, vcc
	v_pk_mov_b32 v[8:9], s[16:17], s[16:17] op_sel:[0,1]
	v_cmp_lt_i64_e32 vcc, s[24:25], v[8:9]
	s_cbranch_vccz .LBB83_10
.LBB83_7:                               ; =>This Inner Loop Header: Depth=1
	v_mov_b32_e32 v46, 0
	v_mov_b32_e32 v47, 0
	s_and_saveexec_b64 s[36:37], s[0:1]
	s_cbranch_execz .LBB83_6
; %bb.8:                                ;   in Loop: Header=BB83_7 Depth=1
	v_cmp_gt_i64_e32 vcc, s[16:17], v[0:1]
	v_mov_b32_e32 v47, 0
	v_mov_b32_e32 v46, 0
	s_and_saveexec_b64 s[38:39], vcc
	s_cbranch_execz .LBB83_5
; %bb.9:                                ;   in Loop: Header=BB83_7 Depth=1
	v_mov_b32_e32 v9, s15
	v_add_co_u32_e32 v8, vcc, s14, v2
	v_addc_co_u32_e32 v9, vcc, v9, v3, vcc
	v_mov_b32_e32 v11, s13
	v_add_co_u32_e32 v10, vcc, s12, v2
	v_addc_co_u32_e32 v11, vcc, v11, v3, vcc
	global_load_dword v47, v[10:11], off
	global_load_dword v46, v[8:9], off
	s_branch .LBB83_5
.LBB83_10:
	v_cvt_f16_f32_e32 v0, v7
	v_cvt_f16_f32_e32 v1, v6
	v_mov_b32_e32 v2, v12
	v_pack_b32_f16 v4, v1, v0
.LBB83_11:
	s_mov_b32 s7, 0
	s_lshl_b64 s[0:1], s[6:7], 5
	v_mov_b32_e32 v1, s1
	s_load_dword s1, s[26:27], 0xc
	v_mov_b32_e32 v3, 0
	v_add_co_u32_e32 v0, vcc, s0, v13
	v_mov_b32_e32 v5, s2
	s_waitcnt lgkmcnt(0)
	s_lshr_b32 s0, s1, 16
	v_addc_co_u32_e32 v1, vcc, 0, v1, vcc
	v_mad_u64_u32 v[2:3], s[0:1], s0, v5, v[2:3]
	s_cmp_eq_u64 s[20:21], 0
	v_mul_lo_u32 v3, v3, s18
	v_mul_lo_u32 v5, v2, s19
	v_lshlrev_b64 v[0:1], 1, v[0:1]
	s_cbranch_scc1 .LBB83_13
; %bb.12:
	v_mad_u64_u32 v[6:7], s[0:1], v2, s18, 0
	v_add3_u32 v7, v7, v5, v3
	v_lshlrev_b64 v[6:7], 1, v[6:7]
	v_mov_b32_e32 v8, s21
	v_add_co_u32_e32 v6, vcc, s20, v6
	v_addc_co_u32_e32 v7, vcc, v8, v7, vcc
	v_add_co_u32_e32 v6, vcc, v6, v0
	v_addc_co_u32_e32 v7, vcc, v7, v1, vcc
	global_store_short_d16_hi v[6:7], v4, off
.LBB83_13:
	s_cmp_eq_u64 s[22:23], 0
	s_cbranch_scc1 .LBB83_15
; %bb.14:
	v_mad_u64_u32 v[6:7], s[0:1], v2, s18, 0
	v_add3_u32 v7, v7, v5, v3
	v_lshlrev_b64 v[2:3], 1, v[6:7]
	v_mov_b32_e32 v5, s23
	v_add_co_u32_e32 v2, vcc, s22, v2
	v_addc_co_u32_e32 v3, vcc, v5, v3, vcc
	v_add_co_u32_e32 v0, vcc, v2, v0
	v_addc_co_u32_e32 v1, vcc, v3, v1, vcc
	global_store_short v[0:1], v4, off
.LBB83_15:
	s_endpgm
	.section	.rodata,"a",@progbits
	.p2align	6, 0x0
	.amdhsa_kernel _ZN2at6native12_GLOBAL__N_135GammaBetaBackwardCUDAKernelTemplateIN3c104HalfEfLj32ELj1ELj32ELb1ELb1ELb0EEEvllPKT_S7_PKT0_SA_PS5_SB_
		.amdhsa_group_segment_fixed_size 0
		.amdhsa_private_segment_fixed_size 0
		.amdhsa_kernarg_size 320
		.amdhsa_user_sgpr_count 6
		.amdhsa_user_sgpr_private_segment_buffer 1
		.amdhsa_user_sgpr_dispatch_ptr 0
		.amdhsa_user_sgpr_queue_ptr 0
		.amdhsa_user_sgpr_kernarg_segment_ptr 1
		.amdhsa_user_sgpr_dispatch_id 0
		.amdhsa_user_sgpr_flat_scratch_init 0
		.amdhsa_user_sgpr_kernarg_preload_length 0
		.amdhsa_user_sgpr_kernarg_preload_offset 0
		.amdhsa_user_sgpr_private_segment_size 0
		.amdhsa_uses_dynamic_stack 0
		.amdhsa_system_sgpr_private_segment_wavefront_offset 0
		.amdhsa_system_sgpr_workgroup_id_x 1
		.amdhsa_system_sgpr_workgroup_id_y 1
		.amdhsa_system_sgpr_workgroup_id_z 0
		.amdhsa_system_sgpr_workgroup_info 0
		.amdhsa_system_vgpr_workitem_id 1
		.amdhsa_next_free_vgpr 83
		.amdhsa_next_free_sgpr 40
		.amdhsa_accum_offset 84
		.amdhsa_reserve_vcc 1
		.amdhsa_reserve_flat_scratch 0
		.amdhsa_float_round_mode_32 0
		.amdhsa_float_round_mode_16_64 0
		.amdhsa_float_denorm_mode_32 3
		.amdhsa_float_denorm_mode_16_64 3
		.amdhsa_dx10_clamp 1
		.amdhsa_ieee_mode 1
		.amdhsa_fp16_overflow 0
		.amdhsa_tg_split 0
		.amdhsa_exception_fp_ieee_invalid_op 0
		.amdhsa_exception_fp_denorm_src 0
		.amdhsa_exception_fp_ieee_div_zero 0
		.amdhsa_exception_fp_ieee_overflow 0
		.amdhsa_exception_fp_ieee_underflow 0
		.amdhsa_exception_fp_ieee_inexact 0
		.amdhsa_exception_int_div_zero 0
	.end_amdhsa_kernel
	.section	.text._ZN2at6native12_GLOBAL__N_135GammaBetaBackwardCUDAKernelTemplateIN3c104HalfEfLj32ELj1ELj32ELb1ELb1ELb0EEEvllPKT_S7_PKT0_SA_PS5_SB_,"axG",@progbits,_ZN2at6native12_GLOBAL__N_135GammaBetaBackwardCUDAKernelTemplateIN3c104HalfEfLj32ELj1ELj32ELb1ELb1ELb0EEEvllPKT_S7_PKT0_SA_PS5_SB_,comdat
.Lfunc_end83:
	.size	_ZN2at6native12_GLOBAL__N_135GammaBetaBackwardCUDAKernelTemplateIN3c104HalfEfLj32ELj1ELj32ELb1ELb1ELb0EEEvllPKT_S7_PKT0_SA_PS5_SB_, .Lfunc_end83-_ZN2at6native12_GLOBAL__N_135GammaBetaBackwardCUDAKernelTemplateIN3c104HalfEfLj32ELj1ELj32ELb1ELb1ELb0EEEvllPKT_S7_PKT0_SA_PS5_SB_
                                        ; -- End function
	.section	.AMDGPU.csdata,"",@progbits
; Kernel info:
; codeLenInByte = 3788
; NumSgprs: 44
; NumVgprs: 83
; NumAgprs: 0
; TotalNumVgprs: 83
; ScratchSize: 0
; MemoryBound: 0
; FloatMode: 240
; IeeeMode: 1
; LDSByteSize: 0 bytes/workgroup (compile time only)
; SGPRBlocks: 5
; VGPRBlocks: 10
; NumSGPRsForWavesPerEU: 44
; NumVGPRsForWavesPerEU: 83
; AccumOffset: 84
; Occupancy: 5
; WaveLimiterHint : 0
; COMPUTE_PGM_RSRC2:SCRATCH_EN: 0
; COMPUTE_PGM_RSRC2:USER_SGPR: 6
; COMPUTE_PGM_RSRC2:TRAP_HANDLER: 0
; COMPUTE_PGM_RSRC2:TGID_X_EN: 1
; COMPUTE_PGM_RSRC2:TGID_Y_EN: 1
; COMPUTE_PGM_RSRC2:TGID_Z_EN: 0
; COMPUTE_PGM_RSRC2:TIDIG_COMP_CNT: 1
; COMPUTE_PGM_RSRC3_GFX90A:ACCUM_OFFSET: 20
; COMPUTE_PGM_RSRC3_GFX90A:TG_SPLIT: 0
	.section	.text._ZN2at6native12_GLOBAL__N_135GammaBetaBackwardCUDAKernelTemplateIN3c104HalfEfLj32ELj1ELj32ELb1ELb0ELb0EEEvllPKT_S7_PKT0_SA_PS5_SB_,"axG",@progbits,_ZN2at6native12_GLOBAL__N_135GammaBetaBackwardCUDAKernelTemplateIN3c104HalfEfLj32ELj1ELj32ELb1ELb0ELb0EEEvllPKT_S7_PKT0_SA_PS5_SB_,comdat
	.globl	_ZN2at6native12_GLOBAL__N_135GammaBetaBackwardCUDAKernelTemplateIN3c104HalfEfLj32ELj1ELj32ELb1ELb0ELb0EEEvllPKT_S7_PKT0_SA_PS5_SB_ ; -- Begin function _ZN2at6native12_GLOBAL__N_135GammaBetaBackwardCUDAKernelTemplateIN3c104HalfEfLj32ELj1ELj32ELb1ELb0ELb0EEEvllPKT_S7_PKT0_SA_PS5_SB_
	.p2align	8
	.type	_ZN2at6native12_GLOBAL__N_135GammaBetaBackwardCUDAKernelTemplateIN3c104HalfEfLj32ELj1ELj32ELb1ELb0ELb0EEEvllPKT_S7_PKT0_SA_PS5_SB_,@function
_ZN2at6native12_GLOBAL__N_135GammaBetaBackwardCUDAKernelTemplateIN3c104HalfEfLj32ELj1ELj32ELb1ELb0ELb0EEEvllPKT_S7_PKT0_SA_PS5_SB_: ; @_ZN2at6native12_GLOBAL__N_135GammaBetaBackwardCUDAKernelTemplateIN3c104HalfEfLj32ELj1ELj32ELb1ELb0ELb0EEEvllPKT_S7_PKT0_SA_PS5_SB_
; %bb.0:
	s_load_dwordx8 s[12:19], s[4:5], 0x0
	s_load_dwordx4 s[20:23], s[4:5], 0x20
	s_mov_b32 s8, s7
	s_lshl_b32 s7, s6, 5
	v_mov_b32_e32 v211, v0
	s_or_b32 s24, s7, 31
	s_mov_b32 s25, 0
	s_waitcnt lgkmcnt(0)
	v_pk_mov_b32 v[0:1], s[14:15], s[14:15] op_sel:[0,1]
	v_cmp_ge_i64_e32 vcc, s[24:25], v[0:1]
	s_lshl_b32 s24, s8, 5
	v_pk_mov_b32 v[0:1], s[12:13], s[12:13] op_sel:[0,1]
	v_cmp_lt_i64_e64 s[0:1], s[24:25], v[0:1]
	v_cndmask_b32_e64 v0, 0, 1, s[0:1]
	v_cmp_ne_u32_e64 s[0:1], 1, v0
	s_cbranch_vccz .LBB84_144
; %bb.1:
	s_mov_b32 s2, s25
	s_mov_b32 s3, s25
	s_and_b64 vcc, exec, s[0:1]
	v_pk_mov_b32 v[138:139], s[2:3], s[2:3] op_sel:[0,1]
	s_cbranch_vccnz .LBB84_145
; %bb.2:
	v_bfe_u32 v0, v211, 10, 10
	v_lshlrev_b32_e32 v2, 5, v0
	v_mov_b32_e32 v1, s25
	v_add_co_u32_e32 v121, vcc, s24, v2
	v_addc_co_u32_e32 v123, vcc, 0, v1, vcc
	v_add_co_u32_e32 v1, vcc, 31, v121
	v_addc_co_u32_e32 v3, vcc, 0, v123, vcc
	v_mul_lo_u32 v6, s15, v1
	v_mul_lo_u32 v3, s14, v3
	v_mad_u64_u32 v[4:5], s[2:3], s14, v1, 0
	v_add3_u32 v5, v5, v3, v6
	v_lshlrev_b64 v[6:7], 1, v[4:5]
	v_mov_b32_e32 v125, s17
	v_add_co_u32_e32 v4, vcc, s16, v6
	v_addc_co_u32_e32 v1, vcc, v125, v7, vcc
	v_mov_b32_e32 v127, s19
	v_add_co_u32_e32 v6, vcc, s18, v6
	v_addc_co_u32_e32 v3, vcc, v127, v7, vcc
	v_add_co_u32_e32 v5, vcc, 30, v121
	v_addc_co_u32_e32 v7, vcc, 0, v123, vcc
	v_mul_lo_u32 v10, s15, v5
	v_mul_lo_u32 v7, s14, v7
	v_mad_u64_u32 v[8:9], s[2:3], s14, v5, 0
	v_add3_u32 v9, v9, v7, v10
	v_lshlrev_b64 v[10:11], 1, v[8:9]
	v_add_co_u32_e32 v8, vcc, s16, v10
	v_addc_co_u32_e32 v5, vcc, v125, v11, vcc
	v_add_co_u32_e32 v10, vcc, s18, v10
	v_addc_co_u32_e32 v7, vcc, v127, v11, vcc
	v_add_co_u32_e32 v9, vcc, 29, v121
	v_addc_co_u32_e32 v11, vcc, 0, v123, vcc
	v_mul_lo_u32 v14, s15, v9
	v_mul_lo_u32 v11, s14, v11
	v_mad_u64_u32 v[12:13], s[2:3], s14, v9, 0
	v_add3_u32 v13, v13, v11, v14
	v_lshlrev_b64 v[14:15], 1, v[12:13]
	v_add_co_u32_e32 v12, vcc, s16, v14
	v_addc_co_u32_e32 v9, vcc, v125, v15, vcc
	;; [unrolled: 11-line block ×29, first 2 shown]
	v_add_co_u32_e32 v122, vcc, s18, v128
	v_addc_co_u32_e32 v119, vcc, v127, v129, vcc
	v_pk_mov_b32 v[128:129], s[14:15], s[14:15] op_sel:[0,1]
	v_mad_u64_u32 v[128:129], s[2:3], s14, v121, v[128:129]
	v_mul_lo_u32 v123, s14, v123
	v_mul_lo_u32 v124, s15, v121
	v_add3_u32 v129, v124, v129, v123
	v_lshlrev_b64 v[128:129], 1, v[128:129]
	v_mad_u64_u32 v[130:131], s[2:3], s14, v121, 0
	v_add3_u32 v131, v131, v123, v124
	v_add_co_u32_e32 v124, vcc, s16, v128
	v_addc_co_u32_e32 v121, vcc, v125, v129, vcc
	s_load_dword s10, s[4:5], 0x44
	v_add_co_u32_e32 v126, vcc, s18, v128
	v_addc_co_u32_e32 v123, vcc, v127, v129, vcc
	v_lshlrev_b64 v[130:131], 1, v[130:131]
	v_add_co_u32_e32 v128, vcc, s16, v130
	v_addc_co_u32_e32 v125, vcc, v125, v131, vcc
	s_add_u32 s26, s4, 64
	v_add_co_u32_e32 v130, vcc, s18, v130
	s_addc_u32 s27, s5, 0
	s_waitcnt lgkmcnt(0)
	s_lshl_b32 s33, s10, 5
	v_mbcnt_lo_u32_b32 v129, -1, 0
	v_addc_co_u32_e32 v127, vcc, v127, v131, vcc
	v_and_b32_e32 v131, 0x3ff, v211
	s_mul_i32 s10, s15, s33
	s_mul_hi_u32 s11, s14, s33
	v_mbcnt_hi_u32_b32 v129, -1, v129
	v_add_u32_e32 v132, s7, v131
	v_mov_b32_e32 v133, 0
	s_add_i32 s11, s11, s10
	s_mul_i32 s10, s14, s33
	v_lshlrev_b32_e32 v129, 2, v129
	s_mov_b32 s9, 0
	v_cmp_gt_i64_e64 s[2:3], s[14:15], v[132:133]
	s_mov_b64 s[28:29], 31
	s_lshl_b64 s[30:31], s[10:11], 1
	v_and_b32_e32 v204, 0x100, v129
	v_mov_b32_e32 v138, 0
	v_mov_b32_e32 v139, v133
	s_mov_b64 s[34:35], s[24:25]
	v_mov_b32_e32 v129, v133
	v_lshlrev_b64 v[136:137], 1, v[132:133]
	s_branch .LBB84_5
.LBB84_3:                               ;   in Loop: Header=BB84_5 Depth=1
	s_or_b64 exec, exec, s[10:11]
	s_waitcnt vmcnt(1)
	ds_bpermute_b32 v141, v204, v171
	s_waitcnt vmcnt(0)
	ds_bpermute_b32 v157, v204, v132
	ds_bpermute_b32 v207, v204, v171 offset:4
	ds_bpermute_b32 v163, v204, v132 offset:4
	;; [unrolled: 1-line block ×3, first 2 shown]
	s_waitcnt lgkmcnt(4)
	v_sub_f32_e32 v135, v135, v141
	v_mul_f32_e32 v135, v140, v135
	s_waitcnt lgkmcnt(3)
	v_mul_f32_e32 v141, v135, v157
	ds_bpermute_b32 v157, v204, v132 offset:8
	s_waitcnt lgkmcnt(3)
	v_sub_f32_e32 v135, v143, v207
	v_mul_f32_e32 v135, v142, v135
	s_waitcnt lgkmcnt(2)
	v_mul_f32_e32 v143, v135, v163
	s_waitcnt lgkmcnt(1)
	v_sub_f32_e32 v135, v145, v208
	ds_bpermute_b32 v145, v204, v171 offset:12
	v_mul_f32_e32 v135, v134, v135
	s_waitcnt lgkmcnt(1)
	v_mul_f32_e32 v135, v135, v157
	ds_bpermute_b32 v157, v204, v132 offset:12
	ds_bpermute_b32 v163, v204, v171 offset:16
	s_waitcnt lgkmcnt(2)
	v_sub_f32_e32 v145, v147, v145
	v_mul_f32_e32 v145, v146, v145
	ds_bpermute_b32 v207, v204, v132 offset:16
	s_waitcnt lgkmcnt(2)
	v_mul_f32_e32 v147, v145, v157
	s_waitcnt lgkmcnt(1)
	v_sub_f32_e32 v145, v149, v163
	ds_bpermute_b32 v149, v204, v171 offset:20
	ds_bpermute_b32 v157, v204, v132 offset:20
	;; [unrolled: 1-line block ×3, first 2 shown]
	v_pk_add_f32 v[138:139], v[138:139], v[140:141]
	v_mul_f32_e32 v145, v144, v145
	s_waitcnt lgkmcnt(2)
	v_sub_f32_e32 v149, v151, v149
	v_mul_f32_e32 v149, v150, v149
	s_waitcnt lgkmcnt(1)
	v_mul_f32_e32 v151, v149, v157
	s_waitcnt lgkmcnt(0)
	v_sub_f32_e32 v149, v153, v163
	ds_bpermute_b32 v153, v204, v171 offset:28
	ds_bpermute_b32 v157, v204, v132 offset:28
	ds_bpermute_b32 v163, v204, v171 offset:32
	v_pk_add_f32 v[138:139], v[138:139], v[142:143]
	v_mul_f32_e32 v145, v145, v207
	s_waitcnt lgkmcnt(2)
	v_sub_f32_e32 v153, v155, v153
	ds_bpermute_b32 v155, v204, v132 offset:32
	v_mul_f32_e32 v153, v156, v153
	ds_bpermute_b32 v207, v204, v132 offset:24
	s_waitcnt lgkmcnt(3)
	v_mul_f32_e32 v157, v153, v157
	s_waitcnt lgkmcnt(2)
	v_sub_f32_e32 v153, v159, v163
	ds_bpermute_b32 v159, v204, v171 offset:36
	v_pk_add_f32 v[134:135], v[138:139], v[134:135]
	ds_bpermute_b32 v138, v204, v171 offset:44
	v_mul_f32_e32 v153, v152, v153
	s_waitcnt lgkmcnt(3)
	v_mul_f32_e32 v153, v153, v155
	ds_bpermute_b32 v155, v204, v132 offset:36
	ds_bpermute_b32 v139, v204, v132 offset:44
	v_mul_f32_e32 v149, v148, v149
	s_waitcnt lgkmcnt(4)
	v_mul_f32_e32 v149, v149, v207
	ds_bpermute_b32 v207, v204, v171 offset:40
	s_waitcnt lgkmcnt(4)
	v_sub_f32_e32 v159, v161, v159
	s_waitcnt lgkmcnt(3)
	v_sub_f32_e32 v138, v165, v138
	ds_bpermute_b32 v140, v204, v171 offset:48
	v_mul_f32_e32 v159, v162, v159
	v_mul_f32_e32 v138, v158, v138
	ds_bpermute_b32 v161, v204, v132 offset:40
	s_waitcnt lgkmcnt(4)
	v_mul_f32_e32 v163, v159, v155
	s_waitcnt lgkmcnt(3)
	v_mul_f32_e32 v159, v138, v139
	ds_bpermute_b32 v138, v204, v132 offset:48
	ds_bpermute_b32 v139, v204, v171 offset:52
	;; [unrolled: 1-line block ×3, first 2 shown]
	s_waitcnt lgkmcnt(5)
	v_sub_f32_e32 v155, v169, v207
	s_waitcnt lgkmcnt(4)
	v_sub_f32_e32 v140, v167, v140
	v_mul_f32_e32 v155, v160, v155
	v_mul_f32_e32 v140, v154, v140
	s_waitcnt lgkmcnt(3)
	v_mul_f32_e32 v161, v155, v161
	s_waitcnt lgkmcnt(2)
	;; [unrolled: 2-line block ×3, first 2 shown]
	v_sub_f32_e32 v138, v173, v139
	ds_bpermute_b32 v139, v204, v171 offset:56
	v_mul_f32_e32 v138, v166, v138
	s_waitcnt lgkmcnt(1)
	v_mul_f32_e32 v167, v138, v141
	ds_bpermute_b32 v138, v204, v132 offset:56
	ds_bpermute_b32 v140, v204, v171 offset:60
	ds_bpermute_b32 v141, v204, v132 offset:60
	s_waitcnt lgkmcnt(3)
	v_sub_f32_e32 v139, v175, v139
	v_mul_f32_e32 v139, v164, v139
	s_waitcnt lgkmcnt(2)
	v_mul_f32_e32 v165, v139, v138
	s_waitcnt lgkmcnt(1)
	v_sub_f32_e32 v138, v177, v140
	ds_bpermute_b32 v139, v204, v171 offset:64
	v_mul_f32_e32 v138, v172, v138
	s_waitcnt lgkmcnt(1)
	v_mul_f32_e32 v173, v138, v141
	ds_bpermute_b32 v138, v204, v132 offset:64
	ds_bpermute_b32 v140, v204, v171 offset:68
	ds_bpermute_b32 v141, v204, v132 offset:68
	s_waitcnt lgkmcnt(3)
	v_sub_f32_e32 v139, v179, v139
	v_mul_f32_e32 v139, v168, v139
	s_waitcnt lgkmcnt(2)
	v_mul_f32_e32 v169, v139, v138
	s_waitcnt lgkmcnt(1)
	;; [unrolled: 14-line block ×4, first 2 shown]
	v_sub_f32_e32 v138, v189, v140
	v_mul_f32_e32 v138, v188, v138
	s_waitcnt lgkmcnt(0)
	v_mul_f32_e32 v189, v138, v141
	ds_bpermute_b32 v138, v204, v171 offset:88
	ds_bpermute_b32 v139, v204, v132 offset:88
	;; [unrolled: 1-line block ×4, first 2 shown]
	v_pk_add_f32 v[134:135], v[134:135], v[146:147]
	s_waitcnt lgkmcnt(3)
	v_sub_f32_e32 v138, v191, v138
	v_mul_f32_e32 v138, v178, v138
	s_waitcnt lgkmcnt(2)
	v_mul_f32_e32 v179, v138, v139
	s_waitcnt lgkmcnt(1)
	v_sub_f32_e32 v138, v193, v140
	ds_bpermute_b32 v139, v204, v171 offset:96
	v_mul_f32_e32 v138, v186, v138
	s_waitcnt lgkmcnt(1)
	v_mul_f32_e32 v187, v138, v141
	ds_bpermute_b32 v138, v204, v132 offset:96
	ds_bpermute_b32 v140, v204, v171 offset:100
	;; [unrolled: 1-line block ×3, first 2 shown]
	v_pk_add_f32 v[134:135], v[134:135], v[144:145]
	s_waitcnt lgkmcnt(3)
	v_sub_f32_e32 v139, v195, v139
	v_pk_add_f32 v[134:135], v[134:135], v[150:151]
	v_mul_f32_e32 v139, v184, v139
	v_pk_add_f32 v[134:135], v[134:135], v[148:149]
	s_waitcnt lgkmcnt(2)
	v_mul_f32_e32 v185, v139, v138
	s_waitcnt lgkmcnt(1)
	v_sub_f32_e32 v138, v197, v140
	ds_bpermute_b32 v139, v204, v171 offset:104
	v_pk_add_f32 v[134:135], v[134:135], v[156:157]
	v_mul_f32_e32 v138, v192, v138
	v_pk_add_f32 v[134:135], v[134:135], v[152:153]
	s_waitcnt lgkmcnt(1)
	v_mul_f32_e32 v193, v138, v141
	ds_bpermute_b32 v138, v204, v132 offset:104
	ds_bpermute_b32 v140, v204, v171 offset:108
	v_pk_add_f32 v[134:135], v[134:135], v[162:163]
	v_pk_add_f32 v[134:135], v[134:135], v[160:161]
	ds_bpermute_b32 v141, v204, v132 offset:108
	v_pk_add_f32 v[134:135], v[134:135], v[158:159]
	s_waitcnt lgkmcnt(3)
	v_sub_f32_e32 v139, v199, v139
	v_pk_add_f32 v[134:135], v[134:135], v[154:155]
	v_mul_f32_e32 v139, v190, v139
	v_pk_add_f32 v[134:135], v[134:135], v[166:167]
	s_waitcnt lgkmcnt(2)
	v_mul_f32_e32 v191, v139, v138
	s_waitcnt lgkmcnt(1)
	v_sub_f32_e32 v138, v201, v140
	ds_bpermute_b32 v139, v204, v171 offset:112
	v_pk_add_f32 v[134:135], v[134:135], v[164:165]
	v_mul_f32_e32 v138, v196, v138
	v_pk_add_f32 v[134:135], v[134:135], v[172:173]
	s_waitcnt lgkmcnt(1)
	v_mul_f32_e32 v197, v138, v141
	ds_bpermute_b32 v138, v204, v132 offset:112
	ds_bpermute_b32 v140, v204, v171 offset:116
	v_pk_add_f32 v[134:135], v[134:135], v[168:169]
	v_pk_add_f32 v[134:135], v[134:135], v[176:177]
	ds_bpermute_b32 v141, v204, v132 offset:116
	v_pk_add_f32 v[134:135], v[134:135], v[174:175]
	s_waitcnt lgkmcnt(3)
	v_sub_f32_e32 v139, v202, v139
	v_pk_add_f32 v[134:135], v[134:135], v[182:183]
	v_mul_f32_e32 v139, v194, v139
	v_pk_add_f32 v[134:135], v[134:135], v[180:181]
	s_waitcnt lgkmcnt(2)
	v_mul_f32_e32 v195, v139, v138
	s_waitcnt lgkmcnt(1)
	v_sub_f32_e32 v138, v206, v140
	v_pk_add_f32 v[134:135], v[134:135], v[188:189]
	v_mul_f32_e32 v138, v200, v138
	s_waitcnt lgkmcnt(0)
	v_mul_f32_e32 v201, v138, v141
	v_pk_add_f32 v[134:135], v[134:135], v[178:179]
	ds_bpermute_b32 v138, v204, v171 offset:120
	v_pk_add_f32 v[134:135], v[134:135], v[186:187]
	v_pk_add_f32 v[134:135], v[134:135], v[184:185]
	ds_bpermute_b32 v139, v204, v132 offset:120
	v_pk_add_f32 v[134:135], v[134:135], v[192:193]
	v_pk_add_f32 v[134:135], v[134:135], v[190:191]
	;; [unrolled: 1-line block ×3, first 2 shown]
	s_waitcnt lgkmcnt(1)
	v_sub_f32_e32 v138, v203, v138
	v_pk_add_f32 v[134:135], v[134:135], v[194:195]
	v_mul_f32_e32 v138, v198, v138
	v_pk_add_f32 v[134:135], v[134:135], v[200:201]
	s_waitcnt lgkmcnt(0)
	v_mul_f32_e32 v199, v138, v139
	ds_bpermute_b32 v132, v204, v132 offset:124
	ds_bpermute_b32 v142, v204, v171 offset:124
	v_pk_add_f32 v[140:141], v[134:135], v[198:199]
.LBB84_4:                               ;   in Loop: Header=BB84_5 Depth=1
	s_waitcnt lgkmcnt(0)
	v_sub_f32_e32 v134, v205, v142
	v_mul_f32_e32 v134, v170, v134
	v_mul_f32_e32 v171, v134, v132
	v_mov_b32_e32 v132, s9
	v_add_co_u32_e64 v2, s[10:11], s33, v2
	v_addc_co_u32_e64 v129, s[10:11], v129, v132, s[10:11]
	v_mov_b32_e32 v132, s31
	v_add_co_u32_e64 v4, s[10:11], s30, v4
	v_addc_co_u32_e64 v1, s[10:11], v1, v132, s[10:11]
	v_add_co_u32_e64 v6, s[10:11], s30, v6
	v_addc_co_u32_e64 v3, s[10:11], v3, v132, s[10:11]
	;; [unrolled: 2-line block ×62, first 2 shown]
	s_add_u32 s34, s34, s33
	v_add_co_u32_e64 v128, s[10:11], s30, v128
	s_addc_u32 s35, s35, 0
	v_pk_mov_b32 v[134:135], s[12:13], s[12:13] op_sel:[0,1]
	v_addc_co_u32_e64 v125, s[10:11], v125, v132, s[10:11]
	v_cmp_lt_i64_e32 vcc, s[34:35], v[134:135]
	v_add_co_u32_e64 v130, s[10:11], s30, v130
	s_add_u32 s28, s28, s33
	v_pk_add_f32 v[138:139], v[140:141], v[170:171]
	v_addc_co_u32_e64 v127, s[10:11], v127, v132, s[10:11]
	s_addc_u32 s29, s29, 0
	s_cbranch_vccz .LBB84_145
.LBB84_5:                               ; =>This Inner Loop Header: Depth=1
	s_add_u32 s10, s24, s28
	s_addc_u32 s11, 0, s29
	v_pk_mov_b32 v[134:135], s[12:13], s[12:13] op_sel:[0,1]
	v_cmp_ge_i64_e32 vcc, s[10:11], v[134:135]
	v_mov_b32_e32 v132, s25
	v_add_co_u32_e64 v134, s[10:11], s24, v2
	v_addc_co_u32_e64 v135, s[10:11], v132, v129, s[10:11]
	s_cbranch_vccz .LBB84_75
; %bb.6:                                ;   in Loop: Header=BB84_5 Depth=1
	s_load_dword s10, s[26:27], 0xc
	v_mov_b32_e32 v140, 0
	v_mov_b32_e32 v132, 0
	v_mov_b32_e32 v171, 0
	s_waitcnt lgkmcnt(0)
	s_and_b32 s10, s10, 0xffff
	v_mad_u32_u24 v141, v0, s10, v131
	v_and_b32_e32 v141, 63, v141
	v_cmp_gt_u32_e32 vcc, 32, v141
	s_and_saveexec_b64 s[10:11], vcc
	s_cbranch_execz .LBB84_10
; %bb.7:                                ;   in Loop: Header=BB84_5 Depth=1
	v_add_co_u32_e32 v142, vcc, v134, v141
	v_addc_co_u32_e32 v143, vcc, 0, v135, vcc
	v_cmp_gt_i64_e32 vcc, s[12:13], v[142:143]
	v_mov_b32_e32 v171, 0
	v_mov_b32_e32 v132, 0
	s_and_saveexec_b64 s[36:37], vcc
	s_cbranch_execz .LBB84_9
; %bb.8:                                ;   in Loop: Header=BB84_5 Depth=1
	v_lshlrev_b64 v[142:143], 2, v[142:143]
	v_mov_b32_e32 v132, s23
	v_add_co_u32_e32 v144, vcc, s22, v142
	v_addc_co_u32_e32 v145, vcc, v132, v143, vcc
	v_mov_b32_e32 v132, s21
	v_add_co_u32_e32 v142, vcc, s20, v142
	v_addc_co_u32_e32 v143, vcc, v132, v143, vcc
	global_load_dword v171, v[142:143], off
	global_load_dword v132, v[144:145], off
.LBB84_9:                               ;   in Loop: Header=BB84_5 Depth=1
	s_or_b64 exec, exec, s[36:37]
.LBB84_10:                              ;   in Loop: Header=BB84_5 Depth=1
	s_or_b64 exec, exec, s[10:11]
	v_cmp_gt_i64_e32 vcc, s[12:13], v[134:135]
	s_and_b64 s[36:37], s[2:3], vcc
	v_mov_b32_e32 v141, 0
	s_and_saveexec_b64 s[10:11], s[36:37]
	s_cbranch_execz .LBB84_12
; %bb.11:                               ;   in Loop: Header=BB84_5 Depth=1
	v_add_co_u32_e32 v140, vcc, v128, v136
	v_addc_co_u32_e32 v141, vcc, v125, v137, vcc
	global_load_ushort v142, v[140:141], off
	v_add_co_u32_e32 v140, vcc, v130, v136
	v_addc_co_u32_e32 v141, vcc, v127, v137, vcc
	global_load_ushort v141, v[140:141], off
	s_waitcnt vmcnt(1)
	v_cvt_f32_f16_e32 v140, v142
	s_waitcnt vmcnt(0)
	v_cvt_f32_f16_e32 v141, v141
.LBB84_12:                              ;   in Loop: Header=BB84_5 Depth=1
	s_or_b64 exec, exec, s[10:11]
	v_add_co_u32_e32 v142, vcc, 1, v134
	v_addc_co_u32_e32 v143, vcc, 0, v135, vcc
	v_cmp_gt_i64_e32 vcc, s[12:13], v[142:143]
	s_and_b64 s[36:37], s[2:3], vcc
	v_mov_b32_e32 v142, 0
	v_mov_b32_e32 v144, 0
	v_mov_b32_e32 v143, 0
	s_and_saveexec_b64 s[10:11], s[36:37]
	s_cbranch_execz .LBB84_14
; %bb.13:                               ;   in Loop: Header=BB84_5 Depth=1
	v_add_co_u32_e32 v144, vcc, v124, v136
	v_addc_co_u32_e32 v145, vcc, v121, v137, vcc
	global_load_ushort v143, v[144:145], off
	v_add_co_u32_e32 v144, vcc, v126, v136
	v_addc_co_u32_e32 v145, vcc, v123, v137, vcc
	global_load_ushort v145, v[144:145], off
	s_waitcnt vmcnt(1)
	v_cvt_f32_f16_e32 v144, v143
	s_waitcnt vmcnt(0)
	v_cvt_f32_f16_e32 v143, v145
.LBB84_14:                              ;   in Loop: Header=BB84_5 Depth=1
	s_or_b64 exec, exec, s[10:11]
	v_add_co_u32_e32 v146, vcc, 2, v134
	v_addc_co_u32_e32 v147, vcc, 0, v135, vcc
	v_cmp_gt_i64_e32 vcc, s[12:13], v[146:147]
	s_and_b64 s[36:37], s[2:3], vcc
	v_mov_b32_e32 v147, 0
	s_and_saveexec_b64 s[10:11], s[36:37]
	s_cbranch_execz .LBB84_16
; %bb.15:                               ;   in Loop: Header=BB84_5 Depth=1
	v_add_co_u32_e32 v146, vcc, v120, v136
	v_addc_co_u32_e32 v147, vcc, v117, v137, vcc
	global_load_ushort v142, v[146:147], off
	v_add_co_u32_e32 v146, vcc, v122, v136
	v_addc_co_u32_e32 v147, vcc, v119, v137, vcc
	global_load_ushort v145, v[146:147], off
	s_waitcnt vmcnt(1)
	v_cvt_f32_f16_e32 v142, v142
	s_waitcnt vmcnt(0)
	v_cvt_f32_f16_e32 v147, v145
.LBB84_16:                              ;   in Loop: Header=BB84_5 Depth=1
	s_or_b64 exec, exec, s[10:11]
	v_add_co_u32_e32 v148, vcc, 3, v134
	v_addc_co_u32_e32 v149, vcc, 0, v135, vcc
	v_cmp_gt_i64_e32 vcc, s[12:13], v[148:149]
	s_and_b64 s[36:37], s[2:3], vcc
	v_mov_b32_e32 v146, 0
	v_mov_b32_e32 v148, 0
	v_mov_b32_e32 v149, 0
	s_and_saveexec_b64 s[10:11], s[36:37]
	s_cbranch_execz .LBB84_18
; %bb.17:                               ;   in Loop: Header=BB84_5 Depth=1
	v_add_co_u32_e32 v148, vcc, v116, v136
	v_addc_co_u32_e32 v149, vcc, v113, v137, vcc
	global_load_ushort v145, v[148:149], off
	v_add_co_u32_e32 v148, vcc, v118, v136
	v_addc_co_u32_e32 v149, vcc, v115, v137, vcc
	global_load_ushort v149, v[148:149], off
	s_waitcnt vmcnt(1)
	v_cvt_f32_f16_e32 v148, v145
	s_waitcnt vmcnt(0)
	v_cvt_f32_f16_e32 v149, v149
.LBB84_18:                              ;   in Loop: Header=BB84_5 Depth=1
	s_or_b64 exec, exec, s[10:11]
	v_add_co_u32_e32 v150, vcc, 4, v134
	v_addc_co_u32_e32 v151, vcc, 0, v135, vcc
	;; [unrolled: 42-line block ×15, first 2 shown]
	v_cmp_gt_i64_e32 vcc, s[12:13], v[208:209]
	s_and_b64 s[36:37], s[2:3], vcc
	v_mov_b32_e32 v207, 0
	s_and_saveexec_b64 s[10:11], s[36:37]
	s_cbranch_execz .LBB84_72
; %bb.71:                               ;   in Loop: Header=BB84_5 Depth=1
	v_add_co_u32_e32 v208, vcc, v8, v136
	v_addc_co_u32_e32 v209, vcc, v5, v137, vcc
	global_load_ushort v145, v[208:209], off
	v_add_co_u32_e32 v208, vcc, v10, v136
	v_addc_co_u32_e32 v209, vcc, v7, v137, vcc
	global_load_ushort v165, v[208:209], off
	s_waitcnt vmcnt(1)
	v_cvt_f32_f16_e32 v200, v145
	s_waitcnt vmcnt(0)
	v_cvt_f32_f16_e32 v207, v165
.LBB84_72:                              ;   in Loop: Header=BB84_5 Depth=1
	s_or_b64 exec, exec, s[10:11]
	v_add_co_u32_e32 v208, vcc, 31, v134
	v_addc_co_u32_e32 v209, vcc, 0, v135, vcc
	v_cmp_gt_i64_e32 vcc, s[12:13], v[208:209]
	s_and_b64 s[36:37], s[2:3], vcc
	v_mov_b32_e32 v170, 0
	v_mov_b32_e32 v205, 0
	s_and_saveexec_b64 s[10:11], s[36:37]
	s_cbranch_execz .LBB84_74
; %bb.73:                               ;   in Loop: Header=BB84_5 Depth=1
	v_add_co_u32_e32 v208, vcc, v4, v136
	v_addc_co_u32_e32 v209, vcc, v1, v137, vcc
	global_load_ushort v145, v[208:209], off
	v_add_co_u32_e32 v208, vcc, v6, v136
	v_addc_co_u32_e32 v209, vcc, v3, v137, vcc
	global_load_ushort v165, v[208:209], off
	s_waitcnt vmcnt(1)
	v_cvt_f32_f16_e32 v170, v145
	s_waitcnt vmcnt(0)
	v_cvt_f32_f16_e32 v205, v165
.LBB84_74:                              ;   in Loop: Header=BB84_5 Depth=1
	s_or_b64 exec, exec, s[10:11]
	s_waitcnt vmcnt(1)
	ds_bpermute_b32 v145, v204, v171
	s_waitcnt vmcnt(0)
	ds_bpermute_b32 v165, v204, v132
	ds_bpermute_b32 v209, v204, v171 offset:4
	ds_bpermute_b32 v208, v204, v132 offset:4
	;; [unrolled: 1-line block ×3, first 2 shown]
	s_waitcnt lgkmcnt(4)
	v_sub_f32_e32 v141, v141, v145
	v_mul_f32_e32 v141, v140, v141
	s_waitcnt lgkmcnt(3)
	v_mul_f32_e32 v141, v141, v165
	ds_bpermute_b32 v165, v204, v132 offset:8
	s_waitcnt lgkmcnt(3)
	v_sub_f32_e32 v143, v143, v209
	v_mul_f32_e32 v143, v144, v143
	s_waitcnt lgkmcnt(2)
	v_mul_f32_e32 v145, v143, v208
	s_waitcnt lgkmcnt(1)
	v_sub_f32_e32 v143, v147, v210
	ds_bpermute_b32 v147, v204, v171 offset:12
	v_mul_f32_e32 v143, v142, v143
	s_waitcnt lgkmcnt(1)
	v_mul_f32_e32 v143, v143, v165
	ds_bpermute_b32 v165, v204, v132 offset:12
	ds_bpermute_b32 v208, v204, v171 offset:16
	s_waitcnt lgkmcnt(2)
	v_sub_f32_e32 v147, v149, v147
	v_mul_f32_e32 v147, v148, v147
	v_pk_add_f32 v[140:141], v[138:139], v[140:141]
	s_waitcnt lgkmcnt(1)
	v_mul_f32_e32 v149, v147, v165
	s_waitcnt lgkmcnt(0)
	v_sub_f32_e32 v147, v151, v208
	ds_bpermute_b32 v151, v204, v171 offset:20
	ds_bpermute_b32 v165, v204, v132 offset:20
	;; [unrolled: 1-line block ×3, first 2 shown]
	v_pk_add_f32 v[140:141], v[140:141], v[144:145]
	v_pk_add_f32 v[140:141], v[140:141], v[142:143]
	s_waitcnt lgkmcnt(2)
	v_sub_f32_e32 v151, v153, v151
	v_mul_f32_e32 v151, v152, v151
	s_waitcnt lgkmcnt(1)
	v_mul_f32_e32 v153, v151, v165
	s_waitcnt lgkmcnt(0)
	v_sub_f32_e32 v151, v155, v208
	ds_bpermute_b32 v155, v204, v171 offset:28
	ds_bpermute_b32 v165, v204, v132 offset:28
	;; [unrolled: 1-line block ×5, first 2 shown]
	s_waitcnt lgkmcnt(4)
	v_sub_f32_e32 v155, v157, v155
	v_mul_f32_e32 v155, v156, v155
	s_waitcnt lgkmcnt(3)
	v_mul_f32_e32 v157, v155, v165
	s_waitcnt lgkmcnt(2)
	v_sub_f32_e32 v155, v159, v208
	ds_bpermute_b32 v159, v204, v171 offset:36
	ds_bpermute_b32 v165, v204, v132 offset:36
	;; [unrolled: 1-line block ×3, first 2 shown]
	s_waitcnt lgkmcnt(4)
	v_sub_f32_e32 v142, v167, v142
	ds_bpermute_b32 v144, v204, v171 offset:48
	s_waitcnt lgkmcnt(3)
	v_sub_f32_e32 v159, v161, v159
	ds_bpermute_b32 v161, v204, v132 offset:40
	v_mul_f32_e32 v159, v164, v159
	s_waitcnt lgkmcnt(3)
	v_mul_f32_e32 v165, v159, v165
	s_waitcnt lgkmcnt(2)
	v_sub_f32_e32 v159, v163, v208
	v_mul_f32_e32 v159, v162, v159
	v_mul_f32_e32 v142, v160, v142
	s_waitcnt lgkmcnt(0)
	v_mul_f32_e32 v163, v159, v161
	v_mul_f32_e32 v161, v142, v143
	ds_bpermute_b32 v142, v204, v132 offset:48
	ds_bpermute_b32 v143, v204, v171 offset:52
	ds_bpermute_b32 v145, v204, v132 offset:52
	v_sub_f32_e32 v144, v169, v144
	v_mul_f32_e32 v144, v158, v144
	s_waitcnt lgkmcnt(2)
	v_mul_f32_e32 v159, v144, v142
	s_waitcnt lgkmcnt(1)
	v_sub_f32_e32 v142, v173, v143
	ds_bpermute_b32 v143, v204, v171 offset:56
	v_mul_f32_e32 v142, v168, v142
	s_waitcnt lgkmcnt(1)
	v_mul_f32_e32 v169, v142, v145
	ds_bpermute_b32 v142, v204, v132 offset:56
	ds_bpermute_b32 v144, v204, v171 offset:60
	ds_bpermute_b32 v145, v204, v132 offset:60
	s_waitcnt lgkmcnt(3)
	v_sub_f32_e32 v143, v175, v143
	v_mul_f32_e32 v143, v166, v143
	s_waitcnt lgkmcnt(2)
	v_mul_f32_e32 v167, v143, v142
	s_waitcnt lgkmcnt(1)
	v_sub_f32_e32 v142, v177, v144
	ds_bpermute_b32 v143, v204, v171 offset:64
	v_mul_f32_e32 v142, v174, v142
	s_waitcnt lgkmcnt(1)
	v_mul_f32_e32 v175, v142, v145
	ds_bpermute_b32 v142, v204, v132 offset:64
	ds_bpermute_b32 v144, v204, v171 offset:68
	ds_bpermute_b32 v145, v204, v132 offset:68
	s_waitcnt lgkmcnt(3)
	;; [unrolled: 14-line block ×4, first 2 shown]
	v_sub_f32_e32 v143, v187, v143
	v_mul_f32_e32 v143, v182, v143
	s_waitcnt lgkmcnt(2)
	v_mul_f32_e32 v183, v143, v142
	s_waitcnt lgkmcnt(1)
	v_sub_f32_e32 v142, v191, v144
	v_mul_f32_e32 v142, v190, v142
	s_waitcnt lgkmcnt(0)
	v_mul_f32_e32 v191, v142, v145
	ds_bpermute_b32 v142, v204, v171 offset:88
	ds_bpermute_b32 v209, v204, v132 offset:16
	;; [unrolled: 1-line block ×5, first 2 shown]
	v_mul_f32_e32 v147, v146, v147
	s_waitcnt lgkmcnt(4)
	v_sub_f32_e32 v142, v189, v142
	s_waitcnt lgkmcnt(3)
	v_mul_f32_e32 v147, v147, v209
	ds_bpermute_b32 v209, v204, v132 offset:24
	v_mul_f32_e32 v142, v180, v142
	s_waitcnt lgkmcnt(3)
	v_mul_f32_e32 v181, v142, v143
	s_waitcnt lgkmcnt(2)
	v_sub_f32_e32 v142, v193, v144
	ds_bpermute_b32 v143, v204, v171 offset:96
	v_mul_f32_e32 v142, v188, v142
	s_waitcnt lgkmcnt(2)
	v_mul_f32_e32 v189, v142, v145
	ds_bpermute_b32 v142, v204, v132 offset:96
	ds_bpermute_b32 v144, v204, v171 offset:100
	v_mul_f32_e32 v151, v150, v151
	s_waitcnt lgkmcnt(3)
	v_mul_f32_e32 v151, v151, v209
	ds_bpermute_b32 v209, v204, v132 offset:32
	ds_bpermute_b32 v145, v204, v132 offset:100
	v_pk_add_f32 v[140:141], v[140:141], v[148:149]
	s_waitcnt lgkmcnt(4)
	v_sub_f32_e32 v143, v195, v143
	v_pk_add_f32 v[140:141], v[140:141], v[146:147]
	v_mul_f32_e32 v143, v186, v143
	v_pk_add_f32 v[140:141], v[140:141], v[152:153]
	s_waitcnt lgkmcnt(3)
	v_mul_f32_e32 v187, v143, v142
	s_waitcnt lgkmcnt(2)
	v_sub_f32_e32 v142, v197, v144
	ds_bpermute_b32 v143, v204, v171 offset:104
	v_mul_f32_e32 v155, v154, v155
	v_pk_add_f32 v[140:141], v[140:141], v[150:151]
	v_mul_f32_e32 v142, v194, v142
	s_waitcnt lgkmcnt(2)
	v_mul_f32_e32 v155, v155, v209
	v_pk_add_f32 v[140:141], v[140:141], v[156:157]
	s_waitcnt lgkmcnt(1)
	v_mul_f32_e32 v195, v142, v145
	ds_bpermute_b32 v142, v204, v132 offset:104
	ds_bpermute_b32 v144, v204, v171 offset:108
	v_pk_add_f32 v[140:141], v[140:141], v[154:155]
	v_pk_add_f32 v[140:141], v[140:141], v[164:165]
	ds_bpermute_b32 v145, v204, v132 offset:108
	v_pk_add_f32 v[140:141], v[140:141], v[162:163]
	s_waitcnt lgkmcnt(3)
	v_sub_f32_e32 v143, v199, v143
	v_pk_add_f32 v[140:141], v[140:141], v[160:161]
	v_mul_f32_e32 v143, v192, v143
	v_pk_add_f32 v[140:141], v[140:141], v[158:159]
	s_waitcnt lgkmcnt(2)
	v_mul_f32_e32 v193, v143, v142
	s_waitcnt lgkmcnt(1)
	v_sub_f32_e32 v142, v201, v144
	ds_bpermute_b32 v143, v204, v171 offset:112
	v_pk_add_f32 v[140:141], v[140:141], v[168:169]
	v_mul_f32_e32 v142, v198, v142
	v_pk_add_f32 v[140:141], v[140:141], v[166:167]
	s_waitcnt lgkmcnt(1)
	v_mul_f32_e32 v199, v142, v145
	ds_bpermute_b32 v142, v204, v132 offset:112
	ds_bpermute_b32 v144, v204, v171 offset:116
	v_pk_add_f32 v[140:141], v[140:141], v[174:175]
	v_pk_add_f32 v[140:141], v[140:141], v[172:173]
	ds_bpermute_b32 v145, v204, v132 offset:116
	v_pk_add_f32 v[140:141], v[140:141], v[178:179]
	s_waitcnt lgkmcnt(3)
	v_sub_f32_e32 v143, v203, v143
	v_pk_add_f32 v[140:141], v[140:141], v[176:177]
	v_mul_f32_e32 v143, v196, v143
	v_pk_add_f32 v[140:141], v[140:141], v[184:185]
	s_waitcnt lgkmcnt(2)
	v_mul_f32_e32 v197, v143, v142
	s_waitcnt lgkmcnt(1)
	v_sub_f32_e32 v142, v206, v144
	v_pk_add_f32 v[140:141], v[140:141], v[182:183]
	v_mul_f32_e32 v142, v202, v142
	v_pk_add_f32 v[140:141], v[140:141], v[190:191]
	s_waitcnt lgkmcnt(0)
	v_mul_f32_e32 v203, v142, v145
	ds_bpermute_b32 v142, v204, v171 offset:120
	v_pk_add_f32 v[140:141], v[140:141], v[180:181]
	v_pk_add_f32 v[140:141], v[140:141], v[188:189]
	;; [unrolled: 1-line block ×3, first 2 shown]
	ds_bpermute_b32 v143, v204, v132 offset:120
	v_pk_add_f32 v[140:141], v[140:141], v[194:195]
	v_pk_add_f32 v[140:141], v[140:141], v[192:193]
	s_waitcnt lgkmcnt(1)
	v_sub_f32_e32 v144, v207, v142
	ds_bpermute_b32 v132, v204, v132 offset:124
	ds_bpermute_b32 v142, v204, v171 offset:124
	v_pk_add_f32 v[140:141], v[140:141], v[198:199]
	v_pk_add_f32 v[140:141], v[140:141], v[196:197]
	v_mul_f32_e32 v144, v200, v144
	v_pk_add_f32 v[140:141], v[140:141], v[202:203]
	s_waitcnt lgkmcnt(2)
	v_mul_f32_e32 v201, v144, v143
	v_pk_add_f32 v[140:141], v[140:141], v[200:201]
	s_branch .LBB84_4
.LBB84_75:                              ;   in Loop: Header=BB84_5 Depth=1
                                        ; implicit-def: $vgpr140_vgpr141
                                        ; implicit-def: $vgpr132
                                        ; implicit-def: $vgpr170
                                        ; implicit-def: $vgpr205
                                        ; implicit-def: $vgpr142
	s_cbranch_execz .LBB84_4
; %bb.76:                               ;   in Loop: Header=BB84_5 Depth=1
	s_load_dword s10, s[26:27], 0x0
	v_mov_b32_e32 v140, 0
	s_waitcnt lgkmcnt(0)
	v_mov_b32_e32 v132, 0
	v_mov_b32_e32 v171, 0
	s_cmp_lt_u32 s6, s10
	s_cselect_b32 s10, 12, 18
	s_add_u32 s10, s26, s10
	s_addc_u32 s11, s27, 0
	global_load_ushort v141, v133, s[10:11]
	s_waitcnt vmcnt(0)
	v_mad_u32_u24 v141, v0, v141, v131
	v_and_b32_e32 v141, 63, v141
	v_cmp_gt_u32_e32 vcc, 32, v141
	s_and_saveexec_b64 s[10:11], vcc
	s_cbranch_execz .LBB84_80
; %bb.77:                               ;   in Loop: Header=BB84_5 Depth=1
	v_add_co_u32_e32 v134, vcc, v134, v141
	v_addc_co_u32_e32 v135, vcc, 0, v135, vcc
	v_cmp_gt_i64_e32 vcc, s[12:13], v[134:135]
	v_mov_b32_e32 v171, 0
	v_mov_b32_e32 v132, 0
	s_and_saveexec_b64 s[36:37], vcc
	s_cbranch_execz .LBB84_79
; %bb.78:                               ;   in Loop: Header=BB84_5 Depth=1
	v_lshlrev_b64 v[134:135], 2, v[134:135]
	v_mov_b32_e32 v132, s23
	v_add_co_u32_e32 v142, vcc, s22, v134
	v_addc_co_u32_e32 v143, vcc, v132, v135, vcc
	v_mov_b32_e32 v132, s21
	v_add_co_u32_e32 v134, vcc, s20, v134
	v_addc_co_u32_e32 v135, vcc, v132, v135, vcc
	global_load_dword v171, v[134:135], off
	global_load_dword v132, v[142:143], off
.LBB84_79:                              ;   in Loop: Header=BB84_5 Depth=1
	s_or_b64 exec, exec, s[36:37]
.LBB84_80:                              ;   in Loop: Header=BB84_5 Depth=1
	s_or_b64 exec, exec, s[10:11]
	v_mov_b32_e32 v135, 0
	s_and_saveexec_b64 s[10:11], s[2:3]
	s_cbranch_execz .LBB84_82
; %bb.81:                               ;   in Loop: Header=BB84_5 Depth=1
	v_add_co_u32_e32 v134, vcc, v128, v136
	v_addc_co_u32_e32 v135, vcc, v125, v137, vcc
	global_load_ushort v140, v[134:135], off
	v_add_co_u32_e32 v134, vcc, v130, v136
	v_addc_co_u32_e32 v135, vcc, v127, v137, vcc
	global_load_ushort v134, v[134:135], off
	s_waitcnt vmcnt(1)
	v_cvt_f32_f16_e32 v140, v140
	s_waitcnt vmcnt(0)
	v_cvt_f32_f16_e32 v135, v134
.LBB84_82:                              ;   in Loop: Header=BB84_5 Depth=1
	s_or_b64 exec, exec, s[10:11]
	v_mov_b32_e32 v134, 0
	v_mov_b32_e32 v142, 0
	v_mov_b32_e32 v143, 0
	s_and_saveexec_b64 s[10:11], s[2:3]
	s_cbranch_execz .LBB84_84
; %bb.83:                               ;   in Loop: Header=BB84_5 Depth=1
	v_add_co_u32_e32 v142, vcc, v124, v136
	v_addc_co_u32_e32 v143, vcc, v121, v137, vcc
	global_load_ushort v141, v[142:143], off
	v_add_co_u32_e32 v142, vcc, v126, v136
	v_addc_co_u32_e32 v143, vcc, v123, v137, vcc
	global_load_ushort v143, v[142:143], off
	s_waitcnt vmcnt(1)
	v_cvt_f32_f16_e32 v142, v141
	s_waitcnt vmcnt(0)
	v_cvt_f32_f16_e32 v143, v143
.LBB84_84:                              ;   in Loop: Header=BB84_5 Depth=1
	s_or_b64 exec, exec, s[10:11]
	v_mov_b32_e32 v145, 0
	s_and_saveexec_b64 s[10:11], s[2:3]
	s_cbranch_execz .LBB84_86
; %bb.85:                               ;   in Loop: Header=BB84_5 Depth=1
	v_add_co_u32_e32 v144, vcc, v120, v136
	v_addc_co_u32_e32 v145, vcc, v117, v137, vcc
	global_load_ushort v134, v[144:145], off
	v_add_co_u32_e32 v144, vcc, v122, v136
	v_addc_co_u32_e32 v145, vcc, v119, v137, vcc
	global_load_ushort v141, v[144:145], off
	s_waitcnt vmcnt(1)
	v_cvt_f32_f16_e32 v134, v134
	s_waitcnt vmcnt(0)
	v_cvt_f32_f16_e32 v145, v141
.LBB84_86:                              ;   in Loop: Header=BB84_5 Depth=1
	s_or_b64 exec, exec, s[10:11]
	v_mov_b32_e32 v144, 0
	v_mov_b32_e32 v146, 0
	v_mov_b32_e32 v147, 0
	s_and_saveexec_b64 s[10:11], s[2:3]
	s_cbranch_execz .LBB84_88
; %bb.87:                               ;   in Loop: Header=BB84_5 Depth=1
	v_add_co_u32_e32 v146, vcc, v116, v136
	v_addc_co_u32_e32 v147, vcc, v113, v137, vcc
	global_load_ushort v141, v[146:147], off
	v_add_co_u32_e32 v146, vcc, v118, v136
	v_addc_co_u32_e32 v147, vcc, v115, v137, vcc
	global_load_ushort v147, v[146:147], off
	s_waitcnt vmcnt(1)
	v_cvt_f32_f16_e32 v146, v141
	s_waitcnt vmcnt(0)
	v_cvt_f32_f16_e32 v147, v147
.LBB84_88:                              ;   in Loop: Header=BB84_5 Depth=1
	;; [unrolled: 34-line block ×4, first 2 shown]
	s_or_b64 exec, exec, s[10:11]
	v_mov_b32_e32 v159, 0
	s_and_saveexec_b64 s[10:11], s[2:3]
	s_cbranch_execz .LBB84_98
; %bb.97:                               ;   in Loop: Header=BB84_5 Depth=1
	v_add_co_u32_e32 v158, vcc, v96, v136
	v_addc_co_u32_e32 v159, vcc, v93, v137, vcc
	global_load_ushort v141, v[158:159], off
	v_add_co_u32_e32 v158, vcc, v98, v136
	v_addc_co_u32_e32 v159, vcc, v95, v137, vcc
	global_load_ushort v154, v[158:159], off
	s_waitcnt vmcnt(1)
	v_cvt_f32_f16_e32 v152, v141
	s_waitcnt vmcnt(0)
	v_cvt_f32_f16_e32 v159, v154
.LBB84_98:                              ;   in Loop: Header=BB84_5 Depth=1
	s_or_b64 exec, exec, s[10:11]
	v_mov_b32_e32 v160, 0
	v_mov_b32_e32 v162, 0
	;; [unrolled: 1-line block ×3, first 2 shown]
	s_and_saveexec_b64 s[10:11], s[2:3]
	s_cbranch_execz .LBB84_100
; %bb.99:                               ;   in Loop: Header=BB84_5 Depth=1
	v_add_co_u32_e32 v162, vcc, v92, v136
	v_addc_co_u32_e32 v163, vcc, v89, v137, vcc
	global_load_ushort v141, v[162:163], off
	v_add_co_u32_e32 v162, vcc, v94, v136
	v_addc_co_u32_e32 v163, vcc, v91, v137, vcc
	global_load_ushort v154, v[162:163], off
	s_waitcnt vmcnt(1)
	v_cvt_f32_f16_e32 v162, v141
	s_waitcnt vmcnt(0)
	v_cvt_f32_f16_e32 v161, v154
.LBB84_100:                             ;   in Loop: Header=BB84_5 Depth=1
	s_or_b64 exec, exec, s[10:11]
	v_mov_b32_e32 v169, 0
	s_and_saveexec_b64 s[10:11], s[2:3]
	s_cbranch_execz .LBB84_102
; %bb.101:                              ;   in Loop: Header=BB84_5 Depth=1
	v_add_co_u32_e32 v164, vcc, v88, v136
	v_addc_co_u32_e32 v165, vcc, v85, v137, vcc
	global_load_ushort v141, v[164:165], off
	v_add_co_u32_e32 v164, vcc, v90, v136
	v_addc_co_u32_e32 v165, vcc, v87, v137, vcc
	global_load_ushort v154, v[164:165], off
	s_waitcnt vmcnt(1)
	v_cvt_f32_f16_e32 v160, v141
	s_waitcnt vmcnt(0)
	v_cvt_f32_f16_e32 v169, v154
.LBB84_102:                             ;   in Loop: Header=BB84_5 Depth=1
	s_or_b64 exec, exec, s[10:11]
	v_mov_b32_e32 v154, 0
	v_mov_b32_e32 v158, 0
	v_mov_b32_e32 v165, 0
	s_and_saveexec_b64 s[10:11], s[2:3]
	s_cbranch_execz .LBB84_104
; %bb.103:                              ;   in Loop: Header=BB84_5 Depth=1
	v_add_co_u32_e32 v164, vcc, v84, v136
	v_addc_co_u32_e32 v165, vcc, v81, v137, vcc
	global_load_ushort v141, v[164:165], off
	v_add_co_u32_e32 v164, vcc, v86, v136
	v_addc_co_u32_e32 v165, vcc, v83, v137, vcc
	global_load_ushort v157, v[164:165], off
	s_waitcnt vmcnt(1)
	v_cvt_f32_f16_e32 v158, v141
	s_waitcnt vmcnt(0)
	v_cvt_f32_f16_e32 v165, v157
.LBB84_104:                             ;   in Loop: Header=BB84_5 Depth=1
	s_or_b64 exec, exec, s[10:11]
	v_mov_b32_e32 v167, 0
	s_and_saveexec_b64 s[10:11], s[2:3]
	s_cbranch_execz .LBB84_106
; %bb.105:                              ;   in Loop: Header=BB84_5 Depth=1
	v_add_co_u32_e32 v166, vcc, v80, v136
	v_addc_co_u32_e32 v167, vcc, v77, v137, vcc
	global_load_ushort v141, v[166:167], off
	v_add_co_u32_e32 v166, vcc, v82, v136
	v_addc_co_u32_e32 v167, vcc, v79, v137, vcc
	global_load_ushort v157, v[166:167], off
	s_waitcnt vmcnt(1)
	v_cvt_f32_f16_e32 v154, v141
	s_waitcnt vmcnt(0)
	v_cvt_f32_f16_e32 v167, v157
.LBB84_106:                             ;   in Loop: Header=BB84_5 Depth=1
	s_or_b64 exec, exec, s[10:11]
	v_mov_b32_e32 v164, 0
	v_mov_b32_e32 v166, 0
	v_mov_b32_e32 v173, 0
	s_and_saveexec_b64 s[10:11], s[2:3]
	s_cbranch_execz .LBB84_108
; %bb.107:                              ;   in Loop: Header=BB84_5 Depth=1
	v_add_co_u32_e32 v172, vcc, v76, v136
	v_addc_co_u32_e32 v173, vcc, v73, v137, vcc
	global_load_ushort v141, v[172:173], off
	v_add_co_u32_e32 v172, vcc, v78, v136
	v_addc_co_u32_e32 v173, vcc, v75, v137, vcc
	global_load_ushort v157, v[172:173], off
	s_waitcnt vmcnt(1)
	v_cvt_f32_f16_e32 v166, v141
	s_waitcnt vmcnt(0)
	v_cvt_f32_f16_e32 v173, v157
.LBB84_108:                             ;   in Loop: Header=BB84_5 Depth=1
	;; [unrolled: 34-line block ×10, first 2 shown]
	s_or_b64 exec, exec, s[10:11]
	v_mov_b32_e32 v203, 0
	s_and_saveexec_b64 s[10:11], s[2:3]
	s_cbranch_execz .LBB84_142
; %bb.141:                              ;   in Loop: Header=BB84_5 Depth=1
	v_add_co_u32_e32 v208, vcc, v8, v136
	v_addc_co_u32_e32 v209, vcc, v5, v137, vcc
	global_load_ushort v141, v[208:209], off
	v_add_co_u32_e32 v208, vcc, v10, v136
	v_addc_co_u32_e32 v209, vcc, v7, v137, vcc
	global_load_ushort v157, v[208:209], off
	s_waitcnt vmcnt(1)
	v_cvt_f32_f16_e32 v198, v141
	s_waitcnt vmcnt(0)
	v_cvt_f32_f16_e32 v203, v157
.LBB84_142:                             ;   in Loop: Header=BB84_5 Depth=1
	s_or_b64 exec, exec, s[10:11]
	v_mov_b32_e32 v170, 0
	v_mov_b32_e32 v205, 0
	s_and_saveexec_b64 s[10:11], s[2:3]
	s_cbranch_execz .LBB84_3
; %bb.143:                              ;   in Loop: Header=BB84_5 Depth=1
	v_add_co_u32_e32 v208, vcc, v4, v136
	v_addc_co_u32_e32 v209, vcc, v1, v137, vcc
	global_load_ushort v141, v[208:209], off
	v_add_co_u32_e32 v208, vcc, v6, v136
	v_addc_co_u32_e32 v209, vcc, v3, v137, vcc
	global_load_ushort v157, v[208:209], off
	s_waitcnt vmcnt(1)
	v_cvt_f32_f16_e32 v170, v141
	s_waitcnt vmcnt(0)
	v_cvt_f32_f16_e32 v205, v157
	s_branch .LBB84_3
.LBB84_144:
                                        ; implicit-def: $vgpr138_vgpr139
	s_branch .LBB84_146
.LBB84_145:
	s_cbranch_execnz .LBB84_226
.LBB84_146:
	s_mov_b32 s3, 0
	s_mov_b32 s2, s3
	s_and_b64 vcc, exec, s[0:1]
	v_pk_mov_b32 v[138:139], s[2:3], s[2:3] op_sel:[0,1]
	s_cbranch_vccnz .LBB84_226
; %bb.147:
	v_bfe_u32 v128, v211, 10, 10
	s_add_u32 s10, s4, 64
	s_addc_u32 s11, s5, 0
	v_lshlrev_b32_e32 v0, 6, v128
	s_lshl_b64 s[0:1], s[24:25], 1
	v_mov_b32_e32 v1, s1
	v_add_co_u32_e32 v0, vcc, s0, v0
	v_addc_co_u32_e32 v1, vcc, 0, v1, vcc
	v_add_co_u32_e32 v22, vcc, 2, v0
	v_addc_co_u32_e32 v4, vcc, 0, v1, vcc
	;; [unrolled: 2-line block ×10, first 2 shown]
	v_add_co_u32_e32 v50, vcc, 20, v0
	v_pk_mov_b32 v[122:123], s[16:17], s[16:17] op_sel:[0,1]
	v_addc_co_u32_e32 v23, vcc, 0, v1, vcc
	v_pk_mov_b32 v[124:125], s[18:19], s[18:19] op_sel:[0,1]
	v_mad_u64_u32 v[2:3], s[0:1], s14, v22, v[122:123]
	v_mul_lo_u32 v24, s14, v4
	v_mul_lo_u32 v25, s15, v22
	;; [unrolled: 1-line block ×3, first 2 shown]
	v_mad_u64_u32 v[22:23], s[0:1], s14, v22, v[124:125]
	v_add3_u32 v3, v25, v3, v24
	v_mad_u64_u32 v[4:5], s[0:1], s14, v26, v[122:123]
	v_mul_lo_u32 v27, s14, v6
	v_mul_lo_u32 v28, s15, v26
	v_add3_u32 v23, v25, v23, v24
	v_mad_u64_u32 v[24:25], s[0:1], s14, v26, v[124:125]
	v_add3_u32 v5, v28, v5, v27
	v_mad_u64_u32 v[6:7], s[0:1], s14, v29, v[122:123]
	v_mul_lo_u32 v30, s14, v8
	v_mul_lo_u32 v31, s15, v29
	v_add3_u32 v25, v28, v25, v27
	v_mad_u64_u32 v[26:27], s[0:1], s14, v29, v[124:125]
	v_add3_u32 v7, v31, v7, v30
	v_mad_u64_u32 v[8:9], s[0:1], s14, v32, v[122:123]
	v_mul_lo_u32 v33, s14, v10
	v_mul_lo_u32 v34, s15, v32
	v_add_co_u32_e32 v53, vcc, 22, v0
	v_add3_u32 v27, v31, v27, v30
	v_mad_u64_u32 v[30:31], s[0:1], s14, v32, v[124:125]
	v_add3_u32 v9, v34, v9, v33
	v_mad_u64_u32 v[10:11], s[0:1], s14, v35, v[122:123]
	v_mul_lo_u32 v36, s14, v12
	v_mul_lo_u32 v37, s15, v35
	v_mad_u64_u32 v[12:13], s[0:1], s14, v38, v[122:123]
	v_mul_lo_u32 v39, s14, v14
	v_mul_lo_u32 v40, s15, v38
	v_addc_co_u32_e32 v54, vcc, 0, v1, vcc
	v_add3_u32 v31, v34, v31, v33
	v_mad_u64_u32 v[32:33], s[0:1], s14, v35, v[124:125]
	v_mad_u64_u32 v[34:35], s[0:1], s14, v38, v[124:125]
	v_add3_u32 v13, v40, v13, v39
	v_mul_lo_u32 v42, s14, v16
	v_mad_u64_u32 v[16:17], s[0:1], s14, v44, v[122:123]
	v_mul_lo_u32 v45, s14, v18
	v_mul_lo_u32 v46, s15, v44
	v_add3_u32 v35, v40, v35, v39
	v_add_co_u32_e32 v56, vcc, 24, v0
	v_mad_u64_u32 v[38:39], s[0:1], s14, v44, v[124:125]
	v_add3_u32 v17, v46, v17, v45
	v_mul_lo_u32 v48, s14, v20
	v_mad_u64_u32 v[20:21], s[0:1], s14, v50, v[122:123]
	v_mul_lo_u32 v52, s15, v50
	v_addc_co_u32_e32 v57, vcc, 0, v1, vcc
	v_add3_u32 v39, v46, v39, v45
	v_mad_u64_u32 v[44:45], s[0:1], s14, v50, v[124:125]
	v_add3_u32 v11, v37, v11, v36
	v_mad_u64_u32 v[14:15], s[0:1], s14, v41, v[122:123]
	v_mul_lo_u32 v43, s15, v41
	v_add3_u32 v21, v52, v21, v51
	v_add3_u32 v33, v37, v33, v36
	v_mad_u64_u32 v[36:37], s[0:1], s14, v41, v[124:125]
	v_add3_u32 v45, v52, v45, v51
	v_add_co_u32_e32 v52, vcc, 26, v0
	v_add3_u32 v15, v43, v15, v42
	v_mad_u64_u32 v[18:19], s[0:1], s14, v47, v[122:123]
	v_mul_lo_u32 v49, s15, v47
	v_mad_u64_u32 v[28:29], s[0:1], s14, v53, v[122:123]
	v_mul_lo_u32 v54, s14, v54
	v_mul_lo_u32 v55, s15, v53
	v_add3_u32 v37, v43, v37, v42
	v_mad_u64_u32 v[42:43], s[0:1], s14, v47, v[124:125]
	v_mad_u64_u32 v[46:47], s[0:1], s14, v53, v[124:125]
	v_addc_co_u32_e32 v53, vcc, 0, v1, vcc
	v_add3_u32 v19, v49, v19, v48
	v_add3_u32 v29, v55, v29, v54
	v_mad_u64_u32 v[40:41], s[0:1], s14, v56, v[122:123]
	v_add3_u32 v43, v49, v43, v48
	v_mul_lo_u32 v58, s15, v56
	v_add3_u32 v47, v55, v47, v54
	v_mad_u64_u32 v[48:49], s[0:1], s14, v56, v[124:125]
	v_mad_u64_u32 v[50:51], s[0:1], s14, v52, v[122:123]
	v_mul_lo_u32 v54, s14, v53
	v_mul_lo_u32 v55, s15, v52
	v_mad_u64_u32 v[52:53], s[0:1], s14, v52, v[124:125]
	v_add_co_u32_e32 v56, vcc, 28, v0
	v_mul_lo_u32 v57, s14, v57
	v_add3_u32 v51, v55, v51, v54
	v_add3_u32 v53, v55, v53, v54
	v_addc_co_u32_e32 v54, vcc, 0, v1, vcc
	v_add3_u32 v41, v58, v41, v57
	v_add3_u32 v49, v58, v49, v57
	v_mul_lo_u32 v58, s14, v54
	v_mul_lo_u32 v59, s15, v56
	v_mad_u64_u32 v[54:55], s[0:1], s14, v56, v[122:123]
	v_mad_u64_u32 v[56:57], s[0:1], s14, v56, v[124:125]
	v_add_co_u32_e32 v60, vcc, 30, v0
	v_add3_u32 v55, v59, v55, v58
	v_add3_u32 v57, v59, v57, v58
	v_addc_co_u32_e32 v58, vcc, 0, v1, vcc
	v_mul_lo_u32 v62, s14, v58
	v_mul_lo_u32 v63, s15, v60
	v_mad_u64_u32 v[58:59], s[0:1], s14, v60, v[122:123]
	v_mad_u64_u32 v[60:61], s[0:1], s14, v60, v[124:125]
	v_add_co_u32_e32 v64, vcc, 32, v0
	v_add3_u32 v59, v63, v59, v62
	v_add3_u32 v61, v63, v61, v62
	v_addc_co_u32_e32 v62, vcc, 0, v1, vcc
	;; [unrolled: 8-line block ×16, first 2 shown]
	v_add_co_u32_e32 v0, vcc, 62, v0
	v_mul_lo_u32 v126, s14, v118
	v_mul_lo_u32 v127, s15, v120
	v_mad_u64_u32 v[118:119], s[0:1], s14, v120, v[122:123]
	v_mad_u64_u32 v[120:121], s[0:1], s14, v120, v[124:125]
	v_addc_co_u32_e32 v1, vcc, 0, v1, vcc
	v_add3_u32 v119, v127, v119, v126
	v_add3_u32 v121, v127, v121, v126
	v_mad_u64_u32 v[122:123], s[0:1], s14, v0, v[122:123]
	v_mul_lo_u32 v1, s14, v1
	v_mad_u64_u32 v[124:125], s[0:1], s14, v0, v[124:125]
	v_mul_lo_u32 v0, s15, v0
	v_lshlrev_b32_e32 v126, 5, v128
	v_add3_u32 v123, v0, v123, v1
	v_add3_u32 v125, v0, v125, v1
	v_mov_b32_e32 v1, s25
	v_add_co_u32_e32 v0, vcc, s24, v126
	v_addc_co_u32_e32 v1, vcc, 0, v1, vcc
	v_add_co_u32_e32 v127, vcc, 31, v0
	v_accvgpr_write_b32 a1, v128
	v_addc_co_u32_e32 v128, vcc, 0, v1, vcc
	v_mul_lo_u32 v128, s14, v128
	v_mul_lo_u32 v129, s15, v127
	v_mad_u64_u32 v[132:133], s[0:1], s14, v127, 0
	v_add_co_u32_e32 v127, vcc, 30, v0
	v_add3_u32 v133, v133, v128, v129
	v_addc_co_u32_e32 v128, vcc, 0, v1, vcc
	v_mul_lo_u32 v128, s14, v128
	v_mul_lo_u32 v129, s15, v127
	v_mad_u64_u32 v[134:135], s[0:1], s14, v127, 0
	v_add_co_u32_e32 v127, vcc, 29, v0
	v_add3_u32 v135, v135, v128, v129
	;; [unrolled: 6-line block ×29, first 2 shown]
	v_addc_co_u32_e32 v128, vcc, 0, v1, vcc
	v_mul_lo_u32 v128, s14, v128
	v_mul_lo_u32 v129, s15, v127
	v_mad_u64_u32 v[190:191], s[0:1], s14, v127, 0
	v_add3_u32 v191, v191, v128, v129
	v_pk_mov_b32 v[128:129], s[14:15], s[14:15] op_sel:[0,1]
	v_mul_lo_u32 v127, s14, v1
	v_mad_u64_u32 v[192:193], s[0:1], s14, v0, v[128:129]
	v_mul_lo_u32 v128, s15, v0
	v_mad_u64_u32 v[0:1], s[0:1], s14, v0, 0
	v_add3_u32 v1, v1, v127, v128
	v_lshlrev_b64 v[130:131], 1, v[0:1]
	v_add3_u32 v193, v128, v193, v127
	v_mov_b32_e32 v0, s17
	v_add_co_u32_e32 v128, vcc, s16, v130
	v_addc_co_u32_e32 v1, vcc, v0, v131, vcc
	v_mov_b32_e32 v129, s19
	v_add_co_u32_e32 v130, vcc, s18, v130
	v_addc_co_u32_e32 v127, vcc, v129, v131, vcc
	v_lshlrev_b64 v[132:133], 1, v[132:133]
	v_add_co_u32_e32 v194, vcc, s16, v132
	v_addc_co_u32_e32 v131, vcc, v0, v133, vcc
	v_add_co_u32_e32 v132, vcc, s18, v132
	v_accvgpr_write_b32 a3, v131
	v_accvgpr_write_b32 a4, v132
	v_addc_co_u32_e32 v131, vcc, v129, v133, vcc
	v_lshlrev_b64 v[132:133], 1, v[134:135]
	v_add_co_u32_e32 v134, vcc, s16, v132
	v_accvgpr_write_b32 a5, v131
	v_addc_co_u32_e32 v131, vcc, v0, v133, vcc
	v_add_co_u32_e32 v132, vcc, s18, v132
	v_accvgpr_write_b32 a7, v131
	v_accvgpr_write_b32 a8, v132
	v_addc_co_u32_e32 v131, vcc, v129, v133, vcc
	v_lshlrev_b64 v[132:133], 1, v[136:137]
	v_accvgpr_write_b32 a6, v134
	v_add_co_u32_e32 v134, vcc, s16, v132
	v_accvgpr_write_b32 a9, v131
	v_addc_co_u32_e32 v131, vcc, v0, v133, vcc
	v_add_co_u32_e32 v132, vcc, s18, v132
	v_accvgpr_write_b32 a11, v131
	v_accvgpr_write_b32 a12, v132
	v_addc_co_u32_e32 v131, vcc, v129, v133, vcc
	v_lshlrev_b64 v[132:133], 1, v[138:139]
	v_accvgpr_write_b32 a10, v134
	;; [unrolled: 9-line block ×18, first 2 shown]
	v_add_co_u32_e32 v134, vcc, s16, v132
	v_accvgpr_write_b32 a77, v131
	v_addc_co_u32_e32 v131, vcc, v0, v133, vcc
	v_add_co_u32_e32 v132, vcc, s18, v132
	v_accvgpr_write_b32 a80, v132
	v_addc_co_u32_e32 v207, vcc, v129, v133, vcc
	v_lshlrev_b64 v[132:133], 1, v[172:173]
	v_accvgpr_write_b32 a78, v134
	v_add_co_u32_e32 v134, vcc, s16, v132
	v_accvgpr_write_b32 a79, v131
	v_addc_co_u32_e32 v131, vcc, v0, v133, vcc
	v_add_co_u32_e32 v214, vcc, s18, v132
	v_accvgpr_write_b32 a81, v131
	v_addc_co_u32_e32 v131, vcc, v129, v133, vcc
	v_lshlrev_b64 v[132:133], 1, v[174:175]
	v_add_co_u32_e32 v216, vcc, s16, v132
	v_accvgpr_write_b32 a83, v131
	v_addc_co_u32_e32 v131, vcc, v0, v133, vcc
	v_add_co_u32_e32 v218, vcc, s18, v132
	v_addc_co_u32_e32 v215, vcc, v129, v133, vcc
	v_lshlrev_b64 v[132:133], 1, v[176:177]
	v_add_co_u32_e32 v220, vcc, s16, v132
	v_addc_co_u32_e32 v217, vcc, v0, v133, vcc
	v_add_co_u32_e32 v222, vcc, s18, v132
	v_addc_co_u32_e32 v219, vcc, v129, v133, vcc
	v_lshlrev_b64 v[132:133], 1, v[178:179]
	v_add_co_u32_e32 v224, vcc, s16, v132
	;; [unrolled: 5-line block ×8, first 2 shown]
	v_addc_co_u32_e32 v245, vcc, v0, v133, vcc
	s_load_dword s0, s[4:5], 0x44
	v_add_co_u32_e32 v250, vcc, s18, v132
	v_addc_co_u32_e32 v247, vcc, v129, v133, vcc
	v_lshlrev_b64 v[132:133], 1, v[192:193]
	v_add_co_u32_e32 v252, vcc, s16, v132
	v_addc_co_u32_e32 v249, vcc, v0, v133, vcc
	v_and_b32_e32 v0, 0x3ff, v211
	v_add_co_u32_e32 v254, vcc, s18, v132
	v_accvgpr_write_b32 a84, v0
	v_add_u32_e32 v132, s7, v0
	s_waitcnt lgkmcnt(0)
	s_lshl_b32 s2, s0, 5
	v_mbcnt_lo_u32_b32 v0, -1, 0
	s_mul_i32 s0, s15, s2
	s_mul_hi_u32 s1, s14, s2
	v_mbcnt_hi_u32_b32 v0, -1, v0
	v_addc_co_u32_e32 v251, vcc, v129, v133, vcc
	v_mov_b32_e32 v133, 0
	s_add_i32 s1, s1, s0
	s_mul_i32 s0, s14, s2
	v_lshlrev_b32_e32 v0, 2, v0
	v_accvgpr_write_b32 a2, v194
	v_accvgpr_write_b32 a82, v134
	v_accvgpr_write_b32 a85, v131
	v_accvgpr_write_b32 a0, v211
	s_lshl_b64 s[16:17], s[0:1], 1
	s_mov_b64 s[18:19], 31
	v_and_b32_e32 v0, 0x100, v0
	v_mov_b32_e32 v134, 0
	v_mov_b32_e32 v135, v133
	s_mov_b64 s[26:27], s[24:25]
	v_mov_b32_e32 v253, v133
	v_accvgpr_write_b32 a87, v133
	v_lshlrev_b64 v[132:133], 1, v[132:133]
	s_branch .LBB84_151
.LBB84_148:                             ;   in Loop: Header=BB84_151 Depth=1
	s_or_b64 exec, exec, s[28:29]
.LBB84_149:                             ;   in Loop: Header=BB84_151 Depth=1
	s_or_b64 exec, exec, s[0:1]
	v_add_co_u32_e32 v136, vcc, v128, v132
	v_addc_co_u32_e32 v137, vcc, v1, v133, vcc
	global_load_ushort v131, v[136:137], off
	v_add_co_u32_e32 v136, vcc, v130, v132
	v_addc_co_u32_e32 v137, vcc, v127, v133, vcc
	s_waitcnt vmcnt(0)
	v_cvt_f32_f16_e32 v174, v131
	global_load_ushort v131, v[136:137], off
	v_add_co_u32_e32 v136, vcc, v2, v132
	v_addc_co_u32_e32 v137, vcc, v3, v133, vcc
	s_waitcnt vmcnt(0)
	v_cvt_f32_f16_e32 v175, v131
	;; [unrolled: 5-line block ×37, first 2 shown]
	global_load_ushort v131, v[136:137], off
	v_add_co_u32_e32 v136, vcc, v74, v132
	v_addc_co_u32_e32 v137, vcc, v75, v133, vcc
	global_load_ushort v136, v[136:137], off
	s_waitcnt vmcnt(1)
	v_cvt_f32_f16_e32 v131, v131
	s_waitcnt vmcnt(0)
	v_cvt_f32_f16_e32 v172, v136
	v_add_co_u32_e32 v136, vcc, v76, v132
	v_addc_co_u32_e32 v137, vcc, v77, v133, vcc
	global_load_ushort v136, v[136:137], off
	s_waitcnt vmcnt(0)
	v_cvt_f32_f16_e32 v173, v136
	v_add_co_u32_e32 v136, vcc, v78, v132
	v_addc_co_u32_e32 v137, vcc, v79, v133, vcc
	global_load_ushort v136, v[136:137], off
	;; [unrolled: 5-line block ×5, first 2 shown]
	s_waitcnt vmcnt(0)
	v_cvt_f32_f16_e32 v183, v136
	v_add_co_u32_e32 v136, vcc, v86, v132
	v_addc_co_u32_e32 v137, vcc, v87, v133, vcc
	v_add_co_u32_e32 v138, vcc, v88, v132
	v_addc_co_u32_e32 v139, vcc, v89, v133, vcc
	global_load_ushort v136, v[136:137], off
	s_waitcnt vmcnt(0)
	v_cvt_f32_f16_e32 v136, v136
	global_load_ushort v137, v[138:139], off
	v_add_co_u32_e32 v138, vcc, v90, v132
	v_addc_co_u32_e32 v139, vcc, v91, v133, vcc
	v_add_co_u32_e32 v140, vcc, v92, v132
	v_addc_co_u32_e32 v141, vcc, v93, v133, vcc
	global_load_ushort v138, v[138:139], off
	s_waitcnt vmcnt(1)
	v_cvt_f32_f16_e32 v137, v137
	global_load_ushort v139, v[140:141], off
	;; [unrolled: 8-line block ×5, first 2 shown]
	v_add_co_u32_e32 v148, vcc, v106, v132
	v_addc_co_u32_e32 v149, vcc, v107, v133, vcc
	v_add_co_u32_e32 v152, vcc, v108, v132
	v_addc_co_u32_e32 v153, vcc, v109, v133, vcc
	global_load_ushort v148, v[148:149], off
	v_cvt_f32_f16_e32 v140, v140
	global_load_ushort v149, v[152:153], off
	v_add_co_u32_e32 v152, vcc, v110, v132
	v_addc_co_u32_e32 v153, vcc, v111, v133, vcc
	v_add_co_u32_e32 v158, vcc, v112, v132
	v_addc_co_u32_e32 v159, vcc, v113, v133, vcc
	global_load_ushort v152, v[152:153], off
	s_waitcnt vmcnt(6)
	v_cvt_f32_f16_e32 v142, v142
	global_load_ushort v153, v[158:159], off
	v_add_co_u32_e32 v158, vcc, v114, v132
	v_addc_co_u32_e32 v159, vcc, v115, v133, vcc
	global_load_ushort v156, v[158:159], off
	v_add_co_u32_e32 v162, vcc, v116, v132
	v_addc_co_u32_e32 v163, vcc, v117, v133, vcc
	s_waitcnt vmcnt(7)
	v_cvt_f32_f16_e32 v143, v143
	s_waitcnt vmcnt(6)
	v_cvt_f32_f16_e32 v144, v144
	;; [unrolled: 2-line block ×8, first 2 shown]
	global_load_ushort v156, v[162:163], off
	v_add_co_u32_e32 v162, vcc, v118, v132
	v_addc_co_u32_e32 v163, vcc, v119, v133, vcc
	v_add_co_u32_e32 v200, vcc, v120, v132
	v_addc_co_u32_e32 v201, vcc, v121, v133, vcc
	s_waitcnt vmcnt(0)
	v_cvt_f32_f16_e32 v159, v156
	global_load_ushort v156, v[162:163], off
	s_waitcnt vmcnt(0)
	v_cvt_f32_f16_e32 v162, v156
	global_load_ushort v156, v[200:201], off
	v_add_co_u32_e32 v200, vcc, v122, v132
	v_addc_co_u32_e32 v201, vcc, v123, v133, vcc
	s_waitcnt vmcnt(0)
	v_cvt_f32_f16_e32 v163, v156
	global_load_ushort v156, v[200:201], off
	v_add_co_u32_e32 v200, vcc, v124, v132
	v_addc_co_u32_e32 v201, vcc, v125, v133, vcc
	global_load_ushort v199, v[200:201], off
	ds_bpermute_b32 v201, v0, v129
	s_waitcnt lgkmcnt(0)
	v_sub_f32_e32 v175, v175, v201
	ds_bpermute_b32 v201, v0, v129 offset:4
	v_mul_f32_e32 v175, v175, v174
	s_waitcnt lgkmcnt(0)
	v_sub_f32_e32 v179, v179, v201
	ds_bpermute_b32 v201, v0, v129 offset:8
	v_mul_f32_e32 v179, v179, v178
	;; [unrolled: 4-line block ×10, first 2 shown]
	s_waitcnt lgkmcnt(0)
	v_sub_f32_e32 v171, v171, v201
	v_mul_f32_e32 v171, v171, v198
	s_waitcnt vmcnt(1)
	v_cvt_f32_f16_e32 v156, v156
	s_waitcnt vmcnt(0)
	v_cvt_f32_f16_e32 v200, v199
	ds_bpermute_b32 v199, v0, v157
	s_waitcnt lgkmcnt(0)
	v_mul_f32_e32 v175, v175, v199
	ds_bpermute_b32 v199, v0, v157 offset:4
	v_pk_add_f32 v[134:135], v[134:135], v[174:175]
	ds_bpermute_b32 v174, v0, v129 offset:44
	s_waitcnt lgkmcnt(1)
	v_mul_f32_e32 v179, v179, v199
	ds_bpermute_b32 v199, v0, v157 offset:8
	s_waitcnt lgkmcnt(1)
	v_sub_f32_e32 v147, v147, v174
	ds_bpermute_b32 v174, v0, v129 offset:48
	v_mul_f32_e32 v147, v147, v146
	v_pk_add_f32 v[134:135], v[134:135], v[178:179]
	s_waitcnt lgkmcnt(1)
	v_mul_f32_e32 v181, v181, v199
	ds_bpermute_b32 v199, v0, v157 offset:12
	s_waitcnt lgkmcnt(1)
	v_sub_f32_e32 v151, v151, v174
	ds_bpermute_b32 v174, v0, v129 offset:52
	v_mul_f32_e32 v151, v151, v150
	v_pk_add_f32 v[134:135], v[134:135], v[180:181]
	;; [unrolled: 8-line block ×9, first 2 shown]
	s_waitcnt lgkmcnt(1)
	v_mul_f32_e32 v199, v171, v199
	ds_bpermute_b32 v171, v0, v157 offset:44
	s_waitcnt lgkmcnt(1)
	v_sub_f32_e32 v174, v177, v174
	v_mul_f32_e32 v174, v174, v176
	v_pk_add_f32 v[134:135], v[134:135], v[198:199]
	s_waitcnt lgkmcnt(0)
	v_mul_f32_e32 v147, v147, v171
	ds_bpermute_b32 v171, v0, v157 offset:48
	v_pk_add_f32 v[134:135], v[134:135], v[146:147]
	ds_bpermute_b32 v146, v0, v129 offset:88
	s_waitcnt lgkmcnt(1)
	v_mul_f32_e32 v151, v151, v171
	ds_bpermute_b32 v171, v0, v157 offset:52
	s_waitcnt lgkmcnt(1)
	v_sub_f32_e32 v137, v137, v146
	ds_bpermute_b32 v146, v0, v129 offset:92
	v_mul_f32_e32 v137, v137, v136
	v_pk_add_f32 v[134:135], v[134:135], v[150:151]
	s_waitcnt lgkmcnt(1)
	v_mul_f32_e32 v155, v155, v171
	ds_bpermute_b32 v171, v0, v157 offset:56
	s_waitcnt lgkmcnt(1)
	v_sub_f32_e32 v139, v139, v146
	ds_bpermute_b32 v146, v0, v129 offset:96
	v_mul_f32_e32 v139, v139, v138
	v_pk_add_f32 v[134:135], v[134:135], v[154:155]
	;; [unrolled: 8-line block ×5, first 2 shown]
	s_waitcnt lgkmcnt(1)
	v_mul_f32_e32 v169, v169, v171
	ds_bpermute_b32 v171, v0, v157 offset:72
	s_waitcnt lgkmcnt(1)
	v_sub_f32_e32 v146, v149, v146
	v_mul_f32_e32 v146, v146, v148
	v_pk_add_f32 v[134:135], v[134:135], v[168:169]
	s_waitcnt lgkmcnt(0)
	v_mul_f32_e32 v171, v131, v171
	ds_bpermute_b32 v131, v0, v157 offset:76
	v_pk_add_f32 v[134:135], v[134:135], v[170:171]
	s_waitcnt lgkmcnt(0)
	v_mul_f32_e32 v173, v173, v131
	ds_bpermute_b32 v131, v0, v157 offset:80
	;; [unrolled: 4-line block ×3, first 2 shown]
	ds_bpermute_b32 v131, v0, v157 offset:84
	v_pk_add_f32 v[134:135], v[134:135], v[176:177]
	s_waitcnt lgkmcnt(1)
	v_sub_f32_e32 v174, v183, v174
	v_mul_f32_e32 v174, v174, v182
	s_waitcnt lgkmcnt(0)
	v_mul_f32_e32 v183, v174, v131
	ds_bpermute_b32 v131, v0, v157 offset:88
	v_pk_add_f32 v[134:135], v[134:135], v[182:183]
	s_waitcnt lgkmcnt(0)
	v_mul_f32_e32 v137, v137, v131
	ds_bpermute_b32 v131, v0, v157 offset:92
	v_pk_add_f32 v[134:135], v[134:135], v[136:137]
	;; [unrolled: 4-line block ×6, first 2 shown]
	s_waitcnt lgkmcnt(0)
	v_mul_f32_e32 v149, v146, v131
	ds_bpermute_b32 v146, v0, v129 offset:112
	ds_bpermute_b32 v131, v0, v157 offset:112
	v_pk_add_f32 v[134:135], v[134:135], v[148:149]
	s_waitcnt lgkmcnt(1)
	v_sub_f32_e32 v146, v153, v146
	v_mul_f32_e32 v146, v146, v152
	s_waitcnt lgkmcnt(0)
	v_mul_f32_e32 v153, v146, v131
	ds_bpermute_b32 v146, v0, v129 offset:116
	ds_bpermute_b32 v131, v0, v157 offset:116
	v_pk_add_f32 v[134:135], v[134:135], v[152:153]
	s_waitcnt lgkmcnt(1)
	v_sub_f32_e32 v146, v159, v146
	v_mul_f32_e32 v146, v146, v158
	s_waitcnt lgkmcnt(0)
	v_mul_f32_e32 v159, v146, v131
	ds_bpermute_b32 v146, v0, v129 offset:120
	ds_bpermute_b32 v131, v0, v157 offset:120
	;; [unrolled: 1-line block ×3, first 2 shown]
	v_pk_add_f32 v[134:135], v[134:135], v[158:159]
	s_waitcnt lgkmcnt(2)
	v_sub_f32_e32 v146, v163, v146
	v_mul_f32_e32 v146, v146, v162
	s_waitcnt lgkmcnt(1)
	v_mul_f32_e32 v163, v146, v131
	ds_bpermute_b32 v131, v0, v157 offset:124
	s_waitcnt lgkmcnt(1)
	v_sub_f32_e32 v129, v200, v129
	v_mul_f32_e32 v129, v129, v156
	v_pk_add_f32 v[134:135], v[134:135], v[162:163]
	s_waitcnt lgkmcnt(0)
	v_mul_f32_e32 v157, v129, v131
	v_pk_add_f32 v[138:139], v[134:135], v[156:157]
.LBB84_150:                             ;   in Loop: Header=BB84_151 Depth=1
	v_add_co_u32_e32 v126, vcc, s2, v126
	v_mov_b32_e32 v129, s3
	v_addc_co_u32_e32 v253, vcc, v253, v129, vcc
	v_add_co_u32_e32 v2, vcc, s16, v2
	v_mov_b32_e32 v129, s17
	v_addc_co_u32_e32 v3, vcc, v3, v129, vcc
	v_add_co_u32_e32 v4, vcc, s16, v4
	v_addc_co_u32_e32 v5, vcc, v5, v129, vcc
	v_add_co_u32_e32 v6, vcc, s16, v6
	;; [unrolled: 2-line block ×63, first 2 shown]
	v_addc_co_u32_e32 v127, vcc, v127, v129, vcc
	v_accvgpr_read_b32 v134, a2
	v_add_co_u32_e32 v134, vcc, s16, v134
	v_accvgpr_read_b32 v131, a3
	v_accvgpr_write_b32 a2, v134
	v_addc_co_u32_e32 v131, vcc, v131, v129, vcc
	v_accvgpr_read_b32 v134, a4
	v_accvgpr_write_b32 a3, v131
	v_add_co_u32_e32 v134, vcc, s16, v134
	v_accvgpr_read_b32 v131, a5
	v_accvgpr_write_b32 a4, v134
	v_addc_co_u32_e32 v131, vcc, v131, v129, vcc
	v_accvgpr_read_b32 v134, a6
	v_accvgpr_write_b32 a5, v131
	;; [unrolled: 6-line block ×38, first 2 shown]
	v_add_co_u32_e32 v134, vcc, s16, v134
	v_accvgpr_read_b32 v131, a79
	v_accvgpr_write_b32 a78, v134
	v_addc_co_u32_e32 v131, vcc, v131, v129, vcc
	v_accvgpr_read_b32 v134, a80
	v_add_co_u32_e32 v134, vcc, s16, v134
	v_accvgpr_write_b32 a80, v134
	v_addc_co_u32_e32 v207, vcc, v207, v129, vcc
	v_accvgpr_read_b32 v134, a82
	v_accvgpr_write_b32 a79, v131
	v_add_co_u32_e32 v134, vcc, s16, v134
	v_accvgpr_read_b32 v131, a81
	v_addc_co_u32_e32 v131, vcc, v131, v129, vcc
	v_accvgpr_write_b32 a81, v131
	v_add_co_u32_e32 v214, vcc, s16, v214
	v_accvgpr_read_b32 v131, a83
	v_addc_co_u32_e32 v131, vcc, v131, v129, vcc
	;; [unrolled: 4-line block ×3, first 2 shown]
	v_add_co_u32_e32 v218, vcc, s16, v218
	v_addc_co_u32_e32 v215, vcc, v215, v129, vcc
	v_add_co_u32_e32 v220, vcc, s16, v220
	v_addc_co_u32_e32 v217, vcc, v217, v129, vcc
	;; [unrolled: 2-line block ×18, first 2 shown]
	s_add_u32 s26, s26, s2
	v_add_co_u32_e32 v254, vcc, s16, v254
	s_addc_u32 s27, s27, 0
	v_accvgpr_write_b32 a82, v134
	v_addc_co_u32_e32 v251, vcc, v251, v129, vcc
	v_pk_mov_b32 v[134:135], s[12:13], s[12:13] op_sel:[0,1]
	s_add_u32 s18, s18, s2
	v_cmp_ge_i64_e32 vcc, s[26:27], v[134:135]
	v_accvgpr_write_b32 a85, v131
	s_addc_u32 s19, s19, 0
	v_mov_b32_e32 v134, v138
	v_mov_b32_e32 v135, v139
	s_cbranch_vccnz .LBB84_225
.LBB84_151:                             ; =>This Inner Loop Header: Depth=1
	s_add_u32 s0, s24, s18
	s_addc_u32 s1, 0, s19
	v_pk_mov_b32 v[136:137], s[12:13], s[12:13] op_sel:[0,1]
	v_cmp_ge_i64_e32 vcc, s[0:1], v[136:137]
	v_mov_b32_e32 v129, s25
	v_add_co_u32_e64 v136, s[0:1], s24, v126
	v_addc_co_u32_e64 v137, s[0:1], v129, v253, s[0:1]
	s_cbranch_vccz .LBB84_221
; %bb.152:                              ;   in Loop: Header=BB84_151 Depth=1
	s_load_dword s0, s[10:11], 0xc
	v_accvgpr_read_b32 v131, a1
	v_accvgpr_read_b32 v139, a84
	v_mov_b32_e32 v138, 0
	v_mov_b32_e32 v129, 0
	s_waitcnt lgkmcnt(0)
	s_and_b32 s0, s0, 0xffff
	v_mad_u32_u24 v131, v131, s0, v139
	v_and_b32_e32 v131, 63, v131
	v_cmp_gt_u32_e32 vcc, 32, v131
	v_mov_b32_e32 v201, 0
	s_and_saveexec_b64 s[0:1], vcc
	s_cbranch_execz .LBB84_156
; %bb.153:                              ;   in Loop: Header=BB84_151 Depth=1
	v_add_co_u32_e32 v140, vcc, v136, v131
	v_addc_co_u32_e32 v141, vcc, 0, v137, vcc
	v_cmp_gt_i64_e32 vcc, s[12:13], v[140:141]
	v_mov_b32_e32 v201, 0
	v_mov_b32_e32 v129, 0
	s_and_saveexec_b64 s[28:29], vcc
	s_cbranch_execz .LBB84_155
; %bb.154:                              ;   in Loop: Header=BB84_151 Depth=1
	v_lshlrev_b64 v[140:141], 2, v[140:141]
	v_mov_b32_e32 v129, s23
	v_add_co_u32_e32 v142, vcc, s22, v140
	v_addc_co_u32_e32 v143, vcc, v129, v141, vcc
	v_mov_b32_e32 v129, s21
	v_add_co_u32_e32 v140, vcc, s20, v140
	v_addc_co_u32_e32 v141, vcc, v129, v141, vcc
	global_load_dword v201, v[140:141], off
	global_load_dword v129, v[142:143], off
.LBB84_155:                             ;   in Loop: Header=BB84_151 Depth=1
	s_or_b64 exec, exec, s[28:29]
.LBB84_156:                             ;   in Loop: Header=BB84_151 Depth=1
	s_or_b64 exec, exec, s[0:1]
	v_cmp_gt_i64_e32 vcc, s[12:13], v[136:137]
	v_mov_b32_e32 v139, 0
	s_and_saveexec_b64 s[0:1], vcc
	s_cbranch_execz .LBB84_158
; %bb.157:                              ;   in Loop: Header=BB84_151 Depth=1
	v_add_co_u32_e32 v138, vcc, v128, v132
	v_addc_co_u32_e32 v139, vcc, v1, v133, vcc
	global_load_ushort v131, v[138:139], off
	v_add_co_u32_e32 v138, vcc, v130, v132
	v_addc_co_u32_e32 v139, vcc, v127, v133, vcc
	global_load_ushort v139, v[138:139], off
	s_waitcnt vmcnt(1)
	v_cvt_f32_f16_e32 v138, v131
	s_waitcnt vmcnt(0)
	v_cvt_f32_f16_e32 v139, v139
.LBB84_158:                             ;   in Loop: Header=BB84_151 Depth=1
	s_or_b64 exec, exec, s[0:1]
	v_add_co_u32_e32 v140, vcc, 1, v136
	v_addc_co_u32_e32 v141, vcc, 0, v137, vcc
	v_cmp_gt_i64_e32 vcc, s[12:13], v[140:141]
	v_mov_b32_e32 v140, 0
	v_mov_b32_e32 v142, 0
	v_mov_b32_e32 v143, 0
	s_and_saveexec_b64 s[0:1], vcc
	s_cbranch_execz .LBB84_160
; %bb.159:                              ;   in Loop: Header=BB84_151 Depth=1
	v_add_co_u32_e32 v142, vcc, v252, v132
	v_addc_co_u32_e32 v143, vcc, v249, v133, vcc
	global_load_ushort v131, v[142:143], off
	v_add_co_u32_e32 v142, vcc, v254, v132
	v_addc_co_u32_e32 v143, vcc, v251, v133, vcc
	global_load_ushort v141, v[142:143], off
	s_waitcnt vmcnt(1)
	v_cvt_f32_f16_e32 v142, v131
	s_waitcnt vmcnt(0)
	v_cvt_f32_f16_e32 v143, v141
.LBB84_160:                             ;   in Loop: Header=BB84_151 Depth=1
	s_or_b64 exec, exec, s[0:1]
	v_add_co_u32_e32 v144, vcc, 2, v136
	v_addc_co_u32_e32 v145, vcc, 0, v137, vcc
	v_cmp_gt_i64_e32 vcc, s[12:13], v[144:145]
	v_mov_b32_e32 v141, 0
	s_and_saveexec_b64 s[0:1], vcc
	s_cbranch_execz .LBB84_162
; %bb.161:                              ;   in Loop: Header=BB84_151 Depth=1
	v_add_co_u32_e32 v140, vcc, v248, v132
	v_addc_co_u32_e32 v141, vcc, v245, v133, vcc
	global_load_ushort v131, v[140:141], off
	v_add_co_u32_e32 v140, vcc, v250, v132
	v_addc_co_u32_e32 v141, vcc, v247, v133, vcc
	global_load_ushort v141, v[140:141], off
	s_waitcnt vmcnt(1)
	v_cvt_f32_f16_e32 v140, v131
	s_waitcnt vmcnt(0)
	v_cvt_f32_f16_e32 v141, v141
.LBB84_162:                             ;   in Loop: Header=BB84_151 Depth=1
	s_or_b64 exec, exec, s[0:1]
	v_add_co_u32_e32 v144, vcc, 3, v136
	v_addc_co_u32_e32 v145, vcc, 0, v137, vcc
	v_cmp_gt_i64_e32 vcc, s[12:13], v[144:145]
	v_mov_b32_e32 v148, 0
	v_mov_b32_e32 v150, 0
	v_mov_b32_e32 v147, 0
	s_and_saveexec_b64 s[0:1], vcc
	s_cbranch_execz .LBB84_164
; %bb.163:                              ;   in Loop: Header=BB84_151 Depth=1
	v_add_co_u32_e32 v144, vcc, v244, v132
	v_addc_co_u32_e32 v145, vcc, v241, v133, vcc
	global_load_ushort v131, v[144:145], off
	v_add_co_u32_e32 v144, vcc, v246, v132
	v_addc_co_u32_e32 v145, vcc, v243, v133, vcc
	global_load_ushort v144, v[144:145], off
	s_waitcnt vmcnt(1)
	v_cvt_f32_f16_e32 v150, v131
	s_waitcnt vmcnt(0)
	v_cvt_f32_f16_e32 v147, v144
.LBB84_164:                             ;   in Loop: Header=BB84_151 Depth=1
	s_or_b64 exec, exec, s[0:1]
	v_add_co_u32_e32 v144, vcc, 4, v136
	v_addc_co_u32_e32 v145, vcc, 0, v137, vcc
	;; [unrolled: 40-line block ×5, first 2 shown]
	v_cmp_gt_i64_e32 vcc, s[12:13], v[152:153]
	v_mov_b32_e32 v177, 0
	s_and_saveexec_b64 s[0:1], vcc
	s_cbranch_execz .LBB84_178
; %bb.177:                              ;   in Loop: Header=BB84_151 Depth=1
	v_add_co_u32_e32 v152, vcc, v216, v132
	v_accvgpr_read_b32 v131, a85
	v_addc_co_u32_e32 v153, vcc, v131, v133, vcc
	global_load_ushort v131, v[152:153], off
	v_add_co_u32_e32 v152, vcc, v218, v132
	v_addc_co_u32_e32 v153, vcc, v215, v133, vcc
	global_load_ushort v144, v[152:153], off
	s_waitcnt vmcnt(1)
	v_cvt_f32_f16_e32 v182, v131
	s_waitcnt vmcnt(0)
	v_cvt_f32_f16_e32 v177, v144
.LBB84_178:                             ;   in Loop: Header=BB84_151 Depth=1
	s_or_b64 exec, exec, s[0:1]
	v_add_co_u32_e32 v152, vcc, 11, v136
	v_addc_co_u32_e32 v153, vcc, 0, v137, vcc
	v_cmp_gt_i64_e32 vcc, s[12:13], v[152:153]
	v_mov_b32_e32 v144, 0
	v_mov_b32_e32 v146, 0
	;; [unrolled: 1-line block ×3, first 2 shown]
	s_and_saveexec_b64 s[0:1], vcc
	s_cbranch_execz .LBB84_180
; %bb.179:                              ;   in Loop: Header=BB84_151 Depth=1
	v_accvgpr_read_b32 v146, a82
	v_add_co_u32_e32 v152, vcc, v146, v132
	v_accvgpr_read_b32 v131, a81
	v_addc_co_u32_e32 v153, vcc, v131, v133, vcc
	global_load_ushort v131, v[152:153], off
	v_add_co_u32_e32 v152, vcc, v214, v132
	v_accvgpr_read_b32 v149, a83
	v_addc_co_u32_e32 v153, vcc, v149, v133, vcc
	global_load_ushort v149, v[152:153], off
	s_waitcnt vmcnt(1)
	v_cvt_f32_f16_e32 v146, v131
	s_waitcnt vmcnt(0)
	v_cvt_f32_f16_e32 v153, v149
.LBB84_180:                             ;   in Loop: Header=BB84_151 Depth=1
	s_or_b64 exec, exec, s[0:1]
	v_add_co_u32_e32 v162, vcc, 12, v136
	v_addc_co_u32_e32 v163, vcc, 0, v137, vcc
	v_cmp_gt_i64_e32 vcc, s[12:13], v[162:163]
	v_mov_b32_e32 v167, 0
	s_and_saveexec_b64 s[0:1], vcc
	s_cbranch_execz .LBB84_182
; %bb.181:                              ;   in Loop: Header=BB84_151 Depth=1
	v_accvgpr_read_b32 v144, a78
	v_add_co_u32_e32 v162, vcc, v144, v132
	v_accvgpr_read_b32 v131, a79
	v_addc_co_u32_e32 v163, vcc, v131, v133, vcc
	v_accvgpr_read_b32 v144, a80
	global_load_ushort v131, v[162:163], off
	v_add_co_u32_e32 v162, vcc, v144, v132
	v_addc_co_u32_e32 v163, vcc, v207, v133, vcc
	global_load_ushort v149, v[162:163], off
	s_waitcnt vmcnt(1)
	v_cvt_f32_f16_e32 v144, v131
	s_waitcnt vmcnt(0)
	v_cvt_f32_f16_e32 v167, v149
.LBB84_182:                             ;   in Loop: Header=BB84_151 Depth=1
	s_or_b64 exec, exec, s[0:1]
	v_add_co_u32_e32 v162, vcc, 13, v136
	v_addc_co_u32_e32 v163, vcc, 0, v137, vcc
	v_cmp_gt_i64_e32 vcc, s[12:13], v[162:163]
	v_mov_b32_e32 v154, 0
	v_mov_b32_e32 v156, 0
	v_mov_b32_e32 v163, 0
	s_and_saveexec_b64 s[0:1], vcc
	s_cbranch_execz .LBB84_184
; %bb.183:                              ;   in Loop: Header=BB84_151 Depth=1
	v_accvgpr_read_b32 v152, a74
	v_add_co_u32_e32 v162, vcc, v152, v132
	v_accvgpr_read_b32 v131, a75
	v_addc_co_u32_e32 v163, vcc, v131, v133, vcc
	v_accvgpr_read_b32 v152, a76
	global_load_ushort v131, v[162:163], off
	v_add_co_u32_e32 v162, vcc, v152, v132
	v_accvgpr_read_b32 v149, a77
	v_addc_co_u32_e32 v163, vcc, v149, v133, vcc
	global_load_ushort v149, v[162:163], off
	s_waitcnt vmcnt(1)
	v_cvt_f32_f16_e32 v156, v131
	s_waitcnt vmcnt(0)
	v_cvt_f32_f16_e32 v163, v149
.LBB84_184:                             ;   in Loop: Header=BB84_151 Depth=1
	s_or_b64 exec, exec, s[0:1]
	v_add_co_u32_e32 v174, vcc, 14, v136
	v_addc_co_u32_e32 v175, vcc, 0, v137, vcc
	v_cmp_gt_i64_e32 vcc, s[12:13], v[174:175]
	v_mov_b32_e32 v179, 0
	s_and_saveexec_b64 s[0:1], vcc
	s_cbranch_execz .LBB84_186
; %bb.185:                              ;   in Loop: Header=BB84_151 Depth=1
	v_accvgpr_read_b32 v152, a70
	v_add_co_u32_e32 v174, vcc, v152, v132
	v_accvgpr_read_b32 v131, a71
	v_addc_co_u32_e32 v175, vcc, v131, v133, vcc
	v_accvgpr_read_b32 v152, a72
	global_load_ushort v131, v[174:175], off
	v_add_co_u32_e32 v174, vcc, v152, v132
	v_accvgpr_read_b32 v149, a73
	v_addc_co_u32_e32 v175, vcc, v149, v133, vcc
	global_load_ushort v149, v[174:175], off
	s_waitcnt vmcnt(1)
	v_cvt_f32_f16_e32 v154, v131
	s_waitcnt vmcnt(0)
	v_cvt_f32_f16_e32 v179, v149
.LBB84_186:                             ;   in Loop: Header=BB84_151 Depth=1
	s_or_b64 exec, exec, s[0:1]
	v_add_co_u32_e32 v174, vcc, 15, v136
	v_addc_co_u32_e32 v175, vcc, 0, v137, vcc
	v_cmp_gt_i64_e32 vcc, s[12:13], v[174:175]
	v_mov_b32_e32 v164, 0
	v_mov_b32_e32 v168, 0
	v_mov_b32_e32 v175, 0
	s_and_saveexec_b64 s[0:1], vcc
	s_cbranch_execz .LBB84_188
; %bb.187:                              ;   in Loop: Header=BB84_151 Depth=1
	v_accvgpr_read_b32 v152, a66
	v_add_co_u32_e32 v174, vcc, v152, v132
	v_accvgpr_read_b32 v131, a67
	v_addc_co_u32_e32 v175, vcc, v131, v133, vcc
	v_accvgpr_read_b32 v152, a68
	global_load_ushort v131, v[174:175], off
	v_add_co_u32_e32 v174, vcc, v152, v132
	v_accvgpr_read_b32 v149, a69
	v_addc_co_u32_e32 v175, vcc, v149, v133, vcc
	global_load_ushort v149, v[174:175], off
	s_waitcnt vmcnt(1)
	v_cvt_f32_f16_e32 v168, v131
	s_waitcnt vmcnt(0)
	v_cvt_f32_f16_e32 v175, v149
.LBB84_188:                             ;   in Loop: Header=BB84_151 Depth=1
	s_or_b64 exec, exec, s[0:1]
	v_add_co_u32_e32 v184, vcc, 16, v136
	v_addc_co_u32_e32 v185, vcc, 0, v137, vcc
	v_cmp_gt_i64_e32 vcc, s[12:13], v[184:185]
	v_mov_b32_e32 v191, 0
	s_and_saveexec_b64 s[0:1], vcc
	s_cbranch_execz .LBB84_190
; %bb.189:                              ;   in Loop: Header=BB84_151 Depth=1
	v_accvgpr_read_b32 v152, a62
	v_add_co_u32_e32 v184, vcc, v152, v132
	v_accvgpr_read_b32 v131, a63
	v_addc_co_u32_e32 v185, vcc, v131, v133, vcc
	v_accvgpr_read_b32 v152, a64
	global_load_ushort v131, v[184:185], off
	v_add_co_u32_e32 v184, vcc, v152, v132
	v_accvgpr_read_b32 v149, a65
	v_addc_co_u32_e32 v185, vcc, v149, v133, vcc
	global_load_ushort v149, v[184:185], off
	s_waitcnt vmcnt(1)
	v_cvt_f32_f16_e32 v164, v131
	s_waitcnt vmcnt(0)
	v_cvt_f32_f16_e32 v191, v149
.LBB84_190:                             ;   in Loop: Header=BB84_151 Depth=1
	s_or_b64 exec, exec, s[0:1]
	v_add_co_u32_e32 v184, vcc, 17, v136
	v_addc_co_u32_e32 v185, vcc, 0, v137, vcc
	v_cmp_gt_i64_e32 vcc, s[12:13], v[184:185]
	v_mov_b32_e32 v176, 0
	v_mov_b32_e32 v180, 0
	v_mov_b32_e32 v189, 0
	s_and_saveexec_b64 s[0:1], vcc
	s_cbranch_execz .LBB84_192
; %bb.191:                              ;   in Loop: Header=BB84_151 Depth=1
	v_accvgpr_read_b32 v152, a58
	v_add_co_u32_e32 v184, vcc, v152, v132
	v_accvgpr_read_b32 v131, a59
	v_addc_co_u32_e32 v185, vcc, v131, v133, vcc
	v_accvgpr_read_b32 v152, a60
	global_load_ushort v131, v[184:185], off
	v_add_co_u32_e32 v184, vcc, v152, v132
	v_accvgpr_read_b32 v149, a61
	v_addc_co_u32_e32 v185, vcc, v149, v133, vcc
	global_load_ushort v149, v[184:185], off
	s_waitcnt vmcnt(1)
	v_cvt_f32_f16_e32 v180, v131
	s_waitcnt vmcnt(0)
	v_cvt_f32_f16_e32 v189, v149
.LBB84_192:                             ;   in Loop: Header=BB84_151 Depth=1
	s_or_b64 exec, exec, s[0:1]
	v_add_co_u32_e32 v184, vcc, 18, v136
	v_addc_co_u32_e32 v185, vcc, 0, v137, vcc
	v_cmp_gt_i64_e32 vcc, s[12:13], v[184:185]
	v_mov_b32_e32 v199, 0
	s_and_saveexec_b64 s[0:1], vcc
	s_cbranch_execz .LBB84_194
; %bb.193:                              ;   in Loop: Header=BB84_151 Depth=1
	v_accvgpr_read_b32 v152, a54
	v_add_co_u32_e32 v184, vcc, v152, v132
	v_accvgpr_read_b32 v131, a55
	v_addc_co_u32_e32 v185, vcc, v131, v133, vcc
	v_accvgpr_read_b32 v152, a56
	global_load_ushort v131, v[184:185], off
	v_add_co_u32_e32 v184, vcc, v152, v132
	v_accvgpr_read_b32 v149, a57
	v_addc_co_u32_e32 v185, vcc, v149, v133, vcc
	global_load_ushort v149, v[184:185], off
	s_waitcnt vmcnt(1)
	v_cvt_f32_f16_e32 v176, v131
	s_waitcnt vmcnt(0)
	v_cvt_f32_f16_e32 v199, v149
.LBB84_194:                             ;   in Loop: Header=BB84_151 Depth=1
	s_or_b64 exec, exec, s[0:1]
	v_add_co_u32_e32 v184, vcc, 19, v136
	v_addc_co_u32_e32 v185, vcc, 0, v137, vcc
	v_cmp_gt_i64_e32 vcc, s[12:13], v[184:185]
	v_mov_b32_e32 v190, 0
	v_mov_b32_e32 v192, 0
	v_mov_b32_e32 v193, 0
	s_and_saveexec_b64 s[0:1], vcc
	s_cbranch_execz .LBB84_196
; %bb.195:                              ;   in Loop: Header=BB84_151 Depth=1
	v_accvgpr_read_b32 v152, a50
	v_add_co_u32_e32 v184, vcc, v152, v132
	v_accvgpr_read_b32 v131, a51
	v_addc_co_u32_e32 v185, vcc, v131, v133, vcc
	v_accvgpr_read_b32 v152, a52
	global_load_ushort v131, v[184:185], off
	v_add_co_u32_e32 v184, vcc, v152, v132
	v_accvgpr_read_b32 v149, a53
	v_addc_co_u32_e32 v185, vcc, v149, v133, vcc
	global_load_ushort v149, v[184:185], off
	s_waitcnt vmcnt(1)
	v_cvt_f32_f16_e32 v192, v131
	s_waitcnt vmcnt(0)
	v_cvt_f32_f16_e32 v193, v149
.LBB84_196:                             ;   in Loop: Header=BB84_151 Depth=1
	s_or_b64 exec, exec, s[0:1]
	v_add_co_u32_e32 v184, vcc, 20, v136
	v_addc_co_u32_e32 v185, vcc, 0, v137, vcc
	v_cmp_gt_i64_e32 vcc, s[12:13], v[184:185]
	v_mov_b32_e32 v206, 0
	s_and_saveexec_b64 s[0:1], vcc
	s_cbranch_execz .LBB84_198
; %bb.197:                              ;   in Loop: Header=BB84_151 Depth=1
	v_accvgpr_read_b32 v152, a46
	v_add_co_u32_e32 v184, vcc, v152, v132
	v_accvgpr_read_b32 v131, a47
	v_addc_co_u32_e32 v185, vcc, v131, v133, vcc
	v_accvgpr_read_b32 v152, a48
	global_load_ushort v131, v[184:185], off
	v_add_co_u32_e32 v184, vcc, v152, v132
	v_accvgpr_read_b32 v149, a49
	v_addc_co_u32_e32 v185, vcc, v149, v133, vcc
	global_load_ushort v149, v[184:185], off
	s_waitcnt vmcnt(1)
	v_cvt_f32_f16_e32 v190, v131
	s_waitcnt vmcnt(0)
	v_cvt_f32_f16_e32 v206, v149
.LBB84_198:                             ;   in Loop: Header=BB84_151 Depth=1
	s_or_b64 exec, exec, s[0:1]
	v_add_co_u32_e32 v184, vcc, 21, v136
	v_addc_co_u32_e32 v185, vcc, 0, v137, vcc
	v_cmp_gt_i64_e32 vcc, s[12:13], v[184:185]
	v_mov_b32_e32 v152, 0
	v_mov_b32_e32 v198, 0
	v_mov_b32_e32 v202, 0
	s_and_saveexec_b64 s[0:1], vcc
	s_cbranch_execz .LBB84_200
; %bb.199:                              ;   in Loop: Header=BB84_151 Depth=1
	v_accvgpr_read_b32 v162, a42
	v_add_co_u32_e32 v184, vcc, v162, v132
	v_accvgpr_read_b32 v131, a43
	v_addc_co_u32_e32 v185, vcc, v131, v133, vcc
	v_accvgpr_read_b32 v162, a44
	global_load_ushort v131, v[184:185], off
	v_add_co_u32_e32 v184, vcc, v162, v132
	v_accvgpr_read_b32 v149, a45
	v_addc_co_u32_e32 v185, vcc, v149, v133, vcc
	global_load_ushort v149, v[184:185], off
	s_waitcnt vmcnt(1)
	v_cvt_f32_f16_e32 v198, v131
	s_waitcnt vmcnt(0)
	v_cvt_f32_f16_e32 v202, v149
.LBB84_200:                             ;   in Loop: Header=BB84_151 Depth=1
	s_or_b64 exec, exec, s[0:1]
	v_add_co_u32_e32 v184, vcc, 22, v136
	v_addc_co_u32_e32 v185, vcc, 0, v137, vcc
	v_cmp_gt_i64_e32 vcc, s[12:13], v[184:185]
	v_mov_b32_e32 v185, 0
	s_and_saveexec_b64 s[0:1], vcc
	s_cbranch_execz .LBB84_202
; %bb.201:                              ;   in Loop: Header=BB84_151 Depth=1
	v_accvgpr_read_b32 v152, a38
	v_add_co_u32_e32 v184, vcc, v152, v132
	v_accvgpr_read_b32 v131, a39
	v_addc_co_u32_e32 v185, vcc, v131, v133, vcc
	v_accvgpr_read_b32 v152, a40
	global_load_ushort v131, v[184:185], off
	v_add_co_u32_e32 v184, vcc, v152, v132
	v_accvgpr_read_b32 v149, a41
	v_addc_co_u32_e32 v185, vcc, v149, v133, vcc
	global_load_ushort v149, v[184:185], off
	s_waitcnt vmcnt(1)
	v_cvt_f32_f16_e32 v152, v131
	s_waitcnt vmcnt(0)
	v_cvt_f32_f16_e32 v185, v149
.LBB84_202:                             ;   in Loop: Header=BB84_151 Depth=1
	s_or_b64 exec, exec, s[0:1]
	v_add_co_u32_e32 v194, vcc, 23, v136
	v_addc_co_u32_e32 v195, vcc, 0, v137, vcc
	v_cmp_gt_i64_e32 vcc, s[12:13], v[194:195]
	v_mov_b32_e32 v162, 0
	v_mov_b32_e32 v166, 0
	v_mov_b32_e32 v197, 0
	s_and_saveexec_b64 s[0:1], vcc
	s_cbranch_execz .LBB84_204
; %bb.203:                              ;   in Loop: Header=BB84_151 Depth=1
	v_accvgpr_read_b32 v166, a34
	v_add_co_u32_e32 v194, vcc, v166, v132
	v_accvgpr_read_b32 v131, a35
	v_addc_co_u32_e32 v195, vcc, v131, v133, vcc
	v_accvgpr_read_b32 v166, a36
	global_load_ushort v131, v[194:195], off
	v_add_co_u32_e32 v194, vcc, v166, v132
	v_accvgpr_read_b32 v149, a37
	v_addc_co_u32_e32 v195, vcc, v149, v133, vcc
	global_load_ushort v149, v[194:195], off
	s_waitcnt vmcnt(1)
	v_cvt_f32_f16_e32 v166, v131
	s_waitcnt vmcnt(0)
	v_cvt_f32_f16_e32 v197, v149
.LBB84_204:                             ;   in Loop: Header=BB84_151 Depth=1
	s_or_b64 exec, exec, s[0:1]
	v_add_co_u32_e32 v194, vcc, 24, v136
	v_addc_co_u32_e32 v195, vcc, 0, v137, vcc
	v_cmp_gt_i64_e32 vcc, s[12:13], v[194:195]
	v_mov_b32_e32 v195, 0
	s_and_saveexec_b64 s[0:1], vcc
	s_cbranch_execz .LBB84_206
; %bb.205:                              ;   in Loop: Header=BB84_151 Depth=1
	v_accvgpr_read_b32 v162, a30
	v_add_co_u32_e32 v194, vcc, v162, v132
	v_accvgpr_read_b32 v131, a31
	v_addc_co_u32_e32 v195, vcc, v131, v133, vcc
	v_accvgpr_read_b32 v162, a32
	global_load_ushort v131, v[194:195], off
	v_add_co_u32_e32 v194, vcc, v162, v132
	v_accvgpr_read_b32 v149, a33
	v_addc_co_u32_e32 v195, vcc, v149, v133, vcc
	global_load_ushort v149, v[194:195], off
	s_waitcnt vmcnt(1)
	v_cvt_f32_f16_e32 v162, v131
	s_waitcnt vmcnt(0)
	v_cvt_f32_f16_e32 v195, v149
.LBB84_206:                             ;   in Loop: Header=BB84_151 Depth=1
	s_or_b64 exec, exec, s[0:1]
	v_add_co_u32_e32 v204, vcc, 25, v136
	v_addc_co_u32_e32 v205, vcc, 0, v137, vcc
	v_cmp_gt_i64_e32 vcc, s[12:13], v[204:205]
	v_mov_b32_e32 v174, 0
	v_mov_b32_e32 v178, 0
	v_mov_b32_e32 v204, 0
	s_and_saveexec_b64 s[0:1], vcc
	s_cbranch_execz .LBB84_208
; %bb.207:                              ;   in Loop: Header=BB84_151 Depth=1
	v_accvgpr_read_b32 v178, a26
	v_add_co_u32_e32 v204, vcc, v178, v132
	v_accvgpr_read_b32 v131, a27
	v_addc_co_u32_e32 v205, vcc, v131, v133, vcc
	v_accvgpr_read_b32 v178, a28
	global_load_ushort v131, v[204:205], off
	v_add_co_u32_e32 v204, vcc, v178, v132
	v_accvgpr_read_b32 v149, a29
	v_addc_co_u32_e32 v205, vcc, v149, v133, vcc
	global_load_ushort v149, v[204:205], off
	s_waitcnt vmcnt(1)
	v_cvt_f32_f16_e32 v178, v131
	s_waitcnt vmcnt(0)
	v_cvt_f32_f16_e32 v204, v149
.LBB84_208:                             ;   in Loop: Header=BB84_151 Depth=1
	s_or_b64 exec, exec, s[0:1]
	v_add_co_u32_e32 v208, vcc, 26, v136
	v_addc_co_u32_e32 v209, vcc, 0, v137, vcc
	v_cmp_gt_i64_e32 vcc, s[12:13], v[208:209]
	v_mov_b32_e32 v131, 0
	s_and_saveexec_b64 s[0:1], vcc
	s_cbranch_execz .LBB84_210
; %bb.209:                              ;   in Loop: Header=BB84_151 Depth=1
	v_accvgpr_read_b32 v174, a22
	v_add_co_u32_e32 v208, vcc, v174, v132
	v_accvgpr_read_b32 v131, a23
	v_addc_co_u32_e32 v209, vcc, v131, v133, vcc
	v_accvgpr_read_b32 v174, a24
	global_load_ushort v131, v[208:209], off
	v_add_co_u32_e32 v208, vcc, v174, v132
	v_accvgpr_read_b32 v149, a25
	v_addc_co_u32_e32 v209, vcc, v149, v133, vcc
	global_load_ushort v149, v[208:209], off
	s_waitcnt vmcnt(1)
	v_cvt_f32_f16_e32 v174, v131
	s_waitcnt vmcnt(0)
	v_cvt_f32_f16_e32 v131, v149
.LBB84_210:                             ;   in Loop: Header=BB84_151 Depth=1
	s_or_b64 exec, exec, s[0:1]
	v_add_co_u32_e32 v208, vcc, 27, v136
	v_addc_co_u32_e32 v209, vcc, 0, v137, vcc
	v_cmp_gt_i64_e32 vcc, s[12:13], v[208:209]
	v_mov_b32_e32 v184, 0
	v_mov_b32_e32 v188, 0
	v_mov_b32_e32 v208, 0
	s_and_saveexec_b64 s[0:1], vcc
	s_cbranch_execz .LBB84_212
; %bb.211:                              ;   in Loop: Header=BB84_151 Depth=1
	v_accvgpr_read_b32 v188, a18
	v_add_co_u32_e32 v208, vcc, v188, v132
	v_accvgpr_read_b32 v149, a19
	v_addc_co_u32_e32 v209, vcc, v149, v133, vcc
	v_accvgpr_read_b32 v188, a20
	global_load_ushort v149, v[208:209], off
	v_add_co_u32_e32 v208, vcc, v188, v132
	v_accvgpr_read_b32 v151, a21
	v_addc_co_u32_e32 v209, vcc, v151, v133, vcc
	global_load_ushort v151, v[208:209], off
	s_waitcnt vmcnt(1)
	v_cvt_f32_f16_e32 v188, v149
	s_waitcnt vmcnt(0)
	v_cvt_f32_f16_e32 v208, v151
.LBB84_212:                             ;   in Loop: Header=BB84_151 Depth=1
	s_or_b64 exec, exec, s[0:1]
	v_add_co_u32_e32 v210, vcc, 28, v136
	v_addc_co_u32_e32 v211, vcc, 0, v137, vcc
	v_cmp_gt_i64_e32 vcc, s[12:13], v[210:211]
	v_mov_b32_e32 v203, 0
	s_and_saveexec_b64 s[0:1], vcc
	s_cbranch_execz .LBB84_214
; %bb.213:                              ;   in Loop: Header=BB84_151 Depth=1
	v_accvgpr_read_b32 v184, a14
	v_add_co_u32_e32 v210, vcc, v184, v132
	v_accvgpr_read_b32 v149, a15
	v_addc_co_u32_e32 v211, vcc, v149, v133, vcc
	v_accvgpr_read_b32 v184, a16
	global_load_ushort v149, v[210:211], off
	v_add_co_u32_e32 v210, vcc, v184, v132
	v_accvgpr_read_b32 v151, a17
	v_addc_co_u32_e32 v211, vcc, v151, v133, vcc
	global_load_ushort v151, v[210:211], off
	s_waitcnt vmcnt(1)
	v_cvt_f32_f16_e32 v184, v149
	s_waitcnt vmcnt(0)
	v_cvt_f32_f16_e32 v203, v151
.LBB84_214:                             ;   in Loop: Header=BB84_151 Depth=1
	s_or_b64 exec, exec, s[0:1]
	v_add_co_u32_e32 v210, vcc, 29, v136
	v_addc_co_u32_e32 v211, vcc, 0, v137, vcc
	v_cmp_gt_i64_e32 vcc, s[12:13], v[210:211]
	v_mov_b32_e32 v194, 0
	v_mov_b32_e32 v196, 0
	v_mov_b32_e32 v210, 0
	s_and_saveexec_b64 s[0:1], vcc
	s_cbranch_execz .LBB84_216
; %bb.215:                              ;   in Loop: Header=BB84_151 Depth=1
	v_accvgpr_read_b32 v196, a10
	v_add_co_u32_e32 v210, vcc, v196, v132
	v_accvgpr_read_b32 v149, a11
	v_addc_co_u32_e32 v211, vcc, v149, v133, vcc
	v_accvgpr_read_b32 v196, a12
	global_load_ushort v149, v[210:211], off
	v_add_co_u32_e32 v210, vcc, v196, v132
	v_accvgpr_read_b32 v151, a13
	v_addc_co_u32_e32 v211, vcc, v151, v133, vcc
	global_load_ushort v151, v[210:211], off
	s_waitcnt vmcnt(1)
	v_cvt_f32_f16_e32 v196, v149
	s_waitcnt vmcnt(0)
	v_cvt_f32_f16_e32 v210, v151
.LBB84_216:                             ;   in Loop: Header=BB84_151 Depth=1
	s_or_b64 exec, exec, s[0:1]
	v_add_co_u32_e32 v212, vcc, 30, v136
	v_addc_co_u32_e32 v213, vcc, 0, v137, vcc
	v_cmp_gt_i64_e32 vcc, s[12:13], v[212:213]
	v_mov_b32_e32 v205, 0
	s_and_saveexec_b64 s[0:1], vcc
	s_cbranch_execz .LBB84_218
; %bb.217:                              ;   in Loop: Header=BB84_151 Depth=1
	v_accvgpr_read_b32 v194, a6
	v_add_co_u32_e32 v212, vcc, v194, v132
	v_accvgpr_read_b32 v149, a7
	v_addc_co_u32_e32 v213, vcc, v149, v133, vcc
	v_accvgpr_read_b32 v194, a8
	global_load_ushort v149, v[212:213], off
	v_add_co_u32_e32 v212, vcc, v194, v132
	v_accvgpr_read_b32 v151, a9
	v_addc_co_u32_e32 v213, vcc, v151, v133, vcc
	global_load_ushort v151, v[212:213], off
	s_waitcnt vmcnt(1)
	v_cvt_f32_f16_e32 v194, v149
	s_waitcnt vmcnt(0)
	v_cvt_f32_f16_e32 v205, v151
.LBB84_218:                             ;   in Loop: Header=BB84_151 Depth=1
	s_or_b64 exec, exec, s[0:1]
	v_add_co_u32_e32 v212, vcc, 31, v136
	v_addc_co_u32_e32 v213, vcc, 0, v137, vcc
	v_cmp_gt_i64_e32 vcc, s[12:13], v[212:213]
	v_mov_b32_e32 v200, 0
	v_mov_b32_e32 v255, 0
	s_and_saveexec_b64 s[0:1], vcc
	s_cbranch_execz .LBB84_220
; %bb.219:                              ;   in Loop: Header=BB84_151 Depth=1
	v_accvgpr_read_b32 v200, a2
	v_add_co_u32_e32 v212, vcc, v200, v132
	v_accvgpr_read_b32 v149, a3
	v_addc_co_u32_e32 v213, vcc, v149, v133, vcc
	v_accvgpr_read_b32 v200, a4
	global_load_ushort v149, v[212:213], off
	v_add_co_u32_e32 v212, vcc, v200, v132
	v_accvgpr_read_b32 v151, a5
	v_addc_co_u32_e32 v213, vcc, v151, v133, vcc
	global_load_ushort v151, v[212:213], off
	s_waitcnt vmcnt(1)
	v_cvt_f32_f16_e32 v200, v149
	s_waitcnt vmcnt(0)
	v_cvt_f32_f16_e32 v255, v151
.LBB84_220:                             ;   in Loop: Header=BB84_151 Depth=1
	s_or_b64 exec, exec, s[0:1]
	s_waitcnt vmcnt(1)
	ds_bpermute_b32 v151, v0, v201
	s_waitcnt vmcnt(0)
	ds_bpermute_b32 v149, v0, v129
	s_waitcnt lgkmcnt(1)
	v_sub_f32_e32 v139, v139, v151
	ds_bpermute_b32 v151, v0, v201 offset:4
	v_mul_f32_e32 v139, v138, v139
	s_waitcnt lgkmcnt(1)
	v_mul_f32_e32 v139, v139, v149
	ds_bpermute_b32 v149, v0, v129 offset:4
	v_pk_add_f32 v[138:139], v[134:135], v[138:139]
	s_waitcnt lgkmcnt(1)
	v_sub_f32_e32 v143, v143, v151
	ds_bpermute_b32 v151, v0, v201 offset:8
	v_mul_f32_e32 v143, v142, v143
	s_waitcnt lgkmcnt(1)
	v_mul_f32_e32 v143, v143, v149
	ds_bpermute_b32 v149, v0, v129 offset:8
	v_pk_add_f32 v[138:139], v[138:139], v[142:143]
	;; [unrolled: 8-line block ×3, first 2 shown]
	s_waitcnt lgkmcnt(1)
	v_sub_f32_e32 v147, v147, v151
	v_mul_f32_e32 v147, v150, v147
	ds_bpermute_b32 v141, v0, v201 offset:44
	s_waitcnt lgkmcnt(1)
	v_mul_f32_e32 v151, v147, v149
	ds_bpermute_b32 v149, v0, v201 offset:16
	ds_bpermute_b32 v147, v0, v129 offset:16
	;; [unrolled: 1-line block ×3, first 2 shown]
	s_waitcnt lgkmcnt(3)
	v_sub_f32_e32 v141, v153, v141
	v_mul_f32_e32 v141, v146, v141
	s_waitcnt lgkmcnt(2)
	v_sub_f32_e32 v145, v145, v149
	v_mul_f32_e32 v145, v148, v145
	s_waitcnt lgkmcnt(1)
	v_mul_f32_e32 v149, v145, v147
	ds_bpermute_b32 v147, v0, v201 offset:20
	ds_bpermute_b32 v145, v0, v129 offset:20
	v_pk_add_f32 v[138:139], v[138:139], v[150:151]
	v_pk_add_f32 v[138:139], v[138:139], v[148:149]
	s_waitcnt lgkmcnt(1)
	v_sub_f32_e32 v147, v157, v147
	v_mul_f32_e32 v147, v160, v147
	s_waitcnt lgkmcnt(0)
	v_mul_f32_e32 v161, v147, v145
	ds_bpermute_b32 v147, v0, v201 offset:24
	ds_bpermute_b32 v145, v0, v129 offset:24
	v_pk_add_f32 v[138:139], v[138:139], v[160:161]
	s_waitcnt lgkmcnt(1)
	v_sub_f32_e32 v147, v155, v147
	v_mul_f32_e32 v147, v158, v147
	s_waitcnt lgkmcnt(0)
	v_mul_f32_e32 v159, v147, v145
	ds_bpermute_b32 v147, v0, v201 offset:28
	ds_bpermute_b32 v145, v0, v129 offset:28
	;; [unrolled: 8-line block ×5, first 2 shown]
	v_pk_add_f32 v[138:139], v[138:139], v[186:187]
	s_waitcnt lgkmcnt(1)
	v_sub_f32_e32 v147, v177, v147
	v_mul_f32_e32 v147, v182, v147
	s_waitcnt lgkmcnt(0)
	v_mul_f32_e32 v183, v147, v145
	v_mul_f32_e32 v147, v141, v140
	ds_bpermute_b32 v141, v0, v201 offset:48
	ds_bpermute_b32 v140, v0, v129 offset:48
	v_pk_add_f32 v[138:139], v[138:139], v[182:183]
	v_pk_add_f32 v[138:139], v[138:139], v[146:147]
	s_waitcnt lgkmcnt(1)
	v_sub_f32_e32 v141, v167, v141
	v_mul_f32_e32 v141, v144, v141
	s_waitcnt lgkmcnt(0)
	v_mul_f32_e32 v145, v141, v140
	ds_bpermute_b32 v141, v0, v201 offset:52
	ds_bpermute_b32 v140, v0, v129 offset:52
	v_pk_add_f32 v[138:139], v[138:139], v[144:145]
	s_waitcnt lgkmcnt(1)
	v_sub_f32_e32 v141, v163, v141
	v_mul_f32_e32 v141, v156, v141
	s_waitcnt lgkmcnt(0)
	v_mul_f32_e32 v157, v141, v140
	ds_bpermute_b32 v141, v0, v201 offset:56
	ds_bpermute_b32 v140, v0, v129 offset:56
	;; [unrolled: 8-line block ×18, first 2 shown]
	ds_bpermute_b32 v129, v0, v129 offset:124
	v_pk_add_f32 v[138:139], v[138:139], v[196:197]
	s_waitcnt lgkmcnt(2)
	v_sub_f32_e32 v140, v205, v140
	v_mul_f32_e32 v140, v194, v140
	s_waitcnt lgkmcnt(1)
	v_mul_f32_e32 v195, v140, v131
	ds_bpermute_b32 v131, v0, v201 offset:124
	v_pk_add_f32 v[138:139], v[138:139], v[194:195]
	s_waitcnt lgkmcnt(0)
	v_sub_f32_e32 v131, v255, v131
	v_mul_f32_e32 v131, v200, v131
	v_mul_f32_e32 v201, v131, v129
	v_pk_add_f32 v[138:139], v[138:139], v[200:201]
	s_branch .LBB84_150
.LBB84_221:                             ;   in Loop: Header=BB84_151 Depth=1
                                        ; implicit-def: $vgpr138_vgpr139
	s_cbranch_execz .LBB84_150
; %bb.222:                              ;   in Loop: Header=BB84_151 Depth=1
	s_load_dword s0, s[10:11], 0x0
	v_accvgpr_read_b32 v129, a87
	v_accvgpr_read_b32 v131, a1
	;; [unrolled: 1-line block ×3, first 2 shown]
	v_mov_b32_e32 v157, 0
	s_waitcnt lgkmcnt(0)
	s_cmp_lt_u32 s6, s0
	s_cselect_b32 s0, 12, 18
	s_add_u32 s0, s10, s0
	s_addc_u32 s1, s11, 0
	global_load_ushort v129, v129, s[0:1]
	s_waitcnt vmcnt(0)
	v_mad_u32_u24 v129, v131, v129, v138
	v_and_b32_e32 v131, 63, v129
	v_cmp_gt_u32_e32 vcc, 32, v131
	v_mov_b32_e32 v129, 0
	s_and_saveexec_b64 s[0:1], vcc
	s_cbranch_execz .LBB84_149
; %bb.223:                              ;   in Loop: Header=BB84_151 Depth=1
	v_add_co_u32_e32 v136, vcc, v136, v131
	v_addc_co_u32_e32 v137, vcc, 0, v137, vcc
	v_cmp_gt_i64_e32 vcc, s[12:13], v[136:137]
	v_mov_b32_e32 v129, 0
	v_mov_b32_e32 v157, 0
	s_and_saveexec_b64 s[28:29], vcc
	s_cbranch_execz .LBB84_148
; %bb.224:                              ;   in Loop: Header=BB84_151 Depth=1
	v_lshlrev_b64 v[136:137], 2, v[136:137]
	v_mov_b32_e32 v129, s23
	v_add_co_u32_e32 v138, vcc, s22, v136
	v_addc_co_u32_e32 v139, vcc, v129, v137, vcc
	v_mov_b32_e32 v129, s21
	v_add_co_u32_e32 v136, vcc, s20, v136
	v_addc_co_u32_e32 v137, vcc, v129, v137, vcc
	global_load_dword v129, v[136:137], off
	global_load_dword v157, v[138:139], off
	s_branch .LBB84_148
.LBB84_225:
	v_accvgpr_read_b32 v211, a0
.LBB84_226:
	s_mov_b32 s7, 0
	s_lshl_b64 s[0:1], s[6:7], 5
	v_and_b32_e32 v0, 0x3ff, v211
	v_or_b32_e32 v4, s0, v0
	v_mov_b32_e32 v5, s1
	v_cmp_gt_i64_e32 vcc, s[14:15], v[4:5]
	s_and_saveexec_b64 s[0:1], vcc
	s_cbranch_execz .LBB84_231
; %bb.227:
	s_load_dword s6, s[4:5], 0x4c
	s_load_dwordx4 s[0:3], s[4:5], 0x30
	v_bfe_u32 v0, v211, 10, 10
	v_mov_b32_e32 v1, 0
	v_mov_b32_e32 v2, s8
	s_waitcnt lgkmcnt(0)
	s_lshr_b32 s4, s6, 16
	v_mad_u64_u32 v[2:3], s[4:5], s4, v2, v[0:1]
	s_cmp_eq_u64 s[0:1], 0
	v_mul_lo_u32 v3, v3, s14
	v_mul_lo_u32 v6, v2, s15
	v_lshlrev_b64 v[0:1], 1, v[4:5]
	s_cbranch_scc1 .LBB84_229
; %bb.228:
	v_mad_u64_u32 v[4:5], s[4:5], v2, s14, 0
	v_add3_u32 v5, v5, v6, v3
	v_lshlrev_b64 v[4:5], 1, v[4:5]
	v_cvt_f16_f32_e32 v7, v139
	v_mov_b32_e32 v8, s1
	v_add_co_u32_e32 v4, vcc, s0, v4
	v_addc_co_u32_e32 v5, vcc, v8, v5, vcc
	v_add_co_u32_e32 v4, vcc, v4, v0
	v_addc_co_u32_e32 v5, vcc, v5, v1, vcc
	global_store_short v[4:5], v7, off
.LBB84_229:
	s_cmp_eq_u64 s[2:3], 0
	s_cbranch_scc1 .LBB84_231
; %bb.230:
	v_mad_u64_u32 v[4:5], s[0:1], v2, s14, 0
	v_add3_u32 v5, v5, v6, v3
	v_lshlrev_b64 v[2:3], 1, v[4:5]
	v_cvt_f16_f32_e32 v7, v138
	v_mov_b32_e32 v4, s3
	v_add_co_u32_e32 v2, vcc, s2, v2
	v_addc_co_u32_e32 v3, vcc, v4, v3, vcc
	v_add_co_u32_e32 v0, vcc, v2, v0
	v_addc_co_u32_e32 v1, vcc, v3, v1, vcc
	global_store_short v[0:1], v7, off
.LBB84_231:
	s_endpgm
	.section	.rodata,"a",@progbits
	.p2align	6, 0x0
	.amdhsa_kernel _ZN2at6native12_GLOBAL__N_135GammaBetaBackwardCUDAKernelTemplateIN3c104HalfEfLj32ELj1ELj32ELb1ELb0ELb0EEEvllPKT_S7_PKT0_SA_PS5_SB_
		.amdhsa_group_segment_fixed_size 0
		.amdhsa_private_segment_fixed_size 0
		.amdhsa_kernarg_size 320
		.amdhsa_user_sgpr_count 6
		.amdhsa_user_sgpr_private_segment_buffer 1
		.amdhsa_user_sgpr_dispatch_ptr 0
		.amdhsa_user_sgpr_queue_ptr 0
		.amdhsa_user_sgpr_kernarg_segment_ptr 1
		.amdhsa_user_sgpr_dispatch_id 0
		.amdhsa_user_sgpr_flat_scratch_init 0
		.amdhsa_user_sgpr_kernarg_preload_length 0
		.amdhsa_user_sgpr_kernarg_preload_offset 0
		.amdhsa_user_sgpr_private_segment_size 0
		.amdhsa_uses_dynamic_stack 0
		.amdhsa_system_sgpr_private_segment_wavefront_offset 0
		.amdhsa_system_sgpr_workgroup_id_x 1
		.amdhsa_system_sgpr_workgroup_id_y 1
		.amdhsa_system_sgpr_workgroup_id_z 0
		.amdhsa_system_sgpr_workgroup_info 0
		.amdhsa_system_vgpr_workitem_id 1
		.amdhsa_next_free_vgpr 344
		.amdhsa_next_free_sgpr 38
		.amdhsa_accum_offset 256
		.amdhsa_reserve_vcc 1
		.amdhsa_reserve_flat_scratch 0
		.amdhsa_float_round_mode_32 0
		.amdhsa_float_round_mode_16_64 0
		.amdhsa_float_denorm_mode_32 3
		.amdhsa_float_denorm_mode_16_64 3
		.amdhsa_dx10_clamp 1
		.amdhsa_ieee_mode 1
		.amdhsa_fp16_overflow 0
		.amdhsa_tg_split 0
		.amdhsa_exception_fp_ieee_invalid_op 0
		.amdhsa_exception_fp_denorm_src 0
		.amdhsa_exception_fp_ieee_div_zero 0
		.amdhsa_exception_fp_ieee_overflow 0
		.amdhsa_exception_fp_ieee_underflow 0
		.amdhsa_exception_fp_ieee_inexact 0
		.amdhsa_exception_int_div_zero 0
	.end_amdhsa_kernel
	.section	.text._ZN2at6native12_GLOBAL__N_135GammaBetaBackwardCUDAKernelTemplateIN3c104HalfEfLj32ELj1ELj32ELb1ELb0ELb0EEEvllPKT_S7_PKT0_SA_PS5_SB_,"axG",@progbits,_ZN2at6native12_GLOBAL__N_135GammaBetaBackwardCUDAKernelTemplateIN3c104HalfEfLj32ELj1ELj32ELb1ELb0ELb0EEEvllPKT_S7_PKT0_SA_PS5_SB_,comdat
.Lfunc_end84:
	.size	_ZN2at6native12_GLOBAL__N_135GammaBetaBackwardCUDAKernelTemplateIN3c104HalfEfLj32ELj1ELj32ELb1ELb0ELb0EEEvllPKT_S7_PKT0_SA_PS5_SB_, .Lfunc_end84-_ZN2at6native12_GLOBAL__N_135GammaBetaBackwardCUDAKernelTemplateIN3c104HalfEfLj32ELj1ELj32ELb1ELb0ELb0EEEvllPKT_S7_PKT0_SA_PS5_SB_
                                        ; -- End function
	.section	.AMDGPU.csdata,"",@progbits
; Kernel info:
; codeLenInByte = 26644
; NumSgprs: 42
; NumVgprs: 256
; NumAgprs: 88
; TotalNumVgprs: 344
; ScratchSize: 0
; MemoryBound: 0
; FloatMode: 240
; IeeeMode: 1
; LDSByteSize: 0 bytes/workgroup (compile time only)
; SGPRBlocks: 5
; VGPRBlocks: 42
; NumSGPRsForWavesPerEU: 42
; NumVGPRsForWavesPerEU: 344
; AccumOffset: 256
; Occupancy: 1
; WaveLimiterHint : 0
; COMPUTE_PGM_RSRC2:SCRATCH_EN: 0
; COMPUTE_PGM_RSRC2:USER_SGPR: 6
; COMPUTE_PGM_RSRC2:TRAP_HANDLER: 0
; COMPUTE_PGM_RSRC2:TGID_X_EN: 1
; COMPUTE_PGM_RSRC2:TGID_Y_EN: 1
; COMPUTE_PGM_RSRC2:TGID_Z_EN: 0
; COMPUTE_PGM_RSRC2:TIDIG_COMP_CNT: 1
; COMPUTE_PGM_RSRC3_GFX90A:ACCUM_OFFSET: 63
; COMPUTE_PGM_RSRC3_GFX90A:TG_SPLIT: 0
	.section	.text._ZN2at6native12_GLOBAL__N_135GammaBetaBackwardCUDAKernelTemplateIN3c104HalfEfLj32ELj1ELj8ELb1ELb1ELb0EEEvllPKT_S7_PKT0_SA_PS5_SB_,"axG",@progbits,_ZN2at6native12_GLOBAL__N_135GammaBetaBackwardCUDAKernelTemplateIN3c104HalfEfLj32ELj1ELj8ELb1ELb1ELb0EEEvllPKT_S7_PKT0_SA_PS5_SB_,comdat
	.globl	_ZN2at6native12_GLOBAL__N_135GammaBetaBackwardCUDAKernelTemplateIN3c104HalfEfLj32ELj1ELj8ELb1ELb1ELb0EEEvllPKT_S7_PKT0_SA_PS5_SB_ ; -- Begin function _ZN2at6native12_GLOBAL__N_135GammaBetaBackwardCUDAKernelTemplateIN3c104HalfEfLj32ELj1ELj8ELb1ELb1ELb0EEEvllPKT_S7_PKT0_SA_PS5_SB_
	.p2align	8
	.type	_ZN2at6native12_GLOBAL__N_135GammaBetaBackwardCUDAKernelTemplateIN3c104HalfEfLj32ELj1ELj8ELb1ELb1ELb0EEEvllPKT_S7_PKT0_SA_PS5_SB_,@function
_ZN2at6native12_GLOBAL__N_135GammaBetaBackwardCUDAKernelTemplateIN3c104HalfEfLj32ELj1ELj8ELb1ELb1ELb0EEEvllPKT_S7_PKT0_SA_PS5_SB_: ; @_ZN2at6native12_GLOBAL__N_135GammaBetaBackwardCUDAKernelTemplateIN3c104HalfEfLj32ELj1ELj8ELb1ELb1ELb0EEEvllPKT_S7_PKT0_SA_PS5_SB_
; %bb.0:
	s_load_dwordx4 s[16:19], s[4:5], 0x0
	s_lshl_b32 s24, s7, 3
	s_mov_b32 s25, 0
	s_mov_b32 s2, s7
	v_bfe_u32 v10, v0, 10, 10
	s_waitcnt lgkmcnt(0)
	v_pk_mov_b32 v[2:3], s[16:17], s[16:17] op_sel:[0,1]
	v_cmp_lt_i64_e32 vcc, s[24:25], v[2:3]
	s_cbranch_vccnz .LBB85_2
; %bb.1:
	s_add_u32 s26, s4, 64
	s_addc_u32 s27, s5, 0
	s_mov_b64 s[0:1], 0
	v_bfe_u32 v2, v0, 10, 10
	s_branch .LBB85_3
.LBB85_2:
	s_mov_b64 s[0:1], -1
                                        ; implicit-def: $sgpr26_sgpr27
                                        ; implicit-def: $vgpr2
.LBB85_3:
	s_load_dwordx4 s[20:23], s[4:5], 0x30
	v_and_b32_e32 v11, 0x3ff, v0
	s_andn2_b64 vcc, exec, s[0:1]
	v_mov_b32_e32 v4, s25
	s_cbranch_vccnz .LBB85_11
; %bb.4:
	s_load_dword s0, s[4:5], 0x4c
	s_load_dword s3, s[4:5], 0x44
	s_load_dwordx8 s[8:15], s[4:5], 0x10
	v_mbcnt_lo_u32_b32 v2, -1, 0
	s_add_u32 s26, s4, 64
	v_mbcnt_hi_u32_b32 v2, -1, v2
	s_addc_u32 s27, s5, 0
	s_waitcnt lgkmcnt(0)
	s_and_b32 s0, s0, 0xffff
	v_lshlrev_b32_e32 v1, 3, v10
	v_lshlrev_b32_e32 v2, 2, v2
	v_mad_u32_u24 v0, v10, s0, v11
	v_and_b32_e32 v12, 0x100, v2
	v_mov_b32_e32 v2, s25
	v_add_co_u32_e32 v6, vcc, s24, v1
	v_and_b32_e32 v0, 63, v0
	v_addc_co_u32_e32 v7, vcc, 0, v2, vcc
	v_cmp_gt_u32_e64 s[0:1], 8, v0
	v_add_co_u32_e32 v0, vcc, v6, v0
	s_lshl_b32 s4, s3, 3
	v_addc_co_u32_e32 v1, vcc, 0, v7, vcc
	v_mul_lo_u32 v8, s19, v6
	v_mul_lo_u32 v9, s18, v7
	v_mad_u64_u32 v[6:7], s[30:31], s18, v6, 0
	v_mov_b32_e32 v5, 0
	v_lshl_add_u32 v4, s6, 5, v11
	v_add3_u32 v7, v7, v9, v8
	s_mul_i32 s3, s19, s4
	s_mul_hi_u32 s7, s18, s4
	s_mov_b32 s5, 0
	v_lshlrev_b64 v[6:7], 1, v[6:7]
	v_lshlrev_b64 v[8:9], 1, v[4:5]
	s_add_i32 s31, s7, s3
	s_mul_i32 s30, s18, s4
	s_lshl_b64 s[28:29], s[4:5], 2
	v_add_co_u32_e32 v6, vcc, v6, v8
	s_lshl_b64 s[30:31], s[30:31], 1
	s_lshl_b64 s[34:35], s[18:19], 1
	v_or_b32_e32 v13, 4, v12
	v_or_b32_e32 v14, 8, v12
	;; [unrolled: 1-line block ×7, first 2 shown]
	v_lshlrev_b64 v[2:3], 2, v[0:1]
	v_addc_co_u32_e32 v7, vcc, v7, v9, vcc
	v_mov_b32_e32 v20, s9
	v_mov_b32_e32 v21, s11
	;; [unrolled: 1-line block ×6, first 2 shown]
	v_pk_mov_b32 v[8:9], s[16:17], s[16:17] op_sel:[0,1]
	v_mov_b32_e32 v4, v5
	s_branch .LBB85_7
.LBB85_5:                               ;   in Loop: Header=BB85_7 Depth=1
	s_or_b64 exec, exec, s[38:39]
.LBB85_6:                               ;   in Loop: Header=BB85_7 Depth=1
	s_or_b64 exec, exec, s[36:37]
	v_add_co_u32_e32 v28, vcc, s8, v6
	v_addc_co_u32_e32 v29, vcc, v20, v7, vcc
	v_add_co_u32_e32 v30, vcc, s10, v6
	v_addc_co_u32_e32 v31, vcc, v21, v7, vcc
	global_load_ushort v32, v[28:29], off
	v_add_co_u32_e32 v28, vcc, s34, v28
	v_addc_co_u32_e32 v29, vcc, v29, v22, vcc
	global_load_ushort v33, v[30:31], off
	;; [unrolled: 3-line block ×14, first 2 shown]
	global_load_ushort v46, v[28:29], off
	v_add_co_u32_e32 v28, vcc, s34, v30
	v_addc_co_u32_e32 v29, vcc, v31, v22, vcc
	global_load_ushort v29, v[28:29], off
	v_add_co_u32_e32 v2, vcc, s28, v2
	v_addc_co_u32_e32 v3, vcc, v3, v23, vcc
	v_add_co_u32_e32 v0, vcc, s4, v0
	v_addc_co_u32_e32 v1, vcc, v1, v24, vcc
	s_waitcnt vmcnt(15)
	v_cvt_f32_f16_e32 v28, v32
	s_add_u32 s24, s24, s4
	v_add_co_u32_e32 v6, vcc, s30, v6
	s_addc_u32 s25, s25, 0
	s_waitcnt vmcnt(14)
	v_cvt_f32_f16_e32 v31, v33
	v_addc_co_u32_e32 v7, vcc, v7, v25, vcc
	v_cmp_lt_i64_e32 vcc, s[24:25], v[8:9]
	s_and_b64 vcc, exec, vcc
	s_waitcnt vmcnt(13)
	v_cvt_f32_f16_e32 v30, v34
	s_waitcnt vmcnt(12)
	v_cvt_f32_f16_e32 v33, v35
	;; [unrolled: 2-line block ×10, first 2 shown]
	ds_bpermute_b32 v43, v12, v27
	s_waitcnt vmcnt(3)
	v_cvt_f32_f16_e32 v40, v44
	s_waitcnt vmcnt(2)
	v_cvt_f32_f16_e32 v44, v45
	ds_bpermute_b32 v45, v12, v26
	s_waitcnt vmcnt(1)
	v_cvt_f32_f16_e32 v42, v46
	s_waitcnt vmcnt(0)
	v_cvt_f32_f16_e32 v46, v29
	s_waitcnt lgkmcnt(1)
	v_sub_f32_e32 v29, v31, v43
	ds_bpermute_b32 v31, v13, v27
	v_mul_f32_e32 v29, v29, v28
	s_waitcnt lgkmcnt(1)
	v_mul_f32_e32 v29, v29, v45
	ds_bpermute_b32 v43, v13, v26
	ds_bpermute_b32 v45, v14, v27
	s_waitcnt lgkmcnt(2)
	v_sub_f32_e32 v31, v33, v31
	ds_bpermute_b32 v33, v14, v26
	v_mul_f32_e32 v31, v31, v30
	s_waitcnt lgkmcnt(2)
	v_mul_f32_e32 v31, v31, v43
	s_waitcnt lgkmcnt(1)
	v_sub_f32_e32 v35, v35, v45
	ds_bpermute_b32 v43, v15, v27
	v_mul_f32_e32 v35, v35, v32
	s_waitcnt lgkmcnt(1)
	v_mul_f32_e32 v33, v35, v33
	ds_bpermute_b32 v35, v15, v26
	ds_bpermute_b32 v45, v16, v27
	s_waitcnt lgkmcnt(2)
	v_sub_f32_e32 v37, v37, v43
	ds_bpermute_b32 v43, v16, v26
	v_mul_f32_e32 v37, v37, v34
	s_waitcnt lgkmcnt(2)
	v_mul_f32_e32 v35, v37, v35
	s_waitcnt lgkmcnt(1)
	v_sub_f32_e32 v37, v39, v45
	ds_bpermute_b32 v39, v17, v27
	v_mul_f32_e32 v37, v37, v36
	s_waitcnt lgkmcnt(1)
	v_mul_f32_e32 v37, v37, v43
	ds_bpermute_b32 v43, v17, v26
	ds_bpermute_b32 v45, v18, v27
	;; [unrolled: 1-line block ×3, first 2 shown]
	s_waitcnt lgkmcnt(3)
	v_sub_f32_e32 v39, v41, v39
	ds_bpermute_b32 v41, v18, v26
	v_pk_add_f32 v[4:5], v[4:5], v[28:29]
	v_pk_add_f32 v[4:5], v[4:5], v[30:31]
	ds_bpermute_b32 v26, v19, v26
	v_mul_f32_e32 v39, v39, v38
	v_pk_add_f32 v[4:5], v[4:5], v[32:33]
	s_waitcnt lgkmcnt(4)
	v_mul_f32_e32 v39, v39, v43
	s_waitcnt lgkmcnt(3)
	v_sub_f32_e32 v43, v44, v45
	v_pk_add_f32 v[4:5], v[4:5], v[34:35]
	v_mul_f32_e32 v43, v43, v40
	v_pk_add_f32 v[4:5], v[4:5], v[36:37]
	s_waitcnt lgkmcnt(2)
	v_sub_f32_e32 v27, v46, v27
	s_waitcnt lgkmcnt(1)
	v_mul_f32_e32 v41, v43, v41
	v_pk_add_f32 v[4:5], v[4:5], v[38:39]
	v_mul_f32_e32 v27, v27, v42
	v_pk_add_f32 v[4:5], v[4:5], v[40:41]
	s_waitcnt lgkmcnt(0)
	v_mul_f32_e32 v43, v27, v26
	v_pk_add_f32 v[4:5], v[4:5], v[42:43]
	s_cbranch_vccz .LBB85_10
.LBB85_7:                               ; =>This Inner Loop Header: Depth=1
	v_mov_b32_e32 v26, 0
	v_mov_b32_e32 v27, 0
	s_and_saveexec_b64 s[36:37], s[0:1]
	s_cbranch_execz .LBB85_6
; %bb.8:                                ;   in Loop: Header=BB85_7 Depth=1
	v_cmp_gt_i64_e32 vcc, s[16:17], v[0:1]
	v_mov_b32_e32 v27, 0
	v_mov_b32_e32 v26, 0
	s_and_saveexec_b64 s[38:39], vcc
	s_cbranch_execz .LBB85_5
; %bb.9:                                ;   in Loop: Header=BB85_7 Depth=1
	v_mov_b32_e32 v26, s15
	v_add_co_u32_e32 v28, vcc, s14, v2
	v_addc_co_u32_e32 v29, vcc, v26, v3, vcc
	v_mov_b32_e32 v26, s13
	v_add_co_u32_e32 v30, vcc, s12, v2
	v_addc_co_u32_e32 v31, vcc, v26, v3, vcc
	global_load_dword v27, v[30:31], off
	global_load_dword v26, v[28:29], off
	s_branch .LBB85_5
.LBB85_10:
	v_cvt_f16_f32_e32 v0, v5
	v_cvt_f16_f32_e32 v1, v4
	v_mov_b32_e32 v2, v10
	v_pack_b32_f16 v4, v1, v0
.LBB85_11:
	s_mov_b32 s7, 0
	s_lshl_b64 s[0:1], s[6:7], 5
	v_mov_b32_e32 v1, s1
	s_load_dword s1, s[26:27], 0xc
	v_mov_b32_e32 v3, 0
	v_add_co_u32_e32 v0, vcc, s0, v11
	v_mov_b32_e32 v5, s2
	s_waitcnt lgkmcnt(0)
	s_lshr_b32 s0, s1, 16
	v_addc_co_u32_e32 v1, vcc, 0, v1, vcc
	v_mad_u64_u32 v[2:3], s[0:1], s0, v5, v[2:3]
	s_cmp_eq_u64 s[20:21], 0
	v_mul_lo_u32 v3, v3, s18
	v_mul_lo_u32 v5, v2, s19
	v_lshlrev_b64 v[0:1], 1, v[0:1]
	s_cbranch_scc1 .LBB85_13
; %bb.12:
	v_mad_u64_u32 v[6:7], s[0:1], v2, s18, 0
	v_add3_u32 v7, v7, v5, v3
	v_lshlrev_b64 v[6:7], 1, v[6:7]
	v_mov_b32_e32 v8, s21
	v_add_co_u32_e32 v6, vcc, s20, v6
	v_addc_co_u32_e32 v7, vcc, v8, v7, vcc
	v_add_co_u32_e32 v6, vcc, v6, v0
	v_addc_co_u32_e32 v7, vcc, v7, v1, vcc
	global_store_short_d16_hi v[6:7], v4, off
.LBB85_13:
	s_cmp_eq_u64 s[22:23], 0
	s_cbranch_scc1 .LBB85_15
; %bb.14:
	v_mad_u64_u32 v[6:7], s[0:1], v2, s18, 0
	v_add3_u32 v7, v7, v5, v3
	v_lshlrev_b64 v[2:3], 1, v[6:7]
	v_mov_b32_e32 v5, s23
	v_add_co_u32_e32 v2, vcc, s22, v2
	v_addc_co_u32_e32 v3, vcc, v5, v3, vcc
	v_add_co_u32_e32 v0, vcc, v2, v0
	v_addc_co_u32_e32 v1, vcc, v3, v1, vcc
	global_store_short v[0:1], v4, off
.LBB85_15:
	s_endpgm
	.section	.rodata,"a",@progbits
	.p2align	6, 0x0
	.amdhsa_kernel _ZN2at6native12_GLOBAL__N_135GammaBetaBackwardCUDAKernelTemplateIN3c104HalfEfLj32ELj1ELj8ELb1ELb1ELb0EEEvllPKT_S7_PKT0_SA_PS5_SB_
		.amdhsa_group_segment_fixed_size 0
		.amdhsa_private_segment_fixed_size 0
		.amdhsa_kernarg_size 320
		.amdhsa_user_sgpr_count 6
		.amdhsa_user_sgpr_private_segment_buffer 1
		.amdhsa_user_sgpr_dispatch_ptr 0
		.amdhsa_user_sgpr_queue_ptr 0
		.amdhsa_user_sgpr_kernarg_segment_ptr 1
		.amdhsa_user_sgpr_dispatch_id 0
		.amdhsa_user_sgpr_flat_scratch_init 0
		.amdhsa_user_sgpr_kernarg_preload_length 0
		.amdhsa_user_sgpr_kernarg_preload_offset 0
		.amdhsa_user_sgpr_private_segment_size 0
		.amdhsa_uses_dynamic_stack 0
		.amdhsa_system_sgpr_private_segment_wavefront_offset 0
		.amdhsa_system_sgpr_workgroup_id_x 1
		.amdhsa_system_sgpr_workgroup_id_y 1
		.amdhsa_system_sgpr_workgroup_id_z 0
		.amdhsa_system_sgpr_workgroup_info 0
		.amdhsa_system_vgpr_workitem_id 1
		.amdhsa_next_free_vgpr 47
		.amdhsa_next_free_sgpr 40
		.amdhsa_accum_offset 48
		.amdhsa_reserve_vcc 1
		.amdhsa_reserve_flat_scratch 0
		.amdhsa_float_round_mode_32 0
		.amdhsa_float_round_mode_16_64 0
		.amdhsa_float_denorm_mode_32 3
		.amdhsa_float_denorm_mode_16_64 3
		.amdhsa_dx10_clamp 1
		.amdhsa_ieee_mode 1
		.amdhsa_fp16_overflow 0
		.amdhsa_tg_split 0
		.amdhsa_exception_fp_ieee_invalid_op 0
		.amdhsa_exception_fp_denorm_src 0
		.amdhsa_exception_fp_ieee_div_zero 0
		.amdhsa_exception_fp_ieee_overflow 0
		.amdhsa_exception_fp_ieee_underflow 0
		.amdhsa_exception_fp_ieee_inexact 0
		.amdhsa_exception_int_div_zero 0
	.end_amdhsa_kernel
	.section	.text._ZN2at6native12_GLOBAL__N_135GammaBetaBackwardCUDAKernelTemplateIN3c104HalfEfLj32ELj1ELj8ELb1ELb1ELb0EEEvllPKT_S7_PKT0_SA_PS5_SB_,"axG",@progbits,_ZN2at6native12_GLOBAL__N_135GammaBetaBackwardCUDAKernelTemplateIN3c104HalfEfLj32ELj1ELj8ELb1ELb1ELb0EEEvllPKT_S7_PKT0_SA_PS5_SB_,comdat
.Lfunc_end85:
	.size	_ZN2at6native12_GLOBAL__N_135GammaBetaBackwardCUDAKernelTemplateIN3c104HalfEfLj32ELj1ELj8ELb1ELb1ELb0EEEvllPKT_S7_PKT0_SA_PS5_SB_, .Lfunc_end85-_ZN2at6native12_GLOBAL__N_135GammaBetaBackwardCUDAKernelTemplateIN3c104HalfEfLj32ELj1ELj8ELb1ELb1ELb0EEEvllPKT_S7_PKT0_SA_PS5_SB_
                                        ; -- End function
	.section	.AMDGPU.csdata,"",@progbits
; Kernel info:
; codeLenInByte = 1488
; NumSgprs: 44
; NumVgprs: 47
; NumAgprs: 0
; TotalNumVgprs: 47
; ScratchSize: 0
; MemoryBound: 0
; FloatMode: 240
; IeeeMode: 1
; LDSByteSize: 0 bytes/workgroup (compile time only)
; SGPRBlocks: 5
; VGPRBlocks: 5
; NumSGPRsForWavesPerEU: 44
; NumVGPRsForWavesPerEU: 47
; AccumOffset: 48
; Occupancy: 8
; WaveLimiterHint : 0
; COMPUTE_PGM_RSRC2:SCRATCH_EN: 0
; COMPUTE_PGM_RSRC2:USER_SGPR: 6
; COMPUTE_PGM_RSRC2:TRAP_HANDLER: 0
; COMPUTE_PGM_RSRC2:TGID_X_EN: 1
; COMPUTE_PGM_RSRC2:TGID_Y_EN: 1
; COMPUTE_PGM_RSRC2:TGID_Z_EN: 0
; COMPUTE_PGM_RSRC2:TIDIG_COMP_CNT: 1
; COMPUTE_PGM_RSRC3_GFX90A:ACCUM_OFFSET: 11
; COMPUTE_PGM_RSRC3_GFX90A:TG_SPLIT: 0
	.section	.text._ZN2at6native12_GLOBAL__N_135GammaBetaBackwardCUDAKernelTemplateIN3c104HalfEfLj32ELj1ELj8ELb1ELb0ELb0EEEvllPKT_S7_PKT0_SA_PS5_SB_,"axG",@progbits,_ZN2at6native12_GLOBAL__N_135GammaBetaBackwardCUDAKernelTemplateIN3c104HalfEfLj32ELj1ELj8ELb1ELb0ELb0EEEvllPKT_S7_PKT0_SA_PS5_SB_,comdat
	.globl	_ZN2at6native12_GLOBAL__N_135GammaBetaBackwardCUDAKernelTemplateIN3c104HalfEfLj32ELj1ELj8ELb1ELb0ELb0EEEvllPKT_S7_PKT0_SA_PS5_SB_ ; -- Begin function _ZN2at6native12_GLOBAL__N_135GammaBetaBackwardCUDAKernelTemplateIN3c104HalfEfLj32ELj1ELj8ELb1ELb0ELb0EEEvllPKT_S7_PKT0_SA_PS5_SB_
	.p2align	8
	.type	_ZN2at6native12_GLOBAL__N_135GammaBetaBackwardCUDAKernelTemplateIN3c104HalfEfLj32ELj1ELj8ELb1ELb0ELb0EEEvllPKT_S7_PKT0_SA_PS5_SB_,@function
_ZN2at6native12_GLOBAL__N_135GammaBetaBackwardCUDAKernelTemplateIN3c104HalfEfLj32ELj1ELj8ELb1ELb0ELb0EEEvllPKT_S7_PKT0_SA_PS5_SB_: ; @_ZN2at6native12_GLOBAL__N_135GammaBetaBackwardCUDAKernelTemplateIN3c104HalfEfLj32ELj1ELj8ELb1ELb0ELb0EEEvllPKT_S7_PKT0_SA_PS5_SB_
; %bb.0:
	s_load_dwordx8 s[12:19], s[4:5], 0x0
	s_load_dwordx4 s[28:31], s[4:5], 0x20
	s_mov_b32 s8, s7
	s_lshl_b32 s7, s6, 5
	s_mov_b32 s20, 0
	s_or_b32 s0, s7, 31
	s_mov_b32 s1, s20
	s_waitcnt lgkmcnt(0)
	v_pk_mov_b32 v[2:3], s[14:15], s[14:15] op_sel:[0,1]
	v_cmp_ge_i64_e32 vcc, s[0:1], v[2:3]
	s_lshl_b32 s34, s8, 3
	s_mov_b32 s35, s20
	v_pk_mov_b32 v[2:3], s[12:13], s[12:13] op_sel:[0,1]
	v_cmp_lt_i64_e64 s[0:1], s[34:35], v[2:3]
	v_cndmask_b32_e64 v1, 0, 1, s[0:1]
	v_cmp_ne_u32_e64 s[0:1], 1, v1
	s_cbranch_vccz .LBB86_48
; %bb.1:
	v_mov_b32_e32 v27, 0
	s_and_b64 vcc, exec, s[0:1]
	v_mov_b32_e32 v26, v27
	s_cbranch_vccnz .LBB86_49
; %bb.2:
	v_and_b32_e32 v63, 0x3ff, v0
	v_bfe_u32 v66, v0, 10, 10
	v_add_u32_e32 v2, s7, v63
	v_mov_b32_e32 v3, 0
	v_lshlrev_b32_e32 v28, 3, v66
	v_cmp_gt_i64_e64 s[2:3], s[14:15], v[2:3]
	v_lshlrev_b64 v[30:31], 1, v[2:3]
	v_mov_b32_e32 v2, s35
	v_add_co_u32_e32 v6, vcc, s34, v28
	v_addc_co_u32_e32 v2, vcc, 0, v2, vcc
	v_add_co_u32_e32 v4, vcc, 7, v6
	v_addc_co_u32_e32 v5, vcc, 0, v2, vcc
	v_mul_lo_u32 v7, s15, v4
	v_mul_lo_u32 v8, s14, v5
	v_mad_u64_u32 v[4:5], s[10:11], s14, v4, 0
	s_load_dword s9, s[4:5], 0x44
	v_add3_u32 v5, v5, v8, v7
	v_lshlrev_b64 v[4:5], 1, v[4:5]
	v_mov_b32_e32 v7, s17
	v_add_co_u32_e32 v32, vcc, s16, v4
	v_addc_co_u32_e32 v29, vcc, v7, v5, vcc
	s_add_u32 s36, s4, 64
	v_mov_b32_e32 v8, s19
	v_add_co_u32_e32 v34, vcc, s18, v4
	s_addc_u32 s37, s5, 0
	s_waitcnt lgkmcnt(0)
	s_lshl_b32 s9, s9, 3
	v_addc_co_u32_e32 v33, vcc, v8, v5, vcc
	s_mul_i32 s10, s15, s9
	s_mul_hi_u32 s11, s14, s9
	v_add_co_u32_e32 v4, vcc, 6, v6
	s_add_i32 s11, s11, s10
	s_mul_i32 s10, s14, s9
	v_addc_co_u32_e32 v5, vcc, 0, v2, vcc
	s_lshl_b64 s[40:41], s[10:11], 1
	v_mul_lo_u32 v9, s15, v4
	v_mul_lo_u32 v10, s14, v5
	v_mad_u64_u32 v[4:5], s[10:11], s14, v4, 0
	v_add3_u32 v5, v5, v10, v9
	v_lshlrev_b64 v[4:5], 1, v[4:5]
	v_add_co_u32_e32 v36, vcc, s16, v4
	v_addc_co_u32_e32 v35, vcc, v7, v5, vcc
	v_add_co_u32_e32 v38, vcc, s18, v4
	v_addc_co_u32_e32 v37, vcc, v8, v5, vcc
	v_add_co_u32_e32 v4, vcc, 5, v6
	v_addc_co_u32_e32 v5, vcc, 0, v2, vcc
	v_mul_lo_u32 v9, s15, v4
	v_mul_lo_u32 v10, s14, v5
	v_mad_u64_u32 v[4:5], s[10:11], s14, v4, 0
	v_add3_u32 v5, v5, v10, v9
	v_lshlrev_b64 v[4:5], 1, v[4:5]
	v_add_co_u32_e32 v40, vcc, s16, v4
	v_addc_co_u32_e32 v39, vcc, v7, v5, vcc
	v_add_co_u32_e32 v42, vcc, s18, v4
	v_addc_co_u32_e32 v41, vcc, v8, v5, vcc
	v_add_co_u32_e32 v4, vcc, 4, v6
	v_addc_co_u32_e32 v5, vcc, 0, v2, vcc
	;; [unrolled: 11-line block ×4, first 2 shown]
	v_mul_lo_u32 v9, s15, v4
	v_mul_lo_u32 v10, s14, v5
	v_mad_u64_u32 v[4:5], s[10:11], s14, v4, 0
	v_add3_u32 v5, v5, v10, v9
	v_lshlrev_b64 v[4:5], 1, v[4:5]
	v_add_co_u32_e32 v52, vcc, s16, v4
	v_addc_co_u32_e32 v51, vcc, v7, v5, vcc
	v_add_co_u32_e32 v54, vcc, s18, v4
	v_addc_co_u32_e32 v53, vcc, v8, v5, vcc
	v_pk_mov_b32 v[4:5], s[14:15], s[14:15] op_sel:[0,1]
	v_mad_u64_u32 v[4:5], s[10:11], s14, v6, v[4:5]
	v_mul_lo_u32 v2, s14, v2
	v_mul_lo_u32 v9, s15, v6
	v_add3_u32 v5, v9, v5, v2
	v_lshlrev_b64 v[4:5], 1, v[4:5]
	v_add_co_u32_e32 v56, vcc, s16, v4
	v_addc_co_u32_e32 v55, vcc, v7, v5, vcc
	v_add_co_u32_e32 v58, vcc, s18, v4
	v_addc_co_u32_e32 v57, vcc, v8, v5, vcc
	v_mad_u64_u32 v[4:5], s[10:11], s14, v6, 0
	v_add3_u32 v5, v5, v2, v9
	v_lshlrev_b64 v[4:5], 1, v[4:5]
	v_add_co_u32_e32 v60, vcc, s16, v4
	v_mbcnt_lo_u32_b32 v2, -1, 0
	v_addc_co_u32_e32 v59, vcc, v7, v5, vcc
	v_mbcnt_hi_u32_b32 v2, -1, v2
	v_add_co_u32_e32 v62, vcc, s18, v4
	v_lshlrev_b32_e32 v2, 2, v2
	v_mov_b32_e32 v1, v3
	s_mov_b32 s33, s20
	s_mov_b64 s[38:39], 7
	v_addc_co_u32_e32 v61, vcc, v8, v5, vcc
	v_and_b32_e32 v67, 0x100, v2
	s_mov_b64 s[42:43], s[34:35]
	v_mov_b32_e32 v26, v3
	v_mov_b32_e32 v27, v3
	s_branch .LBB86_5
.LBB86_3:                               ;   in Loop: Header=BB86_5 Depth=1
	s_or_b64 exec, exec, s[10:11]
	s_waitcnt vmcnt(1)
	ds_bpermute_b32 v2, v67, v69
	ds_bpermute_b32 v4, v67, v69 offset:4
	s_waitcnt vmcnt(0)
	ds_bpermute_b32 v5, v67, v68
	ds_bpermute_b32 v6, v67, v68 offset:4
	ds_bpermute_b32 v8, v67, v68 offset:12
	s_waitcnt lgkmcnt(4)
	v_sub_f32_e32 v2, v10, v2
	v_mul_f32_e32 v2, v18, v2
	s_waitcnt lgkmcnt(3)
	v_sub_f32_e32 v4, v11, v4
	s_waitcnt lgkmcnt(2)
	v_mul_f32_e32 v5, v2, v5
	ds_bpermute_b32 v2, v67, v69 offset:8
	v_mul_f32_e32 v4, v19, v4
	s_waitcnt lgkmcnt(2)
	v_mul_f32_e32 v7, v4, v6
	ds_bpermute_b32 v4, v67, v68 offset:8
	ds_bpermute_b32 v6, v67, v69 offset:12
	s_waitcnt lgkmcnt(2)
	v_sub_f32_e32 v2, v12, v2
	v_mul_f32_e32 v2, v20, v2
	v_mov_b32_e32 v10, v21
	s_waitcnt lgkmcnt(1)
	v_mul_f32_e32 v9, v2, v4
	s_waitcnt lgkmcnt(0)
	v_sub_f32_e32 v2, v13, v6
	ds_bpermute_b32 v4, v67, v69 offset:16
	v_mul_f32_e32 v2, v21, v2
	v_mul_f32_e32 v11, v2, v8
	ds_bpermute_b32 v2, v67, v68 offset:16
	ds_bpermute_b32 v6, v67, v69 offset:20
	;; [unrolled: 1-line block ×3, first 2 shown]
	s_waitcnt lgkmcnt(3)
	v_sub_f32_e32 v4, v14, v4
	v_mul_f32_e32 v4, v22, v4
	s_waitcnt lgkmcnt(2)
	v_mul_f32_e32 v13, v4, v2
	s_waitcnt lgkmcnt(1)
	v_sub_f32_e32 v2, v15, v6
	v_mul_f32_e32 v2, v23, v2
	s_waitcnt lgkmcnt(0)
	v_mul_f32_e32 v15, v2, v8
	v_mov_b32_e32 v4, v18
	ds_bpermute_b32 v2, v67, v69 offset:24
	v_pk_add_f32 v[4:5], v[26:27], v[4:5]
	v_mov_b32_e32 v6, v19
	v_pk_add_f32 v[4:5], v[6:7], v[4:5]
	ds_bpermute_b32 v7, v67, v68 offset:24
	v_mov_b32_e32 v8, v20
	v_pk_add_f32 v[4:5], v[8:9], v[4:5]
	v_pk_add_f32 v[4:5], v[10:11], v[4:5]
	v_mov_b32_e32 v12, v22
	s_waitcnt lgkmcnt(1)
	v_sub_f32_e32 v8, v16, v2
	v_pk_add_f32 v[4:5], v[12:13], v[4:5]
	v_mov_b32_e32 v14, v23
	v_mul_f32_e32 v8, v24, v8
	v_pk_add_f32 v[4:5], v[14:15], v[4:5]
	s_waitcnt lgkmcnt(0)
	v_mul_f32_e32 v9, v8, v7
	v_mov_b32_e32 v8, v24
	ds_bpermute_b32 v2, v67, v68 offset:28
	ds_bpermute_b32 v6, v67, v69 offset:28
	v_pk_add_f32 v[4:5], v[8:9], v[4:5]
.LBB86_4:                               ;   in Loop: Header=BB86_5 Depth=1
	s_waitcnt lgkmcnt(0)
	v_sub_f32_e32 v6, v17, v6
	v_mul_f32_e32 v6, v25, v6
	v_mul_f32_e32 v7, v6, v2
	v_mov_b32_e32 v2, s41
	v_add_co_u32_e32 v32, vcc, s40, v32
	v_addc_co_u32_e32 v29, vcc, v29, v2, vcc
	v_add_co_u32_e32 v34, vcc, s40, v34
	v_addc_co_u32_e32 v33, vcc, v33, v2, vcc
	v_add_co_u32_e32 v36, vcc, s40, v36
	v_addc_co_u32_e32 v35, vcc, v35, v2, vcc
	v_add_co_u32_e32 v38, vcc, s40, v38
	v_addc_co_u32_e32 v37, vcc, v37, v2, vcc
	v_add_co_u32_e32 v40, vcc, s40, v40
	v_addc_co_u32_e32 v39, vcc, v39, v2, vcc
	v_add_co_u32_e32 v42, vcc, s40, v42
	v_addc_co_u32_e32 v41, vcc, v41, v2, vcc
	v_add_co_u32_e32 v44, vcc, s40, v44
	v_addc_co_u32_e32 v43, vcc, v43, v2, vcc
	v_add_co_u32_e32 v46, vcc, s40, v46
	v_addc_co_u32_e32 v45, vcc, v45, v2, vcc
	v_add_co_u32_e32 v48, vcc, s40, v48
	v_addc_co_u32_e32 v47, vcc, v47, v2, vcc
	v_add_co_u32_e32 v50, vcc, s40, v50
	v_addc_co_u32_e32 v49, vcc, v49, v2, vcc
	v_add_co_u32_e32 v52, vcc, s40, v52
	v_addc_co_u32_e32 v51, vcc, v51, v2, vcc
	v_add_co_u32_e32 v54, vcc, s40, v54
	v_addc_co_u32_e32 v53, vcc, v53, v2, vcc
	v_add_co_u32_e32 v56, vcc, s40, v56
	v_addc_co_u32_e32 v55, vcc, v55, v2, vcc
	v_add_co_u32_e32 v58, vcc, s40, v58
	v_mov_b32_e32 v6, v25
	v_addc_co_u32_e32 v57, vcc, v57, v2, vcc
	v_pk_add_f32 v[26:27], v[4:5], v[6:7]
	v_mov_b32_e32 v4, s33
	v_add_co_u32_e32 v28, vcc, s9, v28
	v_addc_co_u32_e32 v1, vcc, v1, v4, vcc
	v_add_co_u32_e32 v60, vcc, s40, v60
	v_addc_co_u32_e32 v59, vcc, v59, v2, vcc
	s_add_u32 s42, s42, s9
	v_add_co_u32_e32 v62, vcc, s40, v62
	s_addc_u32 s43, s43, 0
	v_addc_co_u32_e32 v61, vcc, v61, v2, vcc
	v_pk_mov_b32 v[4:5], s[12:13], s[12:13] op_sel:[0,1]
	s_add_u32 s38, s38, s9
	v_cmp_lt_i64_e32 vcc, s[42:43], v[4:5]
	s_addc_u32 s39, s39, 0
	s_cbranch_vccz .LBB86_49
.LBB86_5:                               ; =>This Inner Loop Header: Depth=1
	s_add_u32 s10, s34, s38
	s_addc_u32 s11, 0, s39
	v_pk_mov_b32 v[4:5], s[12:13], s[12:13] op_sel:[0,1]
	v_cmp_ge_i64_e32 vcc, s[10:11], v[4:5]
	v_mov_b32_e32 v2, s35
	v_add_co_u32_e64 v64, s[10:11], s34, v28
	v_addc_co_u32_e64 v65, s[10:11], v2, v1, s[10:11]
	s_cbranch_vccz .LBB86_27
; %bb.6:                                ;   in Loop: Header=BB86_5 Depth=1
	s_load_dword s10, s[36:37], 0xc
	v_mov_b32_e32 v68, 0
	v_mov_b32_e32 v69, 0
	s_waitcnt lgkmcnt(0)
	s_and_b32 s10, s10, 0xffff
	v_mad_u32_u24 v2, v66, s10, v63
	v_and_b32_e32 v2, 63, v2
	v_cmp_gt_u32_e32 vcc, 8, v2
	s_and_saveexec_b64 s[10:11], vcc
	s_cbranch_execz .LBB86_10
; %bb.7:                                ;   in Loop: Header=BB86_5 Depth=1
	v_add_co_u32_e32 v4, vcc, v64, v2
	v_addc_co_u32_e32 v5, vcc, 0, v65, vcc
	v_cmp_gt_i64_e32 vcc, s[12:13], v[4:5]
	v_mov_b32_e32 v69, 0
	v_mov_b32_e32 v68, 0
	s_and_saveexec_b64 s[22:23], vcc
	s_cbranch_execz .LBB86_9
; %bb.8:                                ;   in Loop: Header=BB86_5 Depth=1
	v_lshlrev_b64 v[4:5], 2, v[4:5]
	v_mov_b32_e32 v2, s31
	v_add_co_u32_e32 v6, vcc, s30, v4
	v_addc_co_u32_e32 v7, vcc, v2, v5, vcc
	v_mov_b32_e32 v2, s29
	v_add_co_u32_e32 v4, vcc, s28, v4
	v_addc_co_u32_e32 v5, vcc, v2, v5, vcc
	global_load_dword v69, v[4:5], off
	global_load_dword v68, v[6:7], off
.LBB86_9:                               ;   in Loop: Header=BB86_5 Depth=1
	s_or_b64 exec, exec, s[22:23]
.LBB86_10:                              ;   in Loop: Header=BB86_5 Depth=1
	s_or_b64 exec, exec, s[10:11]
	s_mov_b32 s21, s20
	s_mov_b32 s22, s20
	;; [unrolled: 1-line block ×7, first 2 shown]
	v_pk_mov_b32 v[10:11], s[20:21], s[20:21] op_sel:[0,1]
	v_pk_mov_b32 v[16:17], s[26:27], s[26:27] op_sel:[0,1]
	v_cmp_gt_i64_e32 vcc, s[12:13], v[64:65]
	v_pk_mov_b32 v[12:13], s[22:23], s[22:23] op_sel:[0,1]
	v_pk_mov_b32 v[14:15], s[24:25], s[24:25] op_sel:[0,1]
	;; [unrolled: 1-line block ×3, first 2 shown]
	s_and_b64 s[44:45], s[2:3], vcc
	v_pk_mov_b32 v[22:23], v[14:15], v[14:15] op_sel:[0,1]
	v_pk_mov_b32 v[20:21], v[12:13], v[12:13] op_sel:[0,1]
	;; [unrolled: 1-line block ×3, first 2 shown]
	s_and_saveexec_b64 s[10:11], s[44:45]
	s_cbranch_execz .LBB86_12
; %bb.11:                               ;   in Loop: Header=BB86_5 Depth=1
	v_add_co_u32_e32 v4, vcc, v60, v30
	v_addc_co_u32_e32 v5, vcc, v59, v31, vcc
	global_load_ushort v2, v[4:5], off
	v_add_co_u32_e32 v4, vcc, v62, v30
	v_addc_co_u32_e32 v5, vcc, v61, v31, vcc
	global_load_ushort v10, v[4:5], off
	v_mov_b32_e32 v8, v3
	v_mov_b32_e32 v9, v3
	;; [unrolled: 1-line block ×13, first 2 shown]
	s_waitcnt vmcnt(1)
	v_cvt_f32_f16_e32 v2, v2
	v_pk_mov_b32 v[24:25], v[8:9], v[8:9] op_sel:[0,1]
	v_pk_mov_b32 v[22:23], v[6:7], v[6:7] op_sel:[0,1]
	;; [unrolled: 1-line block ×4, first 2 shown]
	s_waitcnt vmcnt(0)
	v_cvt_f32_f16_e32 v10, v10
.LBB86_12:                              ;   in Loop: Header=BB86_5 Depth=1
	s_or_b64 exec, exec, s[10:11]
	v_add_co_u32_e32 v4, vcc, 1, v64
	v_addc_co_u32_e32 v5, vcc, 0, v65, vcc
	v_cmp_gt_i64_e32 vcc, s[12:13], v[4:5]
	s_and_b64 s[22:23], s[2:3], vcc
	s_and_saveexec_b64 s[10:11], s[22:23]
	s_cbranch_execz .LBB86_14
; %bb.13:                               ;   in Loop: Header=BB86_5 Depth=1
	v_add_co_u32_e32 v4, vcc, v56, v30
	v_addc_co_u32_e32 v5, vcc, v55, v31, vcc
	global_load_ushort v2, v[4:5], off
	v_add_co_u32_e32 v4, vcc, v58, v30
	v_addc_co_u32_e32 v5, vcc, v57, v31, vcc
	global_load_ushort v4, v[4:5], off
	s_waitcnt vmcnt(1)
	v_cvt_f32_f16_e32 v19, v2
	s_waitcnt vmcnt(0)
	v_cvt_f32_f16_e32 v11, v4
.LBB86_14:                              ;   in Loop: Header=BB86_5 Depth=1
	s_or_b64 exec, exec, s[10:11]
	v_add_co_u32_e32 v4, vcc, 2, v64
	v_addc_co_u32_e32 v5, vcc, 0, v65, vcc
	v_cmp_gt_i64_e32 vcc, s[12:13], v[4:5]
	s_and_b64 s[22:23], s[2:3], vcc
	s_and_saveexec_b64 s[10:11], s[22:23]
	s_cbranch_execz .LBB86_16
; %bb.15:                               ;   in Loop: Header=BB86_5 Depth=1
	v_add_co_u32_e32 v4, vcc, v52, v30
	v_addc_co_u32_e32 v5, vcc, v51, v31, vcc
	global_load_ushort v2, v[4:5], off
	v_add_co_u32_e32 v4, vcc, v54, v30
	v_addc_co_u32_e32 v5, vcc, v53, v31, vcc
	global_load_ushort v4, v[4:5], off
	s_waitcnt vmcnt(1)
	v_cvt_f32_f16_e32 v20, v2
	s_waitcnt vmcnt(0)
	v_cvt_f32_f16_e32 v12, v4
.LBB86_16:                              ;   in Loop: Header=BB86_5 Depth=1
	;; [unrolled: 19-line block ×7, first 2 shown]
	s_or_b64 exec, exec, s[10:11]
	s_waitcnt vmcnt(1)
	ds_bpermute_b32 v2, v67, v69
	ds_bpermute_b32 v4, v67, v69 offset:4
	s_waitcnt vmcnt(0)
	ds_bpermute_b32 v5, v67, v68
	ds_bpermute_b32 v6, v67, v68 offset:4
	ds_bpermute_b32 v8, v67, v68 offset:12
	s_waitcnt lgkmcnt(4)
	v_sub_f32_e32 v2, v10, v2
	v_mul_f32_e32 v2, v18, v2
	s_waitcnt lgkmcnt(3)
	v_sub_f32_e32 v4, v11, v4
	s_waitcnt lgkmcnt(2)
	v_mul_f32_e32 v5, v2, v5
	ds_bpermute_b32 v2, v67, v69 offset:8
	v_mul_f32_e32 v4, v19, v4
	s_waitcnt lgkmcnt(2)
	v_mul_f32_e32 v7, v4, v6
	ds_bpermute_b32 v4, v67, v68 offset:8
	ds_bpermute_b32 v6, v67, v69 offset:12
	s_waitcnt lgkmcnt(2)
	v_sub_f32_e32 v2, v12, v2
	v_mul_f32_e32 v2, v20, v2
	v_mov_b32_e32 v10, v21
	s_waitcnt lgkmcnt(1)
	v_mul_f32_e32 v9, v2, v4
	s_waitcnt lgkmcnt(0)
	v_sub_f32_e32 v2, v13, v6
	ds_bpermute_b32 v4, v67, v69 offset:16
	v_mul_f32_e32 v2, v21, v2
	v_mul_f32_e32 v11, v2, v8
	ds_bpermute_b32 v2, v67, v68 offset:16
	ds_bpermute_b32 v6, v67, v69 offset:20
	;; [unrolled: 1-line block ×3, first 2 shown]
	s_waitcnt lgkmcnt(3)
	v_sub_f32_e32 v4, v14, v4
	v_mul_f32_e32 v4, v22, v4
	s_waitcnt lgkmcnt(2)
	v_mul_f32_e32 v13, v4, v2
	s_waitcnt lgkmcnt(1)
	v_sub_f32_e32 v2, v15, v6
	v_mul_f32_e32 v2, v23, v2
	s_waitcnt lgkmcnt(0)
	v_mul_f32_e32 v15, v2, v8
	ds_bpermute_b32 v2, v67, v69 offset:24
	v_mov_b32_e32 v4, v18
	v_pk_add_f32 v[4:5], v[26:27], v[4:5]
	v_mov_b32_e32 v6, v19
	v_pk_add_f32 v[4:5], v[6:7], v[4:5]
	ds_bpermute_b32 v7, v67, v68 offset:24
	v_mov_b32_e32 v8, v20
	s_waitcnt lgkmcnt(1)
	v_sub_f32_e32 v2, v16, v2
	v_pk_add_f32 v[4:5], v[8:9], v[4:5]
	v_mul_f32_e32 v8, v24, v2
	ds_bpermute_b32 v2, v67, v68 offset:28
	ds_bpermute_b32 v6, v67, v69 offset:28
	v_pk_add_f32 v[4:5], v[10:11], v[4:5]
	v_mov_b32_e32 v12, v22
	v_pk_add_f32 v[4:5], v[12:13], v[4:5]
	v_mov_b32_e32 v14, v23
	v_pk_add_f32 v[4:5], v[14:15], v[4:5]
	s_waitcnt lgkmcnt(2)
	v_mul_f32_e32 v9, v8, v7
	v_mov_b32_e32 v8, v24
	v_pk_add_f32 v[4:5], v[8:9], v[4:5]
	s_branch .LBB86_4
.LBB86_27:                              ;   in Loop: Header=BB86_5 Depth=1
                                        ; implicit-def: $vgpr4_vgpr5
                                        ; implicit-def: $vgpr2
                                        ; implicit-def: $vgpr10_vgpr11_vgpr12_vgpr13_vgpr14_vgpr15_vgpr16_vgpr17
                                        ; implicit-def: $vgpr18_vgpr19_vgpr20_vgpr21_vgpr22_vgpr23_vgpr24_vgpr25
                                        ; implicit-def: $vgpr6
	s_cbranch_execz .LBB86_4
; %bb.28:                               ;   in Loop: Header=BB86_5 Depth=1
	s_load_dword s10, s[36:37], 0x0
	v_mov_b32_e32 v68, 0
	v_mov_b32_e32 v69, 0
	s_waitcnt lgkmcnt(0)
	s_cmp_lt_u32 s6, s10
	s_cselect_b32 s10, 12, 18
	s_add_u32 s10, s36, s10
	s_addc_u32 s11, s37, 0
	global_load_ushort v2, v3, s[10:11]
	s_waitcnt vmcnt(0)
	v_mad_u32_u24 v2, v66, v2, v63
	v_and_b32_e32 v2, 63, v2
	v_cmp_gt_u32_e32 vcc, 8, v2
	s_and_saveexec_b64 s[10:11], vcc
	s_cbranch_execz .LBB86_32
; %bb.29:                               ;   in Loop: Header=BB86_5 Depth=1
	v_add_co_u32_e32 v4, vcc, v64, v2
	v_addc_co_u32_e32 v5, vcc, 0, v65, vcc
	v_cmp_gt_i64_e32 vcc, s[12:13], v[4:5]
	v_mov_b32_e32 v69, 0
	v_mov_b32_e32 v68, 0
	s_and_saveexec_b64 s[22:23], vcc
	s_cbranch_execz .LBB86_31
; %bb.30:                               ;   in Loop: Header=BB86_5 Depth=1
	v_lshlrev_b64 v[4:5], 2, v[4:5]
	v_mov_b32_e32 v2, s31
	v_add_co_u32_e32 v6, vcc, s30, v4
	v_addc_co_u32_e32 v7, vcc, v2, v5, vcc
	v_mov_b32_e32 v2, s29
	v_add_co_u32_e32 v4, vcc, s28, v4
	v_addc_co_u32_e32 v5, vcc, v2, v5, vcc
	global_load_dword v69, v[4:5], off
	global_load_dword v68, v[6:7], off
.LBB86_31:                              ;   in Loop: Header=BB86_5 Depth=1
	s_or_b64 exec, exec, s[22:23]
.LBB86_32:                              ;   in Loop: Header=BB86_5 Depth=1
	s_or_b64 exec, exec, s[10:11]
	s_mov_b32 s21, s20
	s_mov_b32 s22, s20
	;; [unrolled: 1-line block ×7, first 2 shown]
	v_pk_mov_b32 v[10:11], s[20:21], s[20:21] op_sel:[0,1]
	v_pk_mov_b32 v[16:17], s[26:27], s[26:27] op_sel:[0,1]
	;; [unrolled: 1-line block ×8, first 2 shown]
	s_and_saveexec_b64 s[10:11], s[2:3]
	s_cbranch_execnz .LBB86_40
; %bb.33:                               ;   in Loop: Header=BB86_5 Depth=1
	s_or_b64 exec, exec, s[10:11]
	s_and_saveexec_b64 s[10:11], s[2:3]
	s_cbranch_execnz .LBB86_41
.LBB86_34:                              ;   in Loop: Header=BB86_5 Depth=1
	s_or_b64 exec, exec, s[10:11]
	s_and_saveexec_b64 s[10:11], s[2:3]
	s_cbranch_execnz .LBB86_42
.LBB86_35:                              ;   in Loop: Header=BB86_5 Depth=1
	s_or_b64 exec, exec, s[10:11]
	s_and_saveexec_b64 s[10:11], s[2:3]
	s_cbranch_execnz .LBB86_43
.LBB86_36:                              ;   in Loop: Header=BB86_5 Depth=1
	s_or_b64 exec, exec, s[10:11]
	s_and_saveexec_b64 s[10:11], s[2:3]
	s_cbranch_execnz .LBB86_44
.LBB86_37:                              ;   in Loop: Header=BB86_5 Depth=1
	s_or_b64 exec, exec, s[10:11]
	s_and_saveexec_b64 s[10:11], s[2:3]
	s_cbranch_execnz .LBB86_45
.LBB86_38:                              ;   in Loop: Header=BB86_5 Depth=1
	s_or_b64 exec, exec, s[10:11]
	s_and_saveexec_b64 s[10:11], s[2:3]
	s_cbranch_execnz .LBB86_46
.LBB86_39:                              ;   in Loop: Header=BB86_5 Depth=1
	s_or_b64 exec, exec, s[10:11]
	s_and_saveexec_b64 s[10:11], s[2:3]
	s_cbranch_execz .LBB86_3
	s_branch .LBB86_47
.LBB86_40:                              ;   in Loop: Header=BB86_5 Depth=1
	v_add_co_u32_e32 v4, vcc, v60, v30
	v_addc_co_u32_e32 v5, vcc, v59, v31, vcc
	global_load_ushort v2, v[4:5], off
	v_add_co_u32_e32 v4, vcc, v62, v30
	v_addc_co_u32_e32 v5, vcc, v61, v31, vcc
	global_load_ushort v10, v[4:5], off
	v_mov_b32_e32 v8, v3
	v_mov_b32_e32 v9, v3
	v_mov_b32_e32 v4, v3
	v_mov_b32_e32 v5, v3
	v_mov_b32_e32 v6, v3
	v_mov_b32_e32 v7, v3
	v_mov_b32_e32 v11, v3
	v_mov_b32_e32 v12, v3
	v_mov_b32_e32 v13, v3
	v_mov_b32_e32 v14, v3
	v_mov_b32_e32 v15, v3
	v_mov_b32_e32 v16, v3
	v_mov_b32_e32 v17, v3
	s_waitcnt vmcnt(1)
	v_cvt_f32_f16_e32 v2, v2
	v_pk_mov_b32 v[24:25], v[8:9], v[8:9] op_sel:[0,1]
	v_pk_mov_b32 v[22:23], v[6:7], v[6:7] op_sel:[0,1]
	;; [unrolled: 1-line block ×4, first 2 shown]
	s_waitcnt vmcnt(0)
	v_cvt_f32_f16_e32 v10, v10
	s_or_b64 exec, exec, s[10:11]
	s_and_saveexec_b64 s[10:11], s[2:3]
	s_cbranch_execz .LBB86_34
.LBB86_41:                              ;   in Loop: Header=BB86_5 Depth=1
	v_add_co_u32_e32 v4, vcc, v56, v30
	v_addc_co_u32_e32 v5, vcc, v55, v31, vcc
	global_load_ushort v2, v[4:5], off
	v_add_co_u32_e32 v4, vcc, v58, v30
	v_addc_co_u32_e32 v5, vcc, v57, v31, vcc
	global_load_ushort v4, v[4:5], off
	s_waitcnt vmcnt(1)
	v_cvt_f32_f16_e32 v19, v2
	s_waitcnt vmcnt(0)
	v_cvt_f32_f16_e32 v11, v4
	s_or_b64 exec, exec, s[10:11]
	s_and_saveexec_b64 s[10:11], s[2:3]
	s_cbranch_execz .LBB86_35
.LBB86_42:                              ;   in Loop: Header=BB86_5 Depth=1
	v_add_co_u32_e32 v4, vcc, v52, v30
	v_addc_co_u32_e32 v5, vcc, v51, v31, vcc
	global_load_ushort v2, v[4:5], off
	v_add_co_u32_e32 v4, vcc, v54, v30
	v_addc_co_u32_e32 v5, vcc, v53, v31, vcc
	global_load_ushort v4, v[4:5], off
	s_waitcnt vmcnt(1)
	v_cvt_f32_f16_e32 v20, v2
	s_waitcnt vmcnt(0)
	v_cvt_f32_f16_e32 v12, v4
	s_or_b64 exec, exec, s[10:11]
	s_and_saveexec_b64 s[10:11], s[2:3]
	s_cbranch_execz .LBB86_36
.LBB86_43:                              ;   in Loop: Header=BB86_5 Depth=1
	v_add_co_u32_e32 v4, vcc, v48, v30
	v_addc_co_u32_e32 v5, vcc, v47, v31, vcc
	global_load_ushort v2, v[4:5], off
	v_add_co_u32_e32 v4, vcc, v50, v30
	v_addc_co_u32_e32 v5, vcc, v49, v31, vcc
	global_load_ushort v4, v[4:5], off
	s_waitcnt vmcnt(1)
	v_cvt_f32_f16_e32 v21, v2
	s_waitcnt vmcnt(0)
	v_cvt_f32_f16_e32 v13, v4
	s_or_b64 exec, exec, s[10:11]
	s_and_saveexec_b64 s[10:11], s[2:3]
	s_cbranch_execz .LBB86_37
.LBB86_44:                              ;   in Loop: Header=BB86_5 Depth=1
	v_add_co_u32_e32 v4, vcc, v44, v30
	v_addc_co_u32_e32 v5, vcc, v43, v31, vcc
	global_load_ushort v2, v[4:5], off
	v_add_co_u32_e32 v4, vcc, v46, v30
	v_addc_co_u32_e32 v5, vcc, v45, v31, vcc
	global_load_ushort v4, v[4:5], off
	s_waitcnt vmcnt(1)
	v_cvt_f32_f16_e32 v22, v2
	s_waitcnt vmcnt(0)
	v_cvt_f32_f16_e32 v14, v4
	s_or_b64 exec, exec, s[10:11]
	s_and_saveexec_b64 s[10:11], s[2:3]
	s_cbranch_execz .LBB86_38
.LBB86_45:                              ;   in Loop: Header=BB86_5 Depth=1
	v_add_co_u32_e32 v4, vcc, v40, v30
	v_addc_co_u32_e32 v5, vcc, v39, v31, vcc
	global_load_ushort v2, v[4:5], off
	v_add_co_u32_e32 v4, vcc, v42, v30
	v_addc_co_u32_e32 v5, vcc, v41, v31, vcc
	global_load_ushort v4, v[4:5], off
	s_waitcnt vmcnt(1)
	v_cvt_f32_f16_e32 v23, v2
	s_waitcnt vmcnt(0)
	v_cvt_f32_f16_e32 v15, v4
	s_or_b64 exec, exec, s[10:11]
	s_and_saveexec_b64 s[10:11], s[2:3]
	s_cbranch_execz .LBB86_39
.LBB86_46:                              ;   in Loop: Header=BB86_5 Depth=1
	v_add_co_u32_e32 v4, vcc, v36, v30
	v_addc_co_u32_e32 v5, vcc, v35, v31, vcc
	global_load_ushort v2, v[4:5], off
	v_add_co_u32_e32 v4, vcc, v38, v30
	v_addc_co_u32_e32 v5, vcc, v37, v31, vcc
	global_load_ushort v4, v[4:5], off
	s_waitcnt vmcnt(1)
	v_cvt_f32_f16_e32 v24, v2
	s_waitcnt vmcnt(0)
	v_cvt_f32_f16_e32 v16, v4
	s_or_b64 exec, exec, s[10:11]
	s_and_saveexec_b64 s[10:11], s[2:3]
	s_cbranch_execz .LBB86_3
.LBB86_47:                              ;   in Loop: Header=BB86_5 Depth=1
	v_add_co_u32_e32 v4, vcc, v32, v30
	v_addc_co_u32_e32 v5, vcc, v29, v31, vcc
	global_load_ushort v2, v[4:5], off
	v_add_co_u32_e32 v4, vcc, v34, v30
	v_addc_co_u32_e32 v5, vcc, v33, v31, vcc
	global_load_ushort v4, v[4:5], off
	s_waitcnt vmcnt(1)
	v_cvt_f32_f16_e32 v25, v2
	s_waitcnt vmcnt(0)
	v_cvt_f32_f16_e32 v17, v4
	s_branch .LBB86_3
.LBB86_48:
                                        ; implicit-def: $vgpr27
	s_branch .LBB86_50
.LBB86_49:
	s_cbranch_execnz .LBB86_81
.LBB86_50:
	v_mov_b32_e32 v27, 0
	s_mov_b32 s20, 0
	s_and_b64 vcc, exec, s[0:1]
	v_mov_b32_e32 v26, v27
	s_cbranch_vccnz .LBB86_81
; %bb.51:
	v_bfe_u32 v89, v0, 10, 10
	s_add_u32 s2, s4, 64
	s_addc_u32 s3, s5, 0
	v_lshlrev_b32_e32 v1, 4, v89
	s_lshl_b64 s[0:1], s[34:35], 1
	v_mov_b32_e32 v2, s1
	v_add_co_u32_e32 v1, vcc, s0, v1
	v_addc_co_u32_e32 v4, vcc, 0, v2, vcc
	v_add_co_u32_e32 v6, vcc, 2, v1
	v_addc_co_u32_e32 v5, vcc, 0, v4, vcc
	v_add_co_u32_e32 v9, vcc, 4, v1
	v_mul_lo_u32 v7, s14, v5
	v_addc_co_u32_e32 v5, vcc, 0, v4, vcc
	v_add_co_u32_e32 v12, vcc, 6, v1
	v_mul_lo_u32 v10, s14, v5
	;; [unrolled: 3-line block ×5, first 2 shown]
	v_addc_co_u32_e32 v5, vcc, 0, v4, vcc
	v_add_co_u32_e32 v24, vcc, 14, v1
	v_lshlrev_b32_e32 v28, 3, v89
	v_addc_co_u32_e32 v1, vcc, 0, v4, vcc
	v_mul_lo_u32 v25, s14, v1
	v_mov_b32_e32 v1, s35
	v_add_co_u32_e32 v27, vcc, s34, v28
	v_pk_mov_b32 v[2:3], s[16:17], s[16:17] op_sel:[0,1]
	v_addc_co_u32_e32 v45, vcc, 0, v1, vcc
	v_mad_u64_u32 v[30:31], s[0:1], s14, v6, v[2:3]
	v_mad_u64_u32 v[32:33], s[0:1], s14, v9, v[2:3]
	;; [unrolled: 1-line block ×7, first 2 shown]
	v_mul_lo_u32 v61, s15, v27
	v_mul_lo_u32 v62, s14, v45
	v_mad_u64_u32 v[2:3], s[0:1], s14, v27, 0
	v_add3_u32 v3, v3, v62, v61
	v_lshlrev_b64 v[2:3], 1, v[2:3]
	v_mul_lo_u32 v22, s14, v5
	v_mov_b32_e32 v83, s17
	v_add_co_u32_e32 v44, vcc, s16, v2
	v_pk_mov_b32 v[4:5], s[18:19], s[18:19] op_sel:[0,1]
	v_mul_lo_u32 v17, s15, v15
	v_addc_co_u32_e32 v1, vcc, v83, v3, vcc
	v_mad_u64_u32 v[52:53], s[0:1], s14, v15, v[4:5]
	v_add3_u32 v37, v17, v37, v16
	v_add3_u32 v53, v17, v53, v16
	v_mov_b32_e32 v16, s19
	v_add_co_u32_e32 v60, vcc, s18, v2
	v_addc_co_u32_e32 v29, vcc, v16, v3, vcc
	v_add_co_u32_e32 v2, vcc, 7, v27
	v_addc_co_u32_e32 v3, vcc, 0, v45, vcc
	v_mad_u64_u32 v[46:47], s[0:1], s14, v6, v[4:5]
	v_mad_u64_u32 v[48:49], s[0:1], s14, v9, v[4:5]
	;; [unrolled: 1-line block ×6, first 2 shown]
	v_mul_lo_u32 v4, s15, v2
	v_mul_lo_u32 v5, s14, v3
	v_mad_u64_u32 v[2:3], s[0:1], s14, v2, 0
	v_add3_u32 v3, v3, v5, v4
	v_add_co_u32_e32 v4, vcc, 6, v27
	v_mul_lo_u32 v8, s15, v6
	v_addc_co_u32_e32 v5, vcc, 0, v45, vcc
	v_add3_u32 v31, v8, v31, v7
	v_add3_u32 v47, v8, v47, v7
	v_mul_lo_u32 v6, s15, v4
	v_mul_lo_u32 v7, s14, v5
	v_mad_u64_u32 v[4:5], s[0:1], s14, v4, 0
	v_add3_u32 v5, v5, v7, v6
	v_add_co_u32_e32 v6, vcc, 5, v27
	v_addc_co_u32_e32 v7, vcc, 0, v45, vcc
	v_mul_lo_u32 v11, s15, v9
	v_mul_lo_u32 v8, s15, v6
	;; [unrolled: 1-line block ×3, first 2 shown]
	v_mad_u64_u32 v[6:7], s[0:1], s14, v6, 0
	v_add3_u32 v7, v7, v9, v8
	v_add_co_u32_e32 v8, vcc, 4, v27
	v_addc_co_u32_e32 v9, vcc, 0, v45, vcc
	v_add3_u32 v33, v11, v33, v10
	v_add3_u32 v49, v11, v49, v10
	v_mul_lo_u32 v10, s15, v8
	v_mul_lo_u32 v11, s14, v9
	v_mad_u64_u32 v[8:9], s[0:1], s14, v8, 0
	v_add3_u32 v9, v9, v11, v10
	v_add_co_u32_e32 v10, vcc, 3, v27
	v_mul_lo_u32 v14, s15, v12
	v_addc_co_u32_e32 v11, vcc, 0, v45, vcc
	v_add3_u32 v35, v14, v35, v13
	v_add3_u32 v51, v14, v51, v13
	v_mul_lo_u32 v12, s15, v10
	v_mul_lo_u32 v13, s14, v11
	v_mad_u64_u32 v[10:11], s[0:1], s14, v10, 0
	v_add3_u32 v11, v11, v13, v12
	v_add_co_u32_e32 v12, vcc, 2, v27
	v_addc_co_u32_e32 v13, vcc, 0, v45, vcc
	v_mul_lo_u32 v14, s15, v12
	v_mul_lo_u32 v15, s14, v13
	v_mad_u64_u32 v[12:13], s[0:1], s14, v12, 0
	v_add3_u32 v13, v13, v15, v14
	v_pk_mov_b32 v[14:15], s[14:15], s[14:15] op_sel:[0,1]
	v_lshlrev_b64 v[2:3], 1, v[2:3]
	v_mad_u64_u32 v[14:15], s[0:1], s14, v27, v[14:15]
	v_add3_u32 v15, v61, v15, v62
	v_add_co_u32_e32 v62, vcc, s16, v2
	v_addc_co_u32_e32 v45, vcc, v83, v3, vcc
	v_add_co_u32_e32 v64, vcc, s18, v2
	v_addc_co_u32_e32 v61, vcc, v16, v3, vcc
	v_lshlrev_b64 v[2:3], 1, v[4:5]
	v_add_co_u32_e32 v66, vcc, s16, v2
	v_addc_co_u32_e32 v63, vcc, v83, v3, vcc
	v_add_co_u32_e32 v68, vcc, s18, v2
	v_addc_co_u32_e32 v65, vcc, v16, v3, vcc
	v_lshlrev_b64 v[2:3], 1, v[6:7]
	v_add_co_u32_e32 v70, vcc, s16, v2
	v_addc_co_u32_e32 v67, vcc, v83, v3, vcc
	v_add_co_u32_e32 v72, vcc, s18, v2
	v_addc_co_u32_e32 v69, vcc, v16, v3, vcc
	v_lshlrev_b64 v[2:3], 1, v[8:9]
	v_add_co_u32_e32 v74, vcc, s16, v2
	v_addc_co_u32_e32 v71, vcc, v83, v3, vcc
	v_add_co_u32_e32 v76, vcc, s18, v2
	v_addc_co_u32_e32 v73, vcc, v16, v3, vcc
	v_lshlrev_b64 v[2:3], 1, v[10:11]
	v_add_co_u32_e32 v78, vcc, s16, v2
	v_addc_co_u32_e32 v75, vcc, v83, v3, vcc
	v_add_co_u32_e32 v80, vcc, s18, v2
	v_addc_co_u32_e32 v77, vcc, v16, v3, vcc
	v_lshlrev_b64 v[2:3], 1, v[12:13]
	v_add_co_u32_e32 v82, vcc, s16, v2
	v_addc_co_u32_e32 v79, vcc, v83, v3, vcc
	s_load_dword s0, s[4:5], 0x44
	v_add_co_u32_e32 v84, vcc, s18, v2
	v_addc_co_u32_e32 v81, vcc, v16, v3, vcc
	v_lshlrev_b64 v[2:3], 1, v[14:15]
	v_add_co_u32_e32 v86, vcc, s16, v2
	v_addc_co_u32_e32 v83, vcc, v83, v3, vcc
	v_and_b32_e32 v96, 0x3ff, v0
	v_add_co_u32_e32 v88, vcc, s18, v2
	v_add_u32_e32 v2, s7, v96
	s_waitcnt lgkmcnt(0)
	s_lshl_b32 s7, s0, 3
	v_mbcnt_lo_u32_b32 v4, -1, 0
	s_mul_i32 s0, s15, s7
	s_mul_hi_u32 s1, s14, s7
	v_mbcnt_hi_u32_b32 v4, -1, v4
	v_mul_lo_u32 v20, s15, v18
	v_mul_lo_u32 v23, s15, v21
	v_mul_lo_u32 v26, s15, v24
	v_addc_co_u32_e32 v85, vcc, v16, v3, vcc
	v_mov_b32_e32 v3, 0
	s_add_i32 s1, s1, s0
	s_mul_i32 s0, s14, s7
	v_lshlrev_b32_e32 v4, 2, v4
	v_add3_u32 v39, v20, v39, v19
	v_add3_u32 v41, v23, v41, v22
	;; [unrolled: 1-line block ×6, first 2 shown]
	s_mov_b32 s9, s20
	s_lshl_b64 s[10:11], s[0:1], 1
	s_mov_b64 s[16:17], 7
	v_and_b32_e32 v97, 0x100, v4
	s_mov_b64 s[18:19], s[34:35]
	v_mov_b32_e32 v26, v3
	v_mov_b32_e32 v27, v3
	;; [unrolled: 1-line block ×3, first 2 shown]
	v_lshlrev_b64 v[90:91], 1, v[2:3]
	s_branch .LBB86_55
.LBB86_52:                              ;   in Loop: Header=BB86_55 Depth=1
	s_or_b64 exec, exec, s[22:23]
.LBB86_53:                              ;   in Loop: Header=BB86_55 Depth=1
	s_or_b64 exec, exec, s[0:1]
	v_add_co_u32_e32 v4, vcc, v44, v90
	v_addc_co_u32_e32 v5, vcc, v1, v91, vcc
	global_load_ushort v7, v[4:5], off
	v_add_co_u32_e32 v4, vcc, v60, v90
	v_addc_co_u32_e32 v5, vcc, v29, v91, vcc
	global_load_ushort v8, v[4:5], off
	;; [unrolled: 3-line block ×16, first 2 shown]
	s_waitcnt vmcnt(16)
	ds_bpermute_b32 v24, v97, v2 offset:8
	s_waitcnt vmcnt(15)
	v_cvt_f32_f16_e32 v4, v7
	s_waitcnt vmcnt(14)
	v_cvt_f32_f16_e32 v7, v8
	;; [unrolled: 2-line block ×13, first 2 shown]
	ds_bpermute_b32 v19, v97, v6
	s_waitcnt vmcnt(2)
	v_cvt_f32_f16_e32 v22, v20
	s_waitcnt vmcnt(1)
	v_cvt_f32_f16_e32 v20, v21
	ds_bpermute_b32 v21, v97, v2
	s_waitcnt vmcnt(0)
	v_cvt_f32_f16_e32 v23, v5
	s_waitcnt lgkmcnt(1)
	v_sub_f32_e32 v5, v7, v19
	ds_bpermute_b32 v7, v97, v6 offset:4
	v_mul_f32_e32 v5, v5, v4
	s_waitcnt lgkmcnt(1)
	v_mul_f32_e32 v5, v5, v21
	ds_bpermute_b32 v19, v97, v2 offset:4
	ds_bpermute_b32 v21, v97, v6 offset:8
	s_waitcnt lgkmcnt(2)
	v_sub_f32_e32 v7, v9, v7
	v_mul_f32_e32 v7, v7, v8
	v_pk_add_f32 v[4:5], v[92:93], v[4:5]
	s_waitcnt lgkmcnt(1)
	v_mul_f32_e32 v9, v7, v19
	s_waitcnt lgkmcnt(0)
	v_sub_f32_e32 v7, v11, v21
	ds_bpermute_b32 v19, v97, v6 offset:12
	v_mul_f32_e32 v7, v7, v10
	v_mul_f32_e32 v11, v7, v24
	ds_bpermute_b32 v7, v97, v2 offset:12
	ds_bpermute_b32 v21, v97, v6 offset:16
	s_waitcnt lgkmcnt(2)
	v_sub_f32_e32 v13, v13, v19
	ds_bpermute_b32 v19, v97, v2 offset:16
	v_mul_f32_e32 v13, v13, v12
	s_waitcnt lgkmcnt(2)
	v_mul_f32_e32 v13, v13, v7
	s_waitcnt lgkmcnt(1)
	v_sub_f32_e32 v7, v15, v21
	ds_bpermute_b32 v21, v97, v6 offset:20
	v_mul_f32_e32 v7, v7, v14
	s_waitcnt lgkmcnt(1)
	v_mul_f32_e32 v15, v7, v19
	ds_bpermute_b32 v7, v97, v2 offset:20
	ds_bpermute_b32 v19, v97, v6 offset:24
	;; [unrolled: 1-line block ×3, first 2 shown]
	s_waitcnt lgkmcnt(3)
	v_sub_f32_e32 v17, v17, v21
	ds_bpermute_b32 v21, v97, v2 offset:24
	v_pk_add_f32 v[4:5], v[4:5], v[8:9]
	ds_bpermute_b32 v2, v97, v2 offset:28
	v_mul_f32_e32 v17, v17, v16
	v_pk_add_f32 v[4:5], v[4:5], v[10:11]
	s_waitcnt lgkmcnt(4)
	v_mul_f32_e32 v17, v17, v7
	s_waitcnt lgkmcnt(3)
	v_sub_f32_e32 v7, v22, v19
	v_pk_add_f32 v[4:5], v[4:5], v[12:13]
	v_mul_f32_e32 v7, v7, v18
	v_pk_add_f32 v[4:5], v[4:5], v[14:15]
	s_waitcnt lgkmcnt(2)
	v_sub_f32_e32 v6, v23, v6
	s_waitcnt lgkmcnt(1)
	v_mul_f32_e32 v19, v7, v21
	v_pk_add_f32 v[4:5], v[4:5], v[16:17]
	v_mul_f32_e32 v6, v6, v20
	v_pk_add_f32 v[4:5], v[4:5], v[18:19]
	s_waitcnt lgkmcnt(0)
	v_mul_f32_e32 v21, v6, v2
	v_pk_add_f32 v[26:27], v[4:5], v[20:21]
.LBB86_54:                              ;   in Loop: Header=BB86_55 Depth=1
	v_mov_b32_e32 v2, s9
	v_add_co_u32_e32 v28, vcc, s7, v28
	v_addc_co_u32_e32 v87, vcc, v87, v2, vcc
	v_mov_b32_e32 v2, s11
	v_add_co_u32_e32 v30, vcc, s10, v30
	v_addc_co_u32_e32 v31, vcc, v31, v2, vcc
	v_add_co_u32_e32 v32, vcc, s10, v32
	v_addc_co_u32_e32 v33, vcc, v33, v2, vcc
	;; [unrolled: 2-line block ×29, first 2 shown]
	s_add_u32 s18, s18, s7
	v_add_co_u32_e32 v88, vcc, s10, v88
	s_addc_u32 s19, s19, 0
	v_addc_co_u32_e32 v85, vcc, v85, v2, vcc
	v_pk_mov_b32 v[4:5], s[12:13], s[12:13] op_sel:[0,1]
	s_add_u32 s16, s16, s7
	v_cmp_ge_i64_e32 vcc, s[18:19], v[4:5]
	s_addc_u32 s17, s17, 0
	s_cbranch_vccnz .LBB86_81
.LBB86_55:                              ; =>This Inner Loop Header: Depth=1
	s_add_u32 s0, s34, s16
	s_addc_u32 s1, 0, s17
	v_pk_mov_b32 v[4:5], s[12:13], s[12:13] op_sel:[0,1]
	v_cmp_ge_i64_e32 vcc, s[0:1], v[4:5]
	v_mov_b32_e32 v2, s35
	v_add_co_u32_e64 v94, s[0:1], s34, v28
	v_mov_b32_e32 v92, v26
	v_mov_b32_e32 v93, v27
	v_addc_co_u32_e64 v95, s[0:1], v2, v87, s[0:1]
	s_cbranch_vccz .LBB86_77
; %bb.56:                               ;   in Loop: Header=BB86_55 Depth=1
	s_load_dword s0, s[2:3], 0xc
	v_mov_b32_e32 v26, 0
	v_mov_b32_e32 v27, 0
	s_waitcnt lgkmcnt(0)
	s_and_b32 s0, s0, 0xffff
	v_mad_u32_u24 v2, v89, s0, v96
	v_and_b32_e32 v2, 63, v2
	v_cmp_gt_u32_e32 vcc, 8, v2
	s_and_saveexec_b64 s[0:1], vcc
	s_cbranch_execz .LBB86_60
; %bb.57:                               ;   in Loop: Header=BB86_55 Depth=1
	v_add_co_u32_e32 v4, vcc, v94, v2
	v_addc_co_u32_e32 v5, vcc, 0, v95, vcc
	v_cmp_gt_i64_e32 vcc, s[12:13], v[4:5]
	v_mov_b32_e32 v27, 0
	v_mov_b32_e32 v26, 0
	s_and_saveexec_b64 s[22:23], vcc
	s_cbranch_execz .LBB86_59
; %bb.58:                               ;   in Loop: Header=BB86_55 Depth=1
	v_lshlrev_b64 v[4:5], 2, v[4:5]
	v_mov_b32_e32 v2, s31
	v_add_co_u32_e32 v6, vcc, s30, v4
	v_addc_co_u32_e32 v7, vcc, v2, v5, vcc
	v_mov_b32_e32 v2, s29
	v_add_co_u32_e32 v4, vcc, s28, v4
	v_addc_co_u32_e32 v5, vcc, v2, v5, vcc
	global_load_dword v27, v[4:5], off
	global_load_dword v26, v[6:7], off
.LBB86_59:                              ;   in Loop: Header=BB86_55 Depth=1
	s_or_b64 exec, exec, s[22:23]
.LBB86_60:                              ;   in Loop: Header=BB86_55 Depth=1
	s_or_b64 exec, exec, s[0:1]
	s_mov_b32 s21, s20
	s_mov_b32 s22, s20
	;; [unrolled: 1-line block ×7, first 2 shown]
	v_pk_mov_b32 v[10:11], s[20:21], s[20:21] op_sel:[0,1]
	v_pk_mov_b32 v[16:17], s[26:27], s[26:27] op_sel:[0,1]
	;; [unrolled: 1-line block ×5, first 2 shown]
	v_cmp_gt_i64_e32 vcc, s[12:13], v[94:95]
	v_pk_mov_b32 v[22:23], v[14:15], v[14:15] op_sel:[0,1]
	v_pk_mov_b32 v[20:21], v[12:13], v[12:13] op_sel:[0,1]
	;; [unrolled: 1-line block ×3, first 2 shown]
	s_and_saveexec_b64 s[0:1], vcc
	s_cbranch_execz .LBB86_62
; %bb.61:                               ;   in Loop: Header=BB86_55 Depth=1
	v_add_co_u32_e32 v4, vcc, v44, v90
	v_addc_co_u32_e32 v5, vcc, v1, v91, vcc
	global_load_ushort v2, v[4:5], off
	v_add_co_u32_e32 v4, vcc, v60, v90
	v_addc_co_u32_e32 v5, vcc, v29, v91, vcc
	global_load_ushort v10, v[4:5], off
	v_mov_b32_e32 v8, v3
	v_mov_b32_e32 v9, v3
	;; [unrolled: 1-line block ×13, first 2 shown]
	s_waitcnt vmcnt(1)
	v_cvt_f32_f16_e32 v2, v2
	v_pk_mov_b32 v[24:25], v[8:9], v[8:9] op_sel:[0,1]
	v_pk_mov_b32 v[22:23], v[6:7], v[6:7] op_sel:[0,1]
	;; [unrolled: 1-line block ×4, first 2 shown]
	s_waitcnt vmcnt(0)
	v_cvt_f32_f16_e32 v10, v10
.LBB86_62:                              ;   in Loop: Header=BB86_55 Depth=1
	s_or_b64 exec, exec, s[0:1]
	v_add_co_u32_e32 v4, vcc, 1, v94
	v_addc_co_u32_e32 v5, vcc, 0, v95, vcc
	v_cmp_gt_i64_e32 vcc, s[12:13], v[4:5]
	s_and_saveexec_b64 s[0:1], vcc
	s_cbranch_execz .LBB86_64
; %bb.63:                               ;   in Loop: Header=BB86_55 Depth=1
	v_add_co_u32_e32 v4, vcc, v86, v90
	v_addc_co_u32_e32 v5, vcc, v83, v91, vcc
	global_load_ushort v2, v[4:5], off
	v_add_co_u32_e32 v4, vcc, v88, v90
	v_addc_co_u32_e32 v5, vcc, v85, v91, vcc
	global_load_ushort v4, v[4:5], off
	s_waitcnt vmcnt(1)
	v_cvt_f32_f16_e32 v19, v2
	s_waitcnt vmcnt(0)
	v_cvt_f32_f16_e32 v11, v4
.LBB86_64:                              ;   in Loop: Header=BB86_55 Depth=1
	s_or_b64 exec, exec, s[0:1]
	v_add_co_u32_e32 v4, vcc, 2, v94
	v_addc_co_u32_e32 v5, vcc, 0, v95, vcc
	v_cmp_gt_i64_e32 vcc, s[12:13], v[4:5]
	s_and_saveexec_b64 s[0:1], vcc
	s_cbranch_execz .LBB86_66
; %bb.65:                               ;   in Loop: Header=BB86_55 Depth=1
	v_add_co_u32_e32 v4, vcc, v82, v90
	v_addc_co_u32_e32 v5, vcc, v79, v91, vcc
	global_load_ushort v2, v[4:5], off
	v_add_co_u32_e32 v4, vcc, v84, v90
	v_addc_co_u32_e32 v5, vcc, v81, v91, vcc
	global_load_ushort v4, v[4:5], off
	s_waitcnt vmcnt(1)
	v_cvt_f32_f16_e32 v20, v2
	s_waitcnt vmcnt(0)
	v_cvt_f32_f16_e32 v12, v4
.LBB86_66:                              ;   in Loop: Header=BB86_55 Depth=1
	;; [unrolled: 18-line block ×7, first 2 shown]
	s_or_b64 exec, exec, s[0:1]
	s_waitcnt vmcnt(1)
	ds_bpermute_b32 v2, v97, v27
	s_waitcnt vmcnt(0)
	ds_bpermute_b32 v4, v97, v26
	ds_bpermute_b32 v7, v97, v27 offset:4
	ds_bpermute_b32 v6, v97, v26 offset:4
	;; [unrolled: 1-line block ×3, first 2 shown]
	s_waitcnt lgkmcnt(4)
	v_sub_f32_e32 v2, v10, v2
	v_mul_f32_e32 v2, v18, v2
	s_waitcnt lgkmcnt(3)
	v_mul_f32_e32 v5, v2, v4
	ds_bpermute_b32 v4, v97, v26 offset:8
	s_waitcnt lgkmcnt(3)
	v_sub_f32_e32 v2, v11, v7
	v_mul_f32_e32 v2, v19, v2
	s_waitcnt lgkmcnt(2)
	v_mul_f32_e32 v7, v2, v6
	s_waitcnt lgkmcnt(1)
	v_sub_f32_e32 v2, v12, v8
	ds_bpermute_b32 v6, v97, v27 offset:12
	v_mul_f32_e32 v2, v20, v2
	s_waitcnt lgkmcnt(1)
	v_mul_f32_e32 v9, v2, v4
	ds_bpermute_b32 v2, v97, v26 offset:12
	ds_bpermute_b32 v4, v97, v27 offset:16
	;; [unrolled: 1-line block ×3, first 2 shown]
	s_waitcnt lgkmcnt(3)
	v_sub_f32_e32 v6, v13, v6
	v_mul_f32_e32 v6, v21, v6
	s_waitcnt lgkmcnt(2)
	v_mul_f32_e32 v11, v6, v2
	s_waitcnt lgkmcnt(1)
	v_sub_f32_e32 v2, v14, v4
	ds_bpermute_b32 v4, v97, v27 offset:20
	v_mul_f32_e32 v2, v22, v2
	s_waitcnt lgkmcnt(1)
	v_mul_f32_e32 v13, v2, v8
	ds_bpermute_b32 v2, v97, v26 offset:20
	ds_bpermute_b32 v6, v97, v27 offset:24
	;; [unrolled: 1-line block ×3, first 2 shown]
	s_waitcnt lgkmcnt(3)
	v_sub_f32_e32 v4, v15, v4
	v_mul_f32_e32 v4, v23, v4
	s_waitcnt lgkmcnt(2)
	v_mul_f32_e32 v15, v4, v2
	s_waitcnt lgkmcnt(1)
	v_sub_f32_e32 v2, v16, v6
	v_mul_f32_e32 v2, v24, v2
	s_waitcnt lgkmcnt(0)
	v_mul_f32_e32 v99, v2, v8
	v_mov_b32_e32 v4, v18
	ds_bpermute_b32 v2, v97, v27 offset:28
	v_pk_add_f32 v[4:5], v[92:93], v[4:5]
	v_mov_b32_e32 v6, v19
	v_pk_add_f32 v[4:5], v[6:7], v[4:5]
	v_mov_b32_e32 v8, v20
	ds_bpermute_b32 v6, v97, v26 offset:28
	v_pk_add_f32 v[4:5], v[8:9], v[4:5]
	v_mov_b32_e32 v10, v21
	v_pk_add_f32 v[4:5], v[10:11], v[4:5]
	v_mov_b32_e32 v12, v22
	v_pk_add_f32 v[4:5], v[12:13], v[4:5]
	v_mov_b32_e32 v14, v23
	s_waitcnt lgkmcnt(1)
	v_sub_f32_e32 v2, v17, v2
	v_pk_add_f32 v[4:5], v[14:15], v[4:5]
	v_mov_b32_e32 v98, v24
	v_mul_f32_e32 v2, v25, v2
	v_pk_add_f32 v[4:5], v[98:99], v[4:5]
	s_waitcnt lgkmcnt(0)
	v_mul_f32_e32 v7, v2, v6
	v_mov_b32_e32 v6, v25
	v_pk_add_f32 v[26:27], v[6:7], v[4:5]
	s_branch .LBB86_54
.LBB86_77:                              ;   in Loop: Header=BB86_55 Depth=1
                                        ; implicit-def: $vgpr27
	s_cbranch_execz .LBB86_54
; %bb.78:                               ;   in Loop: Header=BB86_55 Depth=1
	s_load_dword s0, s[2:3], 0x0
	v_mov_b32_e32 v2, 0
	v_mov_b32_e32 v6, 0
	s_waitcnt lgkmcnt(0)
	s_cmp_lt_u32 s6, s0
	s_cselect_b32 s0, 12, 18
	s_add_u32 s0, s2, s0
	s_addc_u32 s1, s3, 0
	global_load_ushort v4, v3, s[0:1]
	s_waitcnt vmcnt(0)
	v_mad_u32_u24 v4, v89, v4, v96
	v_and_b32_e32 v4, 63, v4
	v_cmp_gt_u32_e32 vcc, 8, v4
	s_and_saveexec_b64 s[0:1], vcc
	s_cbranch_execz .LBB86_53
; %bb.79:                               ;   in Loop: Header=BB86_55 Depth=1
	v_add_co_u32_e32 v4, vcc, v94, v4
	v_addc_co_u32_e32 v5, vcc, 0, v95, vcc
	v_cmp_gt_i64_e32 vcc, s[12:13], v[4:5]
	v_mov_b32_e32 v6, 0
	v_mov_b32_e32 v2, 0
	s_and_saveexec_b64 s[22:23], vcc
	s_cbranch_execz .LBB86_52
; %bb.80:                               ;   in Loop: Header=BB86_55 Depth=1
	v_lshlrev_b64 v[4:5], 2, v[4:5]
	v_mov_b32_e32 v2, s31
	v_add_co_u32_e32 v8, vcc, s30, v4
	v_addc_co_u32_e32 v9, vcc, v2, v5, vcc
	v_mov_b32_e32 v2, s29
	v_add_co_u32_e32 v4, vcc, s28, v4
	v_addc_co_u32_e32 v5, vcc, v2, v5, vcc
	global_load_dword v6, v[4:5], off
	global_load_dword v2, v[8:9], off
	s_branch .LBB86_52
.LBB86_81:
	s_mov_b32 s7, 0
	s_lshl_b64 s[0:1], s[6:7], 5
	v_and_b32_e32 v1, 0x3ff, v0
	v_or_b32_e32 v4, s0, v1
	v_mov_b32_e32 v5, s1
	v_cmp_gt_i64_e32 vcc, s[14:15], v[4:5]
	s_and_saveexec_b64 s[0:1], vcc
	s_cbranch_execz .LBB86_86
; %bb.82:
	s_load_dword s6, s[4:5], 0x4c
	s_load_dwordx4 s[0:3], s[4:5], 0x30
	v_bfe_u32 v0, v0, 10, 10
	v_mov_b32_e32 v1, 0
	v_mov_b32_e32 v2, s8
	s_waitcnt lgkmcnt(0)
	s_lshr_b32 s4, s6, 16
	v_mad_u64_u32 v[2:3], s[4:5], s4, v2, v[0:1]
	s_cmp_eq_u64 s[0:1], 0
	v_mul_lo_u32 v3, v3, s14
	v_mul_lo_u32 v6, v2, s15
	v_lshlrev_b64 v[0:1], 1, v[4:5]
	s_cbranch_scc1 .LBB86_84
; %bb.83:
	v_mad_u64_u32 v[4:5], s[4:5], v2, s14, 0
	v_add3_u32 v5, v5, v6, v3
	v_lshlrev_b64 v[4:5], 1, v[4:5]
	v_cvt_f16_f32_e32 v7, v27
	v_mov_b32_e32 v8, s1
	v_add_co_u32_e32 v4, vcc, s0, v4
	v_addc_co_u32_e32 v5, vcc, v8, v5, vcc
	v_add_co_u32_e32 v4, vcc, v4, v0
	v_addc_co_u32_e32 v5, vcc, v5, v1, vcc
	global_store_short v[4:5], v7, off
.LBB86_84:
	s_cmp_eq_u64 s[2:3], 0
	s_cbranch_scc1 .LBB86_86
; %bb.85:
	v_mad_u64_u32 v[4:5], s[0:1], v2, s14, 0
	v_add3_u32 v5, v5, v6, v3
	v_lshlrev_b64 v[2:3], 1, v[4:5]
	v_cvt_f16_f32_e32 v7, v26
	v_mov_b32_e32 v4, s3
	v_add_co_u32_e32 v2, vcc, s2, v2
	v_addc_co_u32_e32 v3, vcc, v4, v3, vcc
	v_add_co_u32_e32 v0, vcc, v2, v0
	v_addc_co_u32_e32 v1, vcc, v3, v1, vcc
	global_store_short v[0:1], v7, off
.LBB86_86:
	s_endpgm
	.section	.rodata,"a",@progbits
	.p2align	6, 0x0
	.amdhsa_kernel _ZN2at6native12_GLOBAL__N_135GammaBetaBackwardCUDAKernelTemplateIN3c104HalfEfLj32ELj1ELj8ELb1ELb0ELb0EEEvllPKT_S7_PKT0_SA_PS5_SB_
		.amdhsa_group_segment_fixed_size 0
		.amdhsa_private_segment_fixed_size 0
		.amdhsa_kernarg_size 320
		.amdhsa_user_sgpr_count 6
		.amdhsa_user_sgpr_private_segment_buffer 1
		.amdhsa_user_sgpr_dispatch_ptr 0
		.amdhsa_user_sgpr_queue_ptr 0
		.amdhsa_user_sgpr_kernarg_segment_ptr 1
		.amdhsa_user_sgpr_dispatch_id 0
		.amdhsa_user_sgpr_flat_scratch_init 0
		.amdhsa_user_sgpr_kernarg_preload_length 0
		.amdhsa_user_sgpr_kernarg_preload_offset 0
		.amdhsa_user_sgpr_private_segment_size 0
		.amdhsa_uses_dynamic_stack 0
		.amdhsa_system_sgpr_private_segment_wavefront_offset 0
		.amdhsa_system_sgpr_workgroup_id_x 1
		.amdhsa_system_sgpr_workgroup_id_y 1
		.amdhsa_system_sgpr_workgroup_id_z 0
		.amdhsa_system_sgpr_workgroup_info 0
		.amdhsa_system_vgpr_workitem_id 1
		.amdhsa_next_free_vgpr 100
		.amdhsa_next_free_sgpr 46
		.amdhsa_accum_offset 100
		.amdhsa_reserve_vcc 1
		.amdhsa_reserve_flat_scratch 0
		.amdhsa_float_round_mode_32 0
		.amdhsa_float_round_mode_16_64 0
		.amdhsa_float_denorm_mode_32 3
		.amdhsa_float_denorm_mode_16_64 3
		.amdhsa_dx10_clamp 1
		.amdhsa_ieee_mode 1
		.amdhsa_fp16_overflow 0
		.amdhsa_tg_split 0
		.amdhsa_exception_fp_ieee_invalid_op 0
		.amdhsa_exception_fp_denorm_src 0
		.amdhsa_exception_fp_ieee_div_zero 0
		.amdhsa_exception_fp_ieee_overflow 0
		.amdhsa_exception_fp_ieee_underflow 0
		.amdhsa_exception_fp_ieee_inexact 0
		.amdhsa_exception_int_div_zero 0
	.end_amdhsa_kernel
	.section	.text._ZN2at6native12_GLOBAL__N_135GammaBetaBackwardCUDAKernelTemplateIN3c104HalfEfLj32ELj1ELj8ELb1ELb0ELb0EEEvllPKT_S7_PKT0_SA_PS5_SB_,"axG",@progbits,_ZN2at6native12_GLOBAL__N_135GammaBetaBackwardCUDAKernelTemplateIN3c104HalfEfLj32ELj1ELj8ELb1ELb0ELb0EEEvllPKT_S7_PKT0_SA_PS5_SB_,comdat
.Lfunc_end86:
	.size	_ZN2at6native12_GLOBAL__N_135GammaBetaBackwardCUDAKernelTemplateIN3c104HalfEfLj32ELj1ELj8ELb1ELb0ELb0EEEvllPKT_S7_PKT0_SA_PS5_SB_, .Lfunc_end86-_ZN2at6native12_GLOBAL__N_135GammaBetaBackwardCUDAKernelTemplateIN3c104HalfEfLj32ELj1ELj8ELb1ELb0ELb0EEEvllPKT_S7_PKT0_SA_PS5_SB_
                                        ; -- End function
	.section	.AMDGPU.csdata,"",@progbits
; Kernel info:
; codeLenInByte = 7404
; NumSgprs: 50
; NumVgprs: 100
; NumAgprs: 0
; TotalNumVgprs: 100
; ScratchSize: 0
; MemoryBound: 0
; FloatMode: 240
; IeeeMode: 1
; LDSByteSize: 0 bytes/workgroup (compile time only)
; SGPRBlocks: 6
; VGPRBlocks: 12
; NumSGPRsForWavesPerEU: 50
; NumVGPRsForWavesPerEU: 100
; AccumOffset: 100
; Occupancy: 4
; WaveLimiterHint : 0
; COMPUTE_PGM_RSRC2:SCRATCH_EN: 0
; COMPUTE_PGM_RSRC2:USER_SGPR: 6
; COMPUTE_PGM_RSRC2:TRAP_HANDLER: 0
; COMPUTE_PGM_RSRC2:TGID_X_EN: 1
; COMPUTE_PGM_RSRC2:TGID_Y_EN: 1
; COMPUTE_PGM_RSRC2:TGID_Z_EN: 0
; COMPUTE_PGM_RSRC2:TIDIG_COMP_CNT: 1
; COMPUTE_PGM_RSRC3_GFX90A:ACCUM_OFFSET: 24
; COMPUTE_PGM_RSRC3_GFX90A:TG_SPLIT: 0
	.section	.text._ZN2at6native12_GLOBAL__N_135GammaBetaBackwardCUDAKernelTemplateIN3c104HalfEfLj32ELj8ELj64ELb0ELb1ELb0EEEvllPKT_S7_PKT0_SA_PS5_SB_,"axG",@progbits,_ZN2at6native12_GLOBAL__N_135GammaBetaBackwardCUDAKernelTemplateIN3c104HalfEfLj32ELj8ELj64ELb0ELb1ELb0EEEvllPKT_S7_PKT0_SA_PS5_SB_,comdat
	.globl	_ZN2at6native12_GLOBAL__N_135GammaBetaBackwardCUDAKernelTemplateIN3c104HalfEfLj32ELj8ELj64ELb0ELb1ELb0EEEvllPKT_S7_PKT0_SA_PS5_SB_ ; -- Begin function _ZN2at6native12_GLOBAL__N_135GammaBetaBackwardCUDAKernelTemplateIN3c104HalfEfLj32ELj8ELj64ELb0ELb1ELb0EEEvllPKT_S7_PKT0_SA_PS5_SB_
	.p2align	8
	.type	_ZN2at6native12_GLOBAL__N_135GammaBetaBackwardCUDAKernelTemplateIN3c104HalfEfLj32ELj8ELj64ELb0ELb1ELb0EEEvllPKT_S7_PKT0_SA_PS5_SB_,@function
_ZN2at6native12_GLOBAL__N_135GammaBetaBackwardCUDAKernelTemplateIN3c104HalfEfLj32ELj8ELj64ELb0ELb1ELb0EEEvllPKT_S7_PKT0_SA_PS5_SB_: ; @_ZN2at6native12_GLOBAL__N_135GammaBetaBackwardCUDAKernelTemplateIN3c104HalfEfLj32ELj8ELj64ELb0ELb1ELb0EEEvllPKT_S7_PKT0_SA_PS5_SB_
; %bb.0:
	s_load_dwordx4 s[20:23], s[4:5], 0x0
	s_lshl_b32 s2, s7, 6
	s_mov_b32 s3, 0
	v_bfe_u32 v12, v0, 10, 10
	s_waitcnt lgkmcnt(0)
	v_pk_mov_b32 v[2:3], s[20:21], s[20:21] op_sel:[0,1]
	v_cmp_lt_i64_e32 vcc, s[2:3], v[2:3]
	s_cbranch_vccnz .LBB87_2
; %bb.1:
	s_mov_b64 s[0:1], 0
	v_bfe_u32 v2, v0, 10, 10
	s_branch .LBB87_3
.LBB87_2:
	s_mov_b64 s[0:1], -1
                                        ; implicit-def: $vgpr2
.LBB87_3:
	s_load_dwordx4 s[16:19], s[4:5], 0x30
	v_and_b32_e32 v10, 0x3ff, v0
	s_andn2_b64 vcc, exec, s[0:1]
	v_mov_b32_e32 v1, s3
	v_mbcnt_lo_u32_b32 v11, -1, 0
	v_mov_b32_e32 v0, s3
	s_cbranch_vccnz .LBB87_11
; %bb.4:
	s_load_dword s0, s[4:5], 0x4c
	s_load_dword s7, s[4:5], 0x44
	s_load_dwordx8 s[8:15], s[4:5], 0x10
	v_mbcnt_hi_u32_b32 v4, -1, v11
	v_lshlrev_b32_e32 v2, 3, v12
	s_waitcnt lgkmcnt(0)
	s_and_b32 s0, s0, 0xffff
	v_lshlrev_b32_e32 v4, 2, v4
	v_mad_u32_u24 v0, v12, s0, v10
	v_and_b32_e32 v13, 0x100, v4
	v_mov_b32_e32 v4, s3
	v_add_co_u32_e32 v6, vcc, s2, v2
	v_and_b32_e32 v3, 63, v0
	v_addc_co_u32_e32 v7, vcc, 0, v4, vcc
	v_add_co_u32_e32 v2, vcc, v6, v3
	v_cmp_gt_u32_e64 s[0:1], 8, v3
	s_lshl_b32 s4, s7, 6
	v_addc_co_u32_e32 v3, vcc, 0, v7, vcc
	v_mul_lo_u32 v8, s23, v6
	v_mul_lo_u32 v9, s22, v7
	v_mad_u64_u32 v[6:7], s[26:27], s22, v6, 0
	v_mov_b32_e32 v1, 0
	v_lshl_add_u32 v0, s6, 5, v10
	v_add3_u32 v7, v7, v9, v8
	s_mul_i32 s7, s23, s4
	s_mul_hi_u32 s26, s22, s4
	s_mov_b32 s5, 0
	v_lshlrev_b64 v[6:7], 1, v[6:7]
	v_lshlrev_b64 v[8:9], 1, v[0:1]
	s_add_i32 s27, s26, s7
	s_mul_i32 s26, s22, s4
	s_lshl_b64 s[24:25], s[4:5], 2
	v_add_co_u32_e32 v6, vcc, v6, v8
	s_lshl_b64 s[26:27], s[26:27], 1
	s_lshl_b64 s[22:23], s[22:23], 1
	v_or_b32_e32 v14, 4, v13
	v_or_b32_e32 v15, 8, v13
	;; [unrolled: 1-line block ×7, first 2 shown]
	v_lshlrev_b64 v[4:5], 2, v[2:3]
	v_addc_co_u32_e32 v7, vcc, v7, v9, vcc
	v_mov_b32_e32 v21, s9
	v_mov_b32_e32 v22, s11
	;; [unrolled: 1-line block ×6, first 2 shown]
	v_pk_mov_b32 v[8:9], s[20:21], s[20:21] op_sel:[0,1]
	v_mov_b32_e32 v0, v1
	s_branch .LBB87_7
.LBB87_5:                               ;   in Loop: Header=BB87_7 Depth=1
	s_or_b64 exec, exec, s[30:31]
.LBB87_6:                               ;   in Loop: Header=BB87_7 Depth=1
	s_or_b64 exec, exec, s[28:29]
	v_add_co_u32_e32 v30, vcc, s8, v6
	v_addc_co_u32_e32 v31, vcc, v21, v7, vcc
	v_add_co_u32_e32 v32, vcc, s10, v6
	v_addc_co_u32_e32 v33, vcc, v22, v7, vcc
	global_load_ushort v29, v[30:31], off
	v_add_co_u32_e32 v30, vcc, s22, v30
	v_addc_co_u32_e32 v31, vcc, v31, v23, vcc
	global_load_ushort v34, v[32:33], off
	;; [unrolled: 3-line block ×13, first 2 shown]
	global_load_ushort v46, v[32:33], off
	v_add_co_u32_e32 v30, vcc, s22, v30
	v_addc_co_u32_e32 v31, vcc, v31, v23, vcc
	global_load_ushort v47, v[30:31], off
	v_add_co_u32_e32 v30, vcc, s22, v32
	v_addc_co_u32_e32 v31, vcc, v33, v23, vcc
	;; [unrolled: 3-line block ×3, first 2 shown]
	v_add_co_u32_e32 v2, vcc, s4, v2
	v_addc_co_u32_e32 v3, vcc, v3, v25, vcc
	s_waitcnt vmcnt(15)
	v_cvt_f32_f16_e32 v30, v29
	s_add_u32 s2, s2, s4
	v_add_co_u32_e32 v6, vcc, s26, v6
	s_addc_u32 s3, s3, 0
	s_waitcnt vmcnt(14)
	v_cvt_f32_f16_e32 v29, v34
	v_addc_co_u32_e32 v7, vcc, v7, v26, vcc
	v_cmp_lt_i64_e32 vcc, s[2:3], v[8:9]
	s_and_b64 vcc, exec, vcc
	s_waitcnt vmcnt(13)
	v_cvt_f32_f16_e32 v32, v35
	s_waitcnt vmcnt(12)
	v_cvt_f32_f16_e32 v33, v36
	;; [unrolled: 2-line block ×9, first 2 shown]
	ds_bpermute_b32 v43, v13, v28
	s_waitcnt vmcnt(4)
	v_cvt_f32_f16_e32 v41, v44
	s_waitcnt lgkmcnt(0)
	v_sub_f32_e32 v29, v29, v43
	ds_bpermute_b32 v43, v14, v28
	v_mul_f32_e32 v29, v29, v30
	s_waitcnt vmcnt(3)
	v_cvt_f32_f16_e32 v42, v45
	s_waitcnt vmcnt(2)
	v_cvt_f32_f16_e32 v45, v46
	ds_bpermute_b32 v46, v13, v27
	s_waitcnt lgkmcnt(1)
	v_sub_f32_e32 v33, v33, v43
	ds_bpermute_b32 v43, v15, v27
	v_mul_f32_e32 v33, v33, v32
	s_waitcnt vmcnt(1)
	v_cvt_f32_f16_e32 v44, v47
	s_waitcnt vmcnt(0)
	v_cvt_f32_f16_e32 v47, v31
	s_waitcnt lgkmcnt(1)
	v_mul_f32_e32 v31, v29, v46
	ds_bpermute_b32 v29, v14, v27
	ds_bpermute_b32 v46, v15, v28
	v_pk_add_f32 v[0:1], v[0:1], v[30:31]
	s_waitcnt lgkmcnt(1)
	v_mul_f32_e32 v33, v33, v29
	s_waitcnt lgkmcnt(0)
	v_sub_f32_e32 v29, v35, v46
	ds_bpermute_b32 v46, v16, v28
	v_mul_f32_e32 v29, v29, v34
	v_mul_f32_e32 v35, v29, v43
	ds_bpermute_b32 v29, v16, v27
	ds_bpermute_b32 v43, v17, v28
	s_waitcnt lgkmcnt(2)
	v_sub_f32_e32 v37, v37, v46
	ds_bpermute_b32 v46, v17, v27
	v_mul_f32_e32 v37, v37, v36
	s_waitcnt lgkmcnt(2)
	v_mul_f32_e32 v37, v37, v29
	s_waitcnt lgkmcnt(1)
	v_sub_f32_e32 v29, v39, v43
	ds_bpermute_b32 v43, v18, v28
	v_mul_f32_e32 v29, v29, v38
	s_waitcnt lgkmcnt(1)
	v_mul_f32_e32 v39, v29, v46
	ds_bpermute_b32 v29, v18, v27
	ds_bpermute_b32 v46, v19, v28
	ds_bpermute_b32 v28, v20, v28
	s_waitcnt lgkmcnt(3)
	v_sub_f32_e32 v41, v41, v43
	ds_bpermute_b32 v43, v19, v27
	v_pk_add_f32 v[0:1], v[0:1], v[32:33]
	ds_bpermute_b32 v27, v20, v27
	v_mul_f32_e32 v41, v41, v40
	v_pk_add_f32 v[0:1], v[0:1], v[34:35]
	s_waitcnt lgkmcnt(4)
	v_mul_f32_e32 v41, v41, v29
	s_waitcnt lgkmcnt(3)
	v_sub_f32_e32 v29, v45, v46
	v_pk_add_f32 v[0:1], v[0:1], v[36:37]
	v_mul_f32_e32 v29, v29, v42
	v_pk_add_f32 v[0:1], v[0:1], v[38:39]
	s_waitcnt lgkmcnt(2)
	v_sub_f32_e32 v28, v47, v28
	s_waitcnt lgkmcnt(1)
	v_mul_f32_e32 v43, v29, v43
	v_pk_add_f32 v[0:1], v[0:1], v[40:41]
	v_mul_f32_e32 v28, v28, v44
	v_pk_add_f32 v[0:1], v[0:1], v[42:43]
	s_waitcnt lgkmcnt(0)
	v_mul_f32_e32 v45, v28, v27
	v_pk_add_f32 v[0:1], v[0:1], v[44:45]
	s_cbranch_vccz .LBB87_10
.LBB87_7:                               ; =>This Inner Loop Header: Depth=1
	v_mov_b32_e32 v27, 0
	v_mov_b32_e32 v28, 0
	s_and_saveexec_b64 s[28:29], s[0:1]
	s_cbranch_execz .LBB87_6
; %bb.8:                                ;   in Loop: Header=BB87_7 Depth=1
	v_cmp_gt_i64_e32 vcc, s[20:21], v[2:3]
	v_mov_b32_e32 v28, 0
	v_mov_b32_e32 v27, 0
	s_and_saveexec_b64 s[30:31], vcc
	s_cbranch_execz .LBB87_5
; %bb.9:                                ;   in Loop: Header=BB87_7 Depth=1
	v_mov_b32_e32 v27, s15
	v_add_co_u32_e32 v30, vcc, s14, v4
	v_addc_co_u32_e32 v31, vcc, v27, v5, vcc
	v_mov_b32_e32 v27, s13
	v_add_co_u32_e32 v32, vcc, s12, v4
	v_addc_co_u32_e32 v33, vcc, v27, v5, vcc
	global_load_dword v28, v[32:33], off
	global_load_dword v27, v[30:31], off
	s_branch .LBB87_5
.LBB87_10:
	v_mov_b32_e32 v2, v12
.LBB87_11:
	v_mad_u32_u24 v3, v2, 33, v10
	v_lshl_add_u32 v4, v3, 2, 0
	ds_write_b32 v4, v1
	ds_write_b32 v4, v0 offset:1056
	v_sub_u32_e32 v0, v3, v2
	s_movk_i32 s0, 0x800
	s_mov_b32 s7, 0
	v_cmp_gt_u32_e32 vcc, s0, v0
	s_waitcnt lgkmcnt(0)
	s_barrier
	s_and_saveexec_b64 s[0:1], vcc
	s_cbranch_execz .LBB87_21
; %bb.12:
	v_lshrrev_b32_e32 v4, 6, v0
	v_and_b32_e32 v5, 63, v0
	v_mbcnt_hi_u32_b32 v0, -1, v11
	v_and_b32_e32 v1, 64, v0
	v_add_u32_e32 v1, 64, v1
	v_xor_b32_e32 v2, 4, v0
	v_cmp_lt_i32_e32 vcc, v2, v1
	v_cndmask_b32_e32 v2, v0, v2, vcc
	v_lshlrev_b32_e32 v6, 2, v2
	v_xor_b32_e32 v2, 2, v0
	v_cmp_lt_i32_e32 vcc, v2, v1
	v_cndmask_b32_e32 v2, v0, v2, vcc
	v_lshlrev_b32_e32 v7, 2, v2
	v_xor_b32_e32 v2, 1, v0
	s_cmp_lg_u64 s[16:17], 0
	v_cmp_lt_i32_e32 vcc, v2, v1
	s_cselect_b64 s[4:5], -1, 0
	s_cmp_lg_u64 s[18:19], 0
	v_cndmask_b32_e32 v0, v0, v2, vcc
	s_cselect_b64 s[10:11], -1, 0
	v_lshlrev_b32_e32 v8, 2, v0
	s_lshl_b64 s[6:7], s[6:7], 6
	v_lshlrev_b32_e32 v0, 1, v4
	v_mov_b32_e32 v1, s7
	v_add_co_u32_e32 v2, vcc, s6, v0
	v_addc_co_u32_e32 v3, vcc, 0, v1, vcc
	v_mov_b32_e32 v1, s19
	v_add_co_u32_e32 v0, vcc, s18, v2
	v_addc_co_u32_e32 v1, vcc, v1, v3, vcc
	v_cmp_eq_u32_e64 s[2:3], 0, v10
	v_add_u32_e32 v9, -4, v4
	v_mov_b32_e32 v10, s17
	v_add_co_u32_e32 v2, vcc, s16, v2
	v_mad_u32_u24 v4, v5, 33, v4
	v_addc_co_u32_e32 v3, vcc, v10, v3, vcc
	v_lshl_add_u32 v10, v4, 2, 0
	v_cndmask_b32_e64 v4, 0, 1, s[4:5]
	v_cmp_ne_u32_e64 s[4:5], 1, v4
	v_cndmask_b32_e64 v4, 0, 1, s[10:11]
	v_cmp_gt_u32_e64 s[0:1], 8, v5
	s_mov_b64 s[8:9], 0
	v_cmp_ne_u32_e64 s[6:7], 1, v4
                                        ; implicit-def: $vgpr4
	s_branch .LBB87_14
.LBB87_13:                              ;   in Loop: Header=BB87_14 Depth=1
	s_or_b64 exec, exec, s[10:11]
	v_add_co_u32_e32 v0, vcc, 8, v0
	v_addc_co_u32_e32 v1, vcc, 0, v1, vcc
	v_add_co_u32_e32 v2, vcc, 8, v2
	v_add_u32_e32 v9, 4, v9
	v_addc_co_u32_e32 v3, vcc, 0, v3, vcc
	v_cmp_lt_u32_e32 vcc, 27, v9
	s_or_b64 s[8:9], vcc, s[8:9]
	v_add_u32_e32 v10, 16, v10
	s_andn2_b64 exec, exec, s[8:9]
	s_cbranch_execz .LBB87_21
.LBB87_14:                              ; =>This Inner Loop Header: Depth=1
	s_and_saveexec_b64 s[10:11], s[0:1]
	s_cbranch_execz .LBB87_16
; %bb.15:                               ;   in Loop: Header=BB87_14 Depth=1
	ds_read_b32 v5, v10
	ds_read_b32 v4, v10 offset:1056
.LBB87_16:                              ;   in Loop: Header=BB87_14 Depth=1
	s_or_b64 exec, exec, s[10:11]
	s_waitcnt lgkmcnt(1)
	ds_bpermute_b32 v13, v6, v5
	s_waitcnt lgkmcnt(1)
	ds_bpermute_b32 v12, v6, v4
	s_waitcnt lgkmcnt(0)
	v_pk_add_f32 v[4:5], v[4:5], v[12:13]
	ds_bpermute_b32 v13, v7, v5
	ds_bpermute_b32 v12, v7, v4
	s_waitcnt lgkmcnt(0)
	v_pk_add_f32 v[4:5], v[4:5], v[12:13]
	ds_bpermute_b32 v13, v8, v5
	ds_bpermute_b32 v12, v8, v4
	s_waitcnt lgkmcnt(0)
	v_pk_add_f32 v[4:5], v[4:5], v[12:13]
	s_and_saveexec_b64 s[10:11], s[2:3]
	s_cbranch_execz .LBB87_13
; %bb.17:                               ;   in Loop: Header=BB87_14 Depth=1
	s_and_b64 vcc, exec, s[4:5]
	s_cbranch_vccnz .LBB87_19
; %bb.18:                               ;   in Loop: Header=BB87_14 Depth=1
	v_cvt_f16_f32_e32 v11, v5
	global_store_short v[2:3], v11, off
.LBB87_19:                              ;   in Loop: Header=BB87_14 Depth=1
	s_and_b64 vcc, exec, s[6:7]
	s_cbranch_vccnz .LBB87_13
; %bb.20:                               ;   in Loop: Header=BB87_14 Depth=1
	v_cvt_f16_f32_e32 v11, v4
	global_store_short v[0:1], v11, off
	s_branch .LBB87_13
.LBB87_21:
	s_endpgm
	.section	.rodata,"a",@progbits
	.p2align	6, 0x0
	.amdhsa_kernel _ZN2at6native12_GLOBAL__N_135GammaBetaBackwardCUDAKernelTemplateIN3c104HalfEfLj32ELj8ELj64ELb0ELb1ELb0EEEvllPKT_S7_PKT0_SA_PS5_SB_
		.amdhsa_group_segment_fixed_size 0
		.amdhsa_private_segment_fixed_size 0
		.amdhsa_kernarg_size 320
		.amdhsa_user_sgpr_count 6
		.amdhsa_user_sgpr_private_segment_buffer 1
		.amdhsa_user_sgpr_dispatch_ptr 0
		.amdhsa_user_sgpr_queue_ptr 0
		.amdhsa_user_sgpr_kernarg_segment_ptr 1
		.amdhsa_user_sgpr_dispatch_id 0
		.amdhsa_user_sgpr_flat_scratch_init 0
		.amdhsa_user_sgpr_kernarg_preload_length 0
		.amdhsa_user_sgpr_kernarg_preload_offset 0
		.amdhsa_user_sgpr_private_segment_size 0
		.amdhsa_uses_dynamic_stack 0
		.amdhsa_system_sgpr_private_segment_wavefront_offset 0
		.amdhsa_system_sgpr_workgroup_id_x 1
		.amdhsa_system_sgpr_workgroup_id_y 1
		.amdhsa_system_sgpr_workgroup_id_z 0
		.amdhsa_system_sgpr_workgroup_info 0
		.amdhsa_system_vgpr_workitem_id 1
		.amdhsa_next_free_vgpr 48
		.amdhsa_next_free_sgpr 32
		.amdhsa_accum_offset 48
		.amdhsa_reserve_vcc 1
		.amdhsa_reserve_flat_scratch 0
		.amdhsa_float_round_mode_32 0
		.amdhsa_float_round_mode_16_64 0
		.amdhsa_float_denorm_mode_32 3
		.amdhsa_float_denorm_mode_16_64 3
		.amdhsa_dx10_clamp 1
		.amdhsa_ieee_mode 1
		.amdhsa_fp16_overflow 0
		.amdhsa_tg_split 0
		.amdhsa_exception_fp_ieee_invalid_op 0
		.amdhsa_exception_fp_denorm_src 0
		.amdhsa_exception_fp_ieee_div_zero 0
		.amdhsa_exception_fp_ieee_overflow 0
		.amdhsa_exception_fp_ieee_underflow 0
		.amdhsa_exception_fp_ieee_inexact 0
		.amdhsa_exception_int_div_zero 0
	.end_amdhsa_kernel
	.section	.text._ZN2at6native12_GLOBAL__N_135GammaBetaBackwardCUDAKernelTemplateIN3c104HalfEfLj32ELj8ELj64ELb0ELb1ELb0EEEvllPKT_S7_PKT0_SA_PS5_SB_,"axG",@progbits,_ZN2at6native12_GLOBAL__N_135GammaBetaBackwardCUDAKernelTemplateIN3c104HalfEfLj32ELj8ELj64ELb0ELb1ELb0EEEvllPKT_S7_PKT0_SA_PS5_SB_,comdat
.Lfunc_end87:
	.size	_ZN2at6native12_GLOBAL__N_135GammaBetaBackwardCUDAKernelTemplateIN3c104HalfEfLj32ELj8ELj64ELb0ELb1ELb0EEEvllPKT_S7_PKT0_SA_PS5_SB_, .Lfunc_end87-_ZN2at6native12_GLOBAL__N_135GammaBetaBackwardCUDAKernelTemplateIN3c104HalfEfLj32ELj8ELj64ELb0ELb1ELb0EEEvllPKT_S7_PKT0_SA_PS5_SB_
                                        ; -- End function
	.section	.AMDGPU.csdata,"",@progbits
; Kernel info:
; codeLenInByte = 1744
; NumSgprs: 36
; NumVgprs: 48
; NumAgprs: 0
; TotalNumVgprs: 48
; ScratchSize: 0
; MemoryBound: 0
; FloatMode: 240
; IeeeMode: 1
; LDSByteSize: 0 bytes/workgroup (compile time only)
; SGPRBlocks: 4
; VGPRBlocks: 5
; NumSGPRsForWavesPerEU: 36
; NumVGPRsForWavesPerEU: 48
; AccumOffset: 48
; Occupancy: 8
; WaveLimiterHint : 0
; COMPUTE_PGM_RSRC2:SCRATCH_EN: 0
; COMPUTE_PGM_RSRC2:USER_SGPR: 6
; COMPUTE_PGM_RSRC2:TRAP_HANDLER: 0
; COMPUTE_PGM_RSRC2:TGID_X_EN: 1
; COMPUTE_PGM_RSRC2:TGID_Y_EN: 1
; COMPUTE_PGM_RSRC2:TGID_Z_EN: 0
; COMPUTE_PGM_RSRC2:TIDIG_COMP_CNT: 1
; COMPUTE_PGM_RSRC3_GFX90A:ACCUM_OFFSET: 11
; COMPUTE_PGM_RSRC3_GFX90A:TG_SPLIT: 0
	.section	.text._ZN2at6native12_GLOBAL__N_135GammaBetaBackwardCUDAKernelTemplateIN3c104HalfEfLj32ELj8ELj64ELb0ELb0ELb0EEEvllPKT_S7_PKT0_SA_PS5_SB_,"axG",@progbits,_ZN2at6native12_GLOBAL__N_135GammaBetaBackwardCUDAKernelTemplateIN3c104HalfEfLj32ELj8ELj64ELb0ELb0ELb0EEEvllPKT_S7_PKT0_SA_PS5_SB_,comdat
	.globl	_ZN2at6native12_GLOBAL__N_135GammaBetaBackwardCUDAKernelTemplateIN3c104HalfEfLj32ELj8ELj64ELb0ELb0ELb0EEEvllPKT_S7_PKT0_SA_PS5_SB_ ; -- Begin function _ZN2at6native12_GLOBAL__N_135GammaBetaBackwardCUDAKernelTemplateIN3c104HalfEfLj32ELj8ELj64ELb0ELb0ELb0EEEvllPKT_S7_PKT0_SA_PS5_SB_
	.p2align	8
	.type	_ZN2at6native12_GLOBAL__N_135GammaBetaBackwardCUDAKernelTemplateIN3c104HalfEfLj32ELj8ELj64ELb0ELb0ELb0EEEvllPKT_S7_PKT0_SA_PS5_SB_,@function
_ZN2at6native12_GLOBAL__N_135GammaBetaBackwardCUDAKernelTemplateIN3c104HalfEfLj32ELj8ELj64ELb0ELb0ELb0EEEvllPKT_S7_PKT0_SA_PS5_SB_: ; @_ZN2at6native12_GLOBAL__N_135GammaBetaBackwardCUDAKernelTemplateIN3c104HalfEfLj32ELj8ELj64ELb0ELb0ELb0EEEvllPKT_S7_PKT0_SA_PS5_SB_
; %bb.0:
	s_load_dwordx8 s[12:19], s[4:5], 0x0
	s_load_dwordx4 s[28:31], s[4:5], 0x20
	s_lshl_b32 s33, s6, 5
	s_mov_b32 s20, 0
	s_or_b32 s0, s33, 31
	s_mov_b32 s1, s20
	s_waitcnt lgkmcnt(0)
	v_pk_mov_b32 v[2:3], s[14:15], s[14:15] op_sel:[0,1]
	v_cmp_ge_i64_e32 vcc, s[0:1], v[2:3]
	s_lshl_b32 s10, s7, 6
	s_mov_b32 s11, s20
	v_pk_mov_b32 v[2:3], s[12:13], s[12:13] op_sel:[0,1]
	v_cmp_lt_i64_e64 s[0:1], s[10:11], v[2:3]
	v_cndmask_b32_e64 v1, 0, 1, s[0:1]
	v_cmp_ne_u32_e64 s[0:1], 1, v1
	s_cbranch_vccz .LBB88_48
; %bb.1:
	v_mov_b32_e32 v27, 0
	s_and_b64 vcc, exec, s[0:1]
	v_mov_b32_e32 v26, v27
	s_cbranch_vccnz .LBB88_49
; %bb.2:
	v_and_b32_e32 v61, 0x3ff, v0
	v_bfe_u32 v63, v0, 10, 10
	v_add_u32_e32 v2, s33, v61
	v_mov_b32_e32 v3, 0
	v_lshlrev_b32_e32 v28, 3, v63
	v_cmp_gt_i64_e64 s[2:3], s[14:15], v[2:3]
	v_lshlrev_b64 v[30:31], 1, v[2:3]
	v_mov_b32_e32 v1, s11
	v_add_co_u32_e32 v2, vcc, s10, v28
	v_addc_co_u32_e32 v6, vcc, 0, v1, vcc
	v_add_co_u32_e32 v1, vcc, 7, v2
	v_addc_co_u32_e32 v4, vcc, 0, v6, vcc
	v_mul_lo_u32 v7, s15, v1
	v_mul_lo_u32 v8, s14, v4
	v_mad_u64_u32 v[4:5], s[8:9], s14, v1, 0
	s_load_dword s7, s[4:5], 0x44
	v_add3_u32 v5, v5, v8, v7
	v_lshlrev_b64 v[4:5], 1, v[4:5]
	v_mov_b32_e32 v7, s17
	v_add_co_u32_e32 v32, vcc, s16, v4
	v_addc_co_u32_e32 v1, vcc, v7, v5, vcc
	s_add_u32 s34, s4, 64
	v_mov_b32_e32 v8, s19
	v_add_co_u32_e32 v34, vcc, s18, v4
	s_addc_u32 s35, s5, 0
	s_waitcnt lgkmcnt(0)
	s_lshl_b32 s7, s7, 6
	v_addc_co_u32_e32 v29, vcc, v8, v5, vcc
	s_mul_i32 s8, s15, s7
	s_mul_hi_u32 s9, s14, s7
	v_add_co_u32_e32 v4, vcc, 6, v2
	s_add_i32 s9, s9, s8
	s_mul_i32 s8, s14, s7
	v_addc_co_u32_e32 v5, vcc, 0, v6, vcc
	s_lshl_b64 s[36:37], s[8:9], 1
	v_mul_lo_u32 v9, s15, v4
	v_mul_lo_u32 v10, s14, v5
	v_mad_u64_u32 v[4:5], s[8:9], s14, v4, 0
	v_add3_u32 v5, v5, v10, v9
	v_lshlrev_b64 v[4:5], 1, v[4:5]
	v_add_co_u32_e32 v36, vcc, s16, v4
	v_addc_co_u32_e32 v33, vcc, v7, v5, vcc
	v_add_co_u32_e32 v38, vcc, s18, v4
	v_addc_co_u32_e32 v35, vcc, v8, v5, vcc
	v_add_co_u32_e32 v4, vcc, 5, v2
	v_addc_co_u32_e32 v5, vcc, 0, v6, vcc
	v_mul_lo_u32 v9, s15, v4
	v_mul_lo_u32 v10, s14, v5
	v_mad_u64_u32 v[4:5], s[8:9], s14, v4, 0
	v_add3_u32 v5, v5, v10, v9
	v_lshlrev_b64 v[4:5], 1, v[4:5]
	v_add_co_u32_e32 v40, vcc, s16, v4
	v_addc_co_u32_e32 v37, vcc, v7, v5, vcc
	v_add_co_u32_e32 v42, vcc, s18, v4
	v_addc_co_u32_e32 v39, vcc, v8, v5, vcc
	v_add_co_u32_e32 v4, vcc, 4, v2
	v_addc_co_u32_e32 v5, vcc, 0, v6, vcc
	;; [unrolled: 11-line block ×4, first 2 shown]
	v_mul_lo_u32 v9, s15, v4
	v_mul_lo_u32 v10, s14, v5
	v_mad_u64_u32 v[4:5], s[8:9], s14, v4, 0
	v_add3_u32 v5, v5, v10, v9
	v_lshlrev_b64 v[4:5], 1, v[4:5]
	v_add_co_u32_e32 v52, vcc, s16, v4
	v_addc_co_u32_e32 v49, vcc, v7, v5, vcc
	v_add_co_u32_e32 v54, vcc, s18, v4
	v_addc_co_u32_e32 v51, vcc, v8, v5, vcc
	v_pk_mov_b32 v[4:5], s[14:15], s[14:15] op_sel:[0,1]
	v_mad_u64_u32 v[4:5], s[8:9], s14, v2, v[4:5]
	v_mul_lo_u32 v6, s14, v6
	v_mul_lo_u32 v9, s15, v2
	v_add3_u32 v5, v9, v5, v6
	v_lshlrev_b64 v[4:5], 1, v[4:5]
	v_add_co_u32_e32 v56, vcc, s16, v4
	v_addc_co_u32_e32 v53, vcc, v7, v5, vcc
	v_add_co_u32_e32 v58, vcc, s18, v4
	v_addc_co_u32_e32 v55, vcc, v8, v5, vcc
	v_mad_u64_u32 v[4:5], s[8:9], s14, v2, 0
	v_add3_u32 v5, v5, v6, v9
	v_lshlrev_b64 v[4:5], 1, v[4:5]
	v_add_co_u32_e32 v60, vcc, s16, v4
	v_mbcnt_lo_u32_b32 v2, -1, 0
	v_addc_co_u32_e32 v57, vcc, v7, v5, vcc
	v_mbcnt_hi_u32_b32 v2, -1, v2
	s_add_u32 s38, s10, 63
	v_add_co_u32_e32 v62, vcc, s18, v4
	v_lshlrev_b32_e32 v2, 2, v2
	s_addc_u32 s39, 0, 0
	v_addc_co_u32_e32 v59, vcc, v8, v5, vcc
	v_and_b32_e32 v64, 0x100, v2
	s_mov_b64 s[40:41], s[10:11]
	v_mov_b32_e32 v26, v3
	v_mov_b32_e32 v27, v3
	s_branch .LBB88_5
.LBB88_3:                               ;   in Loop: Header=BB88_5 Depth=1
	s_or_b64 exec, exec, s[8:9]
	s_waitcnt vmcnt(1)
	ds_bpermute_b32 v2, v64, v68
	ds_bpermute_b32 v4, v64, v68 offset:4
	s_waitcnt vmcnt(0)
	ds_bpermute_b32 v5, v64, v67
	ds_bpermute_b32 v6, v64, v67 offset:4
	ds_bpermute_b32 v8, v64, v67 offset:12
	s_waitcnt lgkmcnt(4)
	v_sub_f32_e32 v2, v10, v2
	v_mul_f32_e32 v2, v18, v2
	s_waitcnt lgkmcnt(3)
	v_sub_f32_e32 v4, v11, v4
	s_waitcnt lgkmcnt(2)
	v_mul_f32_e32 v5, v2, v5
	ds_bpermute_b32 v2, v64, v68 offset:8
	v_mul_f32_e32 v4, v19, v4
	s_waitcnt lgkmcnt(2)
	v_mul_f32_e32 v7, v4, v6
	ds_bpermute_b32 v4, v64, v67 offset:8
	ds_bpermute_b32 v6, v64, v68 offset:12
	s_waitcnt lgkmcnt(2)
	v_sub_f32_e32 v2, v12, v2
	v_mul_f32_e32 v2, v20, v2
	v_mov_b32_e32 v10, v21
	s_waitcnt lgkmcnt(1)
	v_mul_f32_e32 v9, v2, v4
	s_waitcnt lgkmcnt(0)
	v_sub_f32_e32 v2, v13, v6
	ds_bpermute_b32 v4, v64, v68 offset:16
	v_mul_f32_e32 v2, v21, v2
	v_mul_f32_e32 v11, v2, v8
	ds_bpermute_b32 v2, v64, v67 offset:16
	ds_bpermute_b32 v6, v64, v68 offset:20
	;; [unrolled: 1-line block ×3, first 2 shown]
	s_waitcnt lgkmcnt(3)
	v_sub_f32_e32 v4, v14, v4
	v_mul_f32_e32 v4, v22, v4
	s_waitcnt lgkmcnt(2)
	v_mul_f32_e32 v13, v4, v2
	s_waitcnt lgkmcnt(1)
	v_sub_f32_e32 v2, v15, v6
	v_mul_f32_e32 v2, v23, v2
	s_waitcnt lgkmcnt(0)
	v_mul_f32_e32 v15, v2, v8
	v_mov_b32_e32 v4, v18
	ds_bpermute_b32 v2, v64, v68 offset:24
	v_pk_add_f32 v[4:5], v[26:27], v[4:5]
	v_mov_b32_e32 v6, v19
	v_pk_add_f32 v[4:5], v[6:7], v[4:5]
	ds_bpermute_b32 v7, v64, v67 offset:24
	v_mov_b32_e32 v8, v20
	v_pk_add_f32 v[4:5], v[8:9], v[4:5]
	v_pk_add_f32 v[4:5], v[10:11], v[4:5]
	v_mov_b32_e32 v12, v22
	s_waitcnt lgkmcnt(1)
	v_sub_f32_e32 v8, v16, v2
	v_pk_add_f32 v[4:5], v[12:13], v[4:5]
	v_mov_b32_e32 v14, v23
	v_mul_f32_e32 v8, v24, v8
	v_pk_add_f32 v[4:5], v[14:15], v[4:5]
	s_waitcnt lgkmcnt(0)
	v_mul_f32_e32 v9, v8, v7
	v_mov_b32_e32 v8, v24
	ds_bpermute_b32 v2, v64, v67 offset:28
	ds_bpermute_b32 v6, v64, v68 offset:28
	v_pk_add_f32 v[4:5], v[8:9], v[4:5]
.LBB88_4:                               ;   in Loop: Header=BB88_5 Depth=1
	s_waitcnt lgkmcnt(0)
	v_sub_f32_e32 v6, v17, v6
	v_mul_f32_e32 v6, v25, v6
	v_mul_f32_e32 v7, v6, v2
	v_mov_b32_e32 v2, s37
	v_add_co_u32_e32 v32, vcc, s36, v32
	v_addc_co_u32_e32 v1, vcc, v1, v2, vcc
	v_add_co_u32_e32 v34, vcc, s36, v34
	v_addc_co_u32_e32 v29, vcc, v29, v2, vcc
	;; [unrolled: 2-line block ×15, first 2 shown]
	v_mov_b32_e32 v6, v25
	s_add_u32 s40, s40, s7
	v_add_co_u32_e32 v62, vcc, s36, v62
	v_pk_add_f32 v[26:27], v[4:5], v[6:7]
	s_addc_u32 s41, s41, 0
	v_addc_co_u32_e32 v59, vcc, v59, v2, vcc
	v_pk_mov_b32 v[4:5], s[12:13], s[12:13] op_sel:[0,1]
	s_add_u32 s38, s38, s7
	v_cmp_lt_i64_e32 vcc, s[40:41], v[4:5]
	s_addc_u32 s39, s39, 0
	s_cbranch_vccz .LBB88_49
.LBB88_5:                               ; =>This Inner Loop Header: Depth=1
	v_pk_mov_b32 v[4:5], s[12:13], s[12:13] op_sel:[0,1]
	v_cmp_ge_i64_e32 vcc, s[38:39], v[4:5]
	v_mov_b32_e32 v2, s39
	v_add_co_u32_e64 v65, s[8:9], s38, v28
	v_addc_co_u32_e64 v66, s[8:9], 0, v2, s[8:9]
	s_cbranch_vccz .LBB88_27
; %bb.6:                                ;   in Loop: Header=BB88_5 Depth=1
	s_load_dword s8, s[34:35], 0xc
	v_mov_b32_e32 v67, 0
	v_mov_b32_e32 v68, 0
	s_waitcnt lgkmcnt(0)
	s_and_b32 s8, s8, 0xffff
	v_mad_u32_u24 v2, v63, s8, v61
	v_and_b32_e32 v2, 63, v2
	v_cmp_gt_u32_e32 vcc, 8, v2
	s_and_saveexec_b64 s[8:9], vcc
	s_cbranch_execz .LBB88_10
; %bb.7:                                ;   in Loop: Header=BB88_5 Depth=1
	v_add_co_u32_e32 v2, vcc, v65, v2
	v_addc_co_u32_e32 v5, vcc, 0, v66, vcc
	v_add_co_u32_e32 v4, vcc, 0xffffffc1, v2
	v_addc_co_u32_e32 v5, vcc, -1, v5, vcc
	v_cmp_gt_i64_e32 vcc, s[12:13], v[4:5]
	v_mov_b32_e32 v68, 0
	v_mov_b32_e32 v67, 0
	s_and_saveexec_b64 s[22:23], vcc
	s_cbranch_execz .LBB88_9
; %bb.8:                                ;   in Loop: Header=BB88_5 Depth=1
	v_lshlrev_b64 v[4:5], 2, v[4:5]
	v_mov_b32_e32 v2, s31
	v_add_co_u32_e32 v6, vcc, s30, v4
	v_addc_co_u32_e32 v7, vcc, v2, v5, vcc
	v_mov_b32_e32 v2, s29
	v_add_co_u32_e32 v4, vcc, s28, v4
	v_addc_co_u32_e32 v5, vcc, v2, v5, vcc
	global_load_dword v68, v[4:5], off
	global_load_dword v67, v[6:7], off
.LBB88_9:                               ;   in Loop: Header=BB88_5 Depth=1
	s_or_b64 exec, exec, s[22:23]
.LBB88_10:                              ;   in Loop: Header=BB88_5 Depth=1
	s_or_b64 exec, exec, s[8:9]
	s_mov_b32 s21, s20
	v_add_co_u32_e32 v4, vcc, 0xffffffc1, v65
	s_mov_b32 s22, s20
	s_mov_b32 s23, s20
	;; [unrolled: 1-line block ×6, first 2 shown]
	v_pk_mov_b32 v[10:11], s[20:21], s[20:21] op_sel:[0,1]
	v_addc_co_u32_e32 v5, vcc, -1, v66, vcc
	v_pk_mov_b32 v[16:17], s[26:27], s[26:27] op_sel:[0,1]
	v_cmp_gt_i64_e32 vcc, s[12:13], v[4:5]
	v_pk_mov_b32 v[12:13], s[22:23], s[22:23] op_sel:[0,1]
	v_pk_mov_b32 v[14:15], s[24:25], s[24:25] op_sel:[0,1]
	;; [unrolled: 1-line block ×3, first 2 shown]
	s_and_b64 s[42:43], s[2:3], vcc
	v_pk_mov_b32 v[22:23], v[14:15], v[14:15] op_sel:[0,1]
	v_pk_mov_b32 v[20:21], v[12:13], v[12:13] op_sel:[0,1]
	;; [unrolled: 1-line block ×3, first 2 shown]
	s_and_saveexec_b64 s[8:9], s[42:43]
	s_cbranch_execz .LBB88_12
; %bb.11:                               ;   in Loop: Header=BB88_5 Depth=1
	v_add_co_u32_e32 v4, vcc, v60, v30
	v_addc_co_u32_e32 v5, vcc, v57, v31, vcc
	global_load_ushort v2, v[4:5], off
	v_add_co_u32_e32 v4, vcc, v62, v30
	v_addc_co_u32_e32 v5, vcc, v59, v31, vcc
	global_load_ushort v10, v[4:5], off
	v_mov_b32_e32 v8, v3
	v_mov_b32_e32 v9, v3
	v_mov_b32_e32 v4, v3
	v_mov_b32_e32 v5, v3
	v_mov_b32_e32 v6, v3
	v_mov_b32_e32 v7, v3
	v_mov_b32_e32 v11, v3
	v_mov_b32_e32 v12, v3
	v_mov_b32_e32 v13, v3
	v_mov_b32_e32 v14, v3
	v_mov_b32_e32 v15, v3
	v_mov_b32_e32 v16, v3
	v_mov_b32_e32 v17, v3
	s_waitcnt vmcnt(1)
	v_cvt_f32_f16_e32 v2, v2
	v_pk_mov_b32 v[24:25], v[8:9], v[8:9] op_sel:[0,1]
	v_pk_mov_b32 v[22:23], v[6:7], v[6:7] op_sel:[0,1]
	;; [unrolled: 1-line block ×4, first 2 shown]
	s_waitcnt vmcnt(0)
	v_cvt_f32_f16_e32 v10, v10
.LBB88_12:                              ;   in Loop: Header=BB88_5 Depth=1
	s_or_b64 exec, exec, s[8:9]
	v_add_co_u32_e32 v4, vcc, 0xffffffc2, v65
	v_addc_co_u32_e32 v5, vcc, -1, v66, vcc
	v_cmp_gt_i64_e32 vcc, s[12:13], v[4:5]
	s_and_b64 s[22:23], s[2:3], vcc
	s_and_saveexec_b64 s[8:9], s[22:23]
	s_cbranch_execz .LBB88_14
; %bb.13:                               ;   in Loop: Header=BB88_5 Depth=1
	v_add_co_u32_e32 v4, vcc, v56, v30
	v_addc_co_u32_e32 v5, vcc, v53, v31, vcc
	global_load_ushort v2, v[4:5], off
	v_add_co_u32_e32 v4, vcc, v58, v30
	v_addc_co_u32_e32 v5, vcc, v55, v31, vcc
	global_load_ushort v4, v[4:5], off
	s_waitcnt vmcnt(1)
	v_cvt_f32_f16_e32 v19, v2
	s_waitcnt vmcnt(0)
	v_cvt_f32_f16_e32 v11, v4
.LBB88_14:                              ;   in Loop: Header=BB88_5 Depth=1
	s_or_b64 exec, exec, s[8:9]
	v_add_co_u32_e32 v4, vcc, 0xffffffc3, v65
	v_addc_co_u32_e32 v5, vcc, -1, v66, vcc
	v_cmp_gt_i64_e32 vcc, s[12:13], v[4:5]
	s_and_b64 s[22:23], s[2:3], vcc
	s_and_saveexec_b64 s[8:9], s[22:23]
	s_cbranch_execz .LBB88_16
; %bb.15:                               ;   in Loop: Header=BB88_5 Depth=1
	v_add_co_u32_e32 v4, vcc, v52, v30
	v_addc_co_u32_e32 v5, vcc, v49, v31, vcc
	global_load_ushort v2, v[4:5], off
	v_add_co_u32_e32 v4, vcc, v54, v30
	v_addc_co_u32_e32 v5, vcc, v51, v31, vcc
	global_load_ushort v4, v[4:5], off
	s_waitcnt vmcnt(1)
	v_cvt_f32_f16_e32 v20, v2
	s_waitcnt vmcnt(0)
	v_cvt_f32_f16_e32 v12, v4
.LBB88_16:                              ;   in Loop: Header=BB88_5 Depth=1
	;; [unrolled: 19-line block ×7, first 2 shown]
	s_or_b64 exec, exec, s[8:9]
	s_waitcnt vmcnt(1)
	ds_bpermute_b32 v2, v64, v68
	ds_bpermute_b32 v4, v64, v68 offset:4
	s_waitcnt vmcnt(0)
	ds_bpermute_b32 v5, v64, v67
	ds_bpermute_b32 v6, v64, v67 offset:4
	ds_bpermute_b32 v8, v64, v67 offset:12
	s_waitcnt lgkmcnt(4)
	v_sub_f32_e32 v2, v10, v2
	v_mul_f32_e32 v2, v18, v2
	s_waitcnt lgkmcnt(3)
	v_sub_f32_e32 v4, v11, v4
	s_waitcnt lgkmcnt(2)
	v_mul_f32_e32 v5, v2, v5
	ds_bpermute_b32 v2, v64, v68 offset:8
	v_mul_f32_e32 v4, v19, v4
	s_waitcnt lgkmcnt(2)
	v_mul_f32_e32 v7, v4, v6
	ds_bpermute_b32 v4, v64, v67 offset:8
	ds_bpermute_b32 v6, v64, v68 offset:12
	s_waitcnt lgkmcnt(2)
	v_sub_f32_e32 v2, v12, v2
	v_mul_f32_e32 v2, v20, v2
	v_mov_b32_e32 v10, v21
	s_waitcnt lgkmcnt(1)
	v_mul_f32_e32 v9, v2, v4
	s_waitcnt lgkmcnt(0)
	v_sub_f32_e32 v2, v13, v6
	ds_bpermute_b32 v4, v64, v68 offset:16
	v_mul_f32_e32 v2, v21, v2
	v_mul_f32_e32 v11, v2, v8
	ds_bpermute_b32 v2, v64, v67 offset:16
	ds_bpermute_b32 v6, v64, v68 offset:20
	ds_bpermute_b32 v8, v64, v67 offset:20
	s_waitcnt lgkmcnt(3)
	v_sub_f32_e32 v4, v14, v4
	v_mul_f32_e32 v4, v22, v4
	s_waitcnt lgkmcnt(2)
	v_mul_f32_e32 v13, v4, v2
	s_waitcnt lgkmcnt(1)
	v_sub_f32_e32 v2, v15, v6
	v_mul_f32_e32 v2, v23, v2
	s_waitcnt lgkmcnt(0)
	v_mul_f32_e32 v15, v2, v8
	ds_bpermute_b32 v2, v64, v68 offset:24
	v_mov_b32_e32 v4, v18
	v_pk_add_f32 v[4:5], v[26:27], v[4:5]
	v_mov_b32_e32 v6, v19
	v_pk_add_f32 v[4:5], v[6:7], v[4:5]
	ds_bpermute_b32 v7, v64, v67 offset:24
	v_mov_b32_e32 v8, v20
	s_waitcnt lgkmcnt(1)
	v_sub_f32_e32 v2, v16, v2
	v_pk_add_f32 v[4:5], v[8:9], v[4:5]
	v_mul_f32_e32 v8, v24, v2
	ds_bpermute_b32 v2, v64, v67 offset:28
	ds_bpermute_b32 v6, v64, v68 offset:28
	v_pk_add_f32 v[4:5], v[10:11], v[4:5]
	v_mov_b32_e32 v12, v22
	v_pk_add_f32 v[4:5], v[12:13], v[4:5]
	v_mov_b32_e32 v14, v23
	v_pk_add_f32 v[4:5], v[14:15], v[4:5]
	s_waitcnt lgkmcnt(2)
	v_mul_f32_e32 v9, v8, v7
	v_mov_b32_e32 v8, v24
	v_pk_add_f32 v[4:5], v[8:9], v[4:5]
	s_branch .LBB88_4
.LBB88_27:                              ;   in Loop: Header=BB88_5 Depth=1
                                        ; implicit-def: $vgpr4_vgpr5
                                        ; implicit-def: $vgpr2
                                        ; implicit-def: $vgpr10_vgpr11_vgpr12_vgpr13_vgpr14_vgpr15_vgpr16_vgpr17
                                        ; implicit-def: $vgpr18_vgpr19_vgpr20_vgpr21_vgpr22_vgpr23_vgpr24_vgpr25
                                        ; implicit-def: $vgpr6
	s_cbranch_execz .LBB88_4
; %bb.28:                               ;   in Loop: Header=BB88_5 Depth=1
	s_load_dword s8, s[34:35], 0x0
	v_mov_b32_e32 v67, 0
	v_mov_b32_e32 v68, 0
	s_waitcnt lgkmcnt(0)
	s_cmp_lt_u32 s6, s8
	s_cselect_b32 s8, 12, 18
	s_add_u32 s8, s34, s8
	s_addc_u32 s9, s35, 0
	global_load_ushort v2, v3, s[8:9]
	s_waitcnt vmcnt(0)
	v_mad_u32_u24 v2, v63, v2, v61
	v_and_b32_e32 v2, 63, v2
	v_cmp_gt_u32_e32 vcc, 8, v2
	s_and_saveexec_b64 s[8:9], vcc
	s_cbranch_execz .LBB88_32
; %bb.29:                               ;   in Loop: Header=BB88_5 Depth=1
	v_add_co_u32_e32 v2, vcc, v65, v2
	v_addc_co_u32_e32 v5, vcc, 0, v66, vcc
	v_add_co_u32_e32 v4, vcc, 0xffffffc1, v2
	v_addc_co_u32_e32 v5, vcc, -1, v5, vcc
	v_cmp_gt_i64_e32 vcc, s[12:13], v[4:5]
	v_mov_b32_e32 v68, 0
	v_mov_b32_e32 v67, 0
	s_and_saveexec_b64 s[22:23], vcc
	s_cbranch_execz .LBB88_31
; %bb.30:                               ;   in Loop: Header=BB88_5 Depth=1
	v_lshlrev_b64 v[4:5], 2, v[4:5]
	v_mov_b32_e32 v2, s31
	v_add_co_u32_e32 v6, vcc, s30, v4
	v_addc_co_u32_e32 v7, vcc, v2, v5, vcc
	v_mov_b32_e32 v2, s29
	v_add_co_u32_e32 v4, vcc, s28, v4
	v_addc_co_u32_e32 v5, vcc, v2, v5, vcc
	global_load_dword v68, v[4:5], off
	global_load_dword v67, v[6:7], off
.LBB88_31:                              ;   in Loop: Header=BB88_5 Depth=1
	s_or_b64 exec, exec, s[22:23]
.LBB88_32:                              ;   in Loop: Header=BB88_5 Depth=1
	s_or_b64 exec, exec, s[8:9]
	s_mov_b32 s21, s20
	s_mov_b32 s22, s20
	s_mov_b32 s23, s20
	s_mov_b32 s24, s20
	s_mov_b32 s25, s20
	s_mov_b32 s26, s20
	s_mov_b32 s27, s20
	v_pk_mov_b32 v[10:11], s[20:21], s[20:21] op_sel:[0,1]
	v_pk_mov_b32 v[16:17], s[26:27], s[26:27] op_sel:[0,1]
	;; [unrolled: 1-line block ×8, first 2 shown]
	s_and_saveexec_b64 s[8:9], s[2:3]
	s_cbranch_execnz .LBB88_40
; %bb.33:                               ;   in Loop: Header=BB88_5 Depth=1
	s_or_b64 exec, exec, s[8:9]
	s_and_saveexec_b64 s[8:9], s[2:3]
	s_cbranch_execnz .LBB88_41
.LBB88_34:                              ;   in Loop: Header=BB88_5 Depth=1
	s_or_b64 exec, exec, s[8:9]
	s_and_saveexec_b64 s[8:9], s[2:3]
	s_cbranch_execnz .LBB88_42
.LBB88_35:                              ;   in Loop: Header=BB88_5 Depth=1
	s_or_b64 exec, exec, s[8:9]
	s_and_saveexec_b64 s[8:9], s[2:3]
	s_cbranch_execnz .LBB88_43
.LBB88_36:                              ;   in Loop: Header=BB88_5 Depth=1
	s_or_b64 exec, exec, s[8:9]
	s_and_saveexec_b64 s[8:9], s[2:3]
	s_cbranch_execnz .LBB88_44
.LBB88_37:                              ;   in Loop: Header=BB88_5 Depth=1
	s_or_b64 exec, exec, s[8:9]
	s_and_saveexec_b64 s[8:9], s[2:3]
	s_cbranch_execnz .LBB88_45
.LBB88_38:                              ;   in Loop: Header=BB88_5 Depth=1
	s_or_b64 exec, exec, s[8:9]
	s_and_saveexec_b64 s[8:9], s[2:3]
	s_cbranch_execnz .LBB88_46
.LBB88_39:                              ;   in Loop: Header=BB88_5 Depth=1
	s_or_b64 exec, exec, s[8:9]
	s_and_saveexec_b64 s[8:9], s[2:3]
	s_cbranch_execz .LBB88_3
	s_branch .LBB88_47
.LBB88_40:                              ;   in Loop: Header=BB88_5 Depth=1
	v_add_co_u32_e32 v4, vcc, v60, v30
	v_addc_co_u32_e32 v5, vcc, v57, v31, vcc
	global_load_ushort v2, v[4:5], off
	v_add_co_u32_e32 v4, vcc, v62, v30
	v_addc_co_u32_e32 v5, vcc, v59, v31, vcc
	global_load_ushort v10, v[4:5], off
	v_mov_b32_e32 v8, v3
	v_mov_b32_e32 v9, v3
	v_mov_b32_e32 v4, v3
	v_mov_b32_e32 v5, v3
	v_mov_b32_e32 v6, v3
	v_mov_b32_e32 v7, v3
	v_mov_b32_e32 v11, v3
	v_mov_b32_e32 v12, v3
	v_mov_b32_e32 v13, v3
	v_mov_b32_e32 v14, v3
	v_mov_b32_e32 v15, v3
	v_mov_b32_e32 v16, v3
	v_mov_b32_e32 v17, v3
	s_waitcnt vmcnt(1)
	v_cvt_f32_f16_e32 v2, v2
	v_pk_mov_b32 v[24:25], v[8:9], v[8:9] op_sel:[0,1]
	v_pk_mov_b32 v[22:23], v[6:7], v[6:7] op_sel:[0,1]
	;; [unrolled: 1-line block ×4, first 2 shown]
	s_waitcnt vmcnt(0)
	v_cvt_f32_f16_e32 v10, v10
	s_or_b64 exec, exec, s[8:9]
	s_and_saveexec_b64 s[8:9], s[2:3]
	s_cbranch_execz .LBB88_34
.LBB88_41:                              ;   in Loop: Header=BB88_5 Depth=1
	v_add_co_u32_e32 v4, vcc, v56, v30
	v_addc_co_u32_e32 v5, vcc, v53, v31, vcc
	global_load_ushort v2, v[4:5], off
	v_add_co_u32_e32 v4, vcc, v58, v30
	v_addc_co_u32_e32 v5, vcc, v55, v31, vcc
	global_load_ushort v4, v[4:5], off
	s_waitcnt vmcnt(1)
	v_cvt_f32_f16_e32 v19, v2
	s_waitcnt vmcnt(0)
	v_cvt_f32_f16_e32 v11, v4
	s_or_b64 exec, exec, s[8:9]
	s_and_saveexec_b64 s[8:9], s[2:3]
	s_cbranch_execz .LBB88_35
.LBB88_42:                              ;   in Loop: Header=BB88_5 Depth=1
	v_add_co_u32_e32 v4, vcc, v52, v30
	v_addc_co_u32_e32 v5, vcc, v49, v31, vcc
	global_load_ushort v2, v[4:5], off
	v_add_co_u32_e32 v4, vcc, v54, v30
	v_addc_co_u32_e32 v5, vcc, v51, v31, vcc
	global_load_ushort v4, v[4:5], off
	s_waitcnt vmcnt(1)
	v_cvt_f32_f16_e32 v20, v2
	s_waitcnt vmcnt(0)
	v_cvt_f32_f16_e32 v12, v4
	s_or_b64 exec, exec, s[8:9]
	s_and_saveexec_b64 s[8:9], s[2:3]
	s_cbranch_execz .LBB88_36
.LBB88_43:                              ;   in Loop: Header=BB88_5 Depth=1
	v_add_co_u32_e32 v4, vcc, v48, v30
	v_addc_co_u32_e32 v5, vcc, v45, v31, vcc
	global_load_ushort v2, v[4:5], off
	v_add_co_u32_e32 v4, vcc, v50, v30
	v_addc_co_u32_e32 v5, vcc, v47, v31, vcc
	global_load_ushort v4, v[4:5], off
	s_waitcnt vmcnt(1)
	v_cvt_f32_f16_e32 v21, v2
	s_waitcnt vmcnt(0)
	v_cvt_f32_f16_e32 v13, v4
	s_or_b64 exec, exec, s[8:9]
	s_and_saveexec_b64 s[8:9], s[2:3]
	s_cbranch_execz .LBB88_37
.LBB88_44:                              ;   in Loop: Header=BB88_5 Depth=1
	v_add_co_u32_e32 v4, vcc, v44, v30
	v_addc_co_u32_e32 v5, vcc, v41, v31, vcc
	global_load_ushort v2, v[4:5], off
	v_add_co_u32_e32 v4, vcc, v46, v30
	v_addc_co_u32_e32 v5, vcc, v43, v31, vcc
	global_load_ushort v4, v[4:5], off
	s_waitcnt vmcnt(1)
	v_cvt_f32_f16_e32 v22, v2
	s_waitcnt vmcnt(0)
	v_cvt_f32_f16_e32 v14, v4
	s_or_b64 exec, exec, s[8:9]
	s_and_saveexec_b64 s[8:9], s[2:3]
	s_cbranch_execz .LBB88_38
.LBB88_45:                              ;   in Loop: Header=BB88_5 Depth=1
	v_add_co_u32_e32 v4, vcc, v40, v30
	v_addc_co_u32_e32 v5, vcc, v37, v31, vcc
	global_load_ushort v2, v[4:5], off
	v_add_co_u32_e32 v4, vcc, v42, v30
	v_addc_co_u32_e32 v5, vcc, v39, v31, vcc
	global_load_ushort v4, v[4:5], off
	s_waitcnt vmcnt(1)
	v_cvt_f32_f16_e32 v23, v2
	s_waitcnt vmcnt(0)
	v_cvt_f32_f16_e32 v15, v4
	s_or_b64 exec, exec, s[8:9]
	s_and_saveexec_b64 s[8:9], s[2:3]
	s_cbranch_execz .LBB88_39
.LBB88_46:                              ;   in Loop: Header=BB88_5 Depth=1
	v_add_co_u32_e32 v4, vcc, v36, v30
	v_addc_co_u32_e32 v5, vcc, v33, v31, vcc
	global_load_ushort v2, v[4:5], off
	v_add_co_u32_e32 v4, vcc, v38, v30
	v_addc_co_u32_e32 v5, vcc, v35, v31, vcc
	global_load_ushort v4, v[4:5], off
	s_waitcnt vmcnt(1)
	v_cvt_f32_f16_e32 v24, v2
	s_waitcnt vmcnt(0)
	v_cvt_f32_f16_e32 v16, v4
	s_or_b64 exec, exec, s[8:9]
	s_and_saveexec_b64 s[8:9], s[2:3]
	s_cbranch_execz .LBB88_3
.LBB88_47:                              ;   in Loop: Header=BB88_5 Depth=1
	v_add_co_u32_e32 v4, vcc, v32, v30
	v_addc_co_u32_e32 v5, vcc, v1, v31, vcc
	global_load_ushort v2, v[4:5], off
	v_add_co_u32_e32 v4, vcc, v34, v30
	v_addc_co_u32_e32 v5, vcc, v29, v31, vcc
	global_load_ushort v4, v[4:5], off
	s_waitcnt vmcnt(1)
	v_cvt_f32_f16_e32 v25, v2
	s_waitcnt vmcnt(0)
	v_cvt_f32_f16_e32 v17, v4
	s_branch .LBB88_3
.LBB88_48:
                                        ; implicit-def: $vgpr27
	s_branch .LBB88_50
.LBB88_49:
	s_cbranch_execnz .LBB88_81
.LBB88_50:
	v_mov_b32_e32 v27, 0
	s_mov_b32 s20, 0
	s_and_b64 vcc, exec, s[0:1]
	v_mov_b32_e32 v26, v27
	s_cbranch_vccnz .LBB88_81
; %bb.51:
	s_load_dword s0, s[4:5], 0x44
	s_add_u32 s2, s4, 64
	s_addc_u32 s3, s5, 0
	v_bfe_u32 v87, v0, 10, 10
	v_lshlrev_b32_e32 v1, 4, v87
	s_waitcnt lgkmcnt(0)
	s_lshl_b32 s7, s0, 6
	s_add_u32 s8, s10, 63
	s_addc_u32 s9, 0, 0
	s_lshl_b64 s[0:1], s[10:11], 1
	v_mov_b32_e32 v2, s1
	v_add_co_u32_e32 v1, vcc, s0, v1
	v_addc_co_u32_e32 v4, vcc, 0, v2, vcc
	v_add_co_u32_e32 v6, vcc, 2, v1
	v_addc_co_u32_e32 v5, vcc, 0, v4, vcc
	v_add_co_u32_e32 v9, vcc, 4, v1
	v_mul_lo_u32 v7, s14, v5
	v_addc_co_u32_e32 v5, vcc, 0, v4, vcc
	v_add_co_u32_e32 v12, vcc, 6, v1
	v_mul_lo_u32 v10, s14, v5
	;; [unrolled: 3-line block ×5, first 2 shown]
	v_addc_co_u32_e32 v5, vcc, 0, v4, vcc
	v_add_co_u32_e32 v24, vcc, 14, v1
	v_lshlrev_b32_e32 v28, 3, v87
	v_addc_co_u32_e32 v1, vcc, 0, v4, vcc
	v_mul_lo_u32 v25, s14, v1
	v_mov_b32_e32 v1, s11
	v_add_co_u32_e32 v27, vcc, s10, v28
	v_pk_mov_b32 v[2:3], s[16:17], s[16:17] op_sel:[0,1]
	v_addc_co_u32_e32 v45, vcc, 0, v1, vcc
	v_mad_u64_u32 v[30:31], s[0:1], s14, v6, v[2:3]
	v_mad_u64_u32 v[32:33], s[0:1], s14, v9, v[2:3]
	;; [unrolled: 1-line block ×7, first 2 shown]
	v_mul_lo_u32 v61, s15, v27
	v_mul_lo_u32 v62, s14, v45
	v_mad_u64_u32 v[2:3], s[0:1], s14, v27, 0
	v_add3_u32 v3, v3, v62, v61
	v_lshlrev_b64 v[2:3], 1, v[2:3]
	v_mul_lo_u32 v22, s14, v5
	v_mov_b32_e32 v83, s17
	v_add_co_u32_e32 v44, vcc, s16, v2
	v_pk_mov_b32 v[4:5], s[18:19], s[18:19] op_sel:[0,1]
	v_mul_lo_u32 v17, s15, v15
	v_addc_co_u32_e32 v1, vcc, v83, v3, vcc
	v_mad_u64_u32 v[52:53], s[0:1], s14, v15, v[4:5]
	v_add3_u32 v37, v17, v37, v16
	v_add3_u32 v53, v17, v53, v16
	v_mov_b32_e32 v16, s19
	v_add_co_u32_e32 v60, vcc, s18, v2
	v_addc_co_u32_e32 v29, vcc, v16, v3, vcc
	v_add_co_u32_e32 v2, vcc, 7, v27
	v_addc_co_u32_e32 v3, vcc, 0, v45, vcc
	v_mad_u64_u32 v[46:47], s[0:1], s14, v6, v[4:5]
	v_mad_u64_u32 v[48:49], s[0:1], s14, v9, v[4:5]
	;; [unrolled: 1-line block ×6, first 2 shown]
	v_mul_lo_u32 v4, s15, v2
	v_mul_lo_u32 v5, s14, v3
	v_mad_u64_u32 v[2:3], s[0:1], s14, v2, 0
	v_add3_u32 v3, v3, v5, v4
	v_add_co_u32_e32 v4, vcc, 6, v27
	v_mul_lo_u32 v8, s15, v6
	v_addc_co_u32_e32 v5, vcc, 0, v45, vcc
	v_add3_u32 v31, v8, v31, v7
	v_add3_u32 v47, v8, v47, v7
	v_mul_lo_u32 v6, s15, v4
	v_mul_lo_u32 v7, s14, v5
	v_mad_u64_u32 v[4:5], s[0:1], s14, v4, 0
	v_add3_u32 v5, v5, v7, v6
	v_add_co_u32_e32 v6, vcc, 5, v27
	v_addc_co_u32_e32 v7, vcc, 0, v45, vcc
	v_mul_lo_u32 v11, s15, v9
	v_mul_lo_u32 v8, s15, v6
	;; [unrolled: 1-line block ×3, first 2 shown]
	v_mad_u64_u32 v[6:7], s[0:1], s14, v6, 0
	v_add3_u32 v7, v7, v9, v8
	v_add_co_u32_e32 v8, vcc, 4, v27
	v_addc_co_u32_e32 v9, vcc, 0, v45, vcc
	v_add3_u32 v33, v11, v33, v10
	v_add3_u32 v49, v11, v49, v10
	v_mul_lo_u32 v10, s15, v8
	v_mul_lo_u32 v11, s14, v9
	v_mad_u64_u32 v[8:9], s[0:1], s14, v8, 0
	v_add3_u32 v9, v9, v11, v10
	v_add_co_u32_e32 v10, vcc, 3, v27
	v_mul_lo_u32 v14, s15, v12
	v_addc_co_u32_e32 v11, vcc, 0, v45, vcc
	v_add3_u32 v35, v14, v35, v13
	v_add3_u32 v51, v14, v51, v13
	v_mul_lo_u32 v12, s15, v10
	v_mul_lo_u32 v13, s14, v11
	v_mad_u64_u32 v[10:11], s[0:1], s14, v10, 0
	v_add3_u32 v11, v11, v13, v12
	v_add_co_u32_e32 v12, vcc, 2, v27
	v_addc_co_u32_e32 v13, vcc, 0, v45, vcc
	v_mul_lo_u32 v14, s15, v12
	v_mul_lo_u32 v15, s14, v13
	v_mad_u64_u32 v[12:13], s[0:1], s14, v12, 0
	v_add3_u32 v13, v13, v15, v14
	v_pk_mov_b32 v[14:15], s[14:15], s[14:15] op_sel:[0,1]
	v_lshlrev_b64 v[2:3], 1, v[2:3]
	v_mad_u64_u32 v[14:15], s[0:1], s14, v27, v[14:15]
	v_add3_u32 v15, v61, v15, v62
	v_add_co_u32_e32 v62, vcc, s16, v2
	v_addc_co_u32_e32 v45, vcc, v83, v3, vcc
	v_add_co_u32_e32 v64, vcc, s18, v2
	v_addc_co_u32_e32 v61, vcc, v16, v3, vcc
	v_lshlrev_b64 v[2:3], 1, v[4:5]
	v_add_co_u32_e32 v66, vcc, s16, v2
	v_addc_co_u32_e32 v63, vcc, v83, v3, vcc
	v_add_co_u32_e32 v68, vcc, s18, v2
	v_addc_co_u32_e32 v65, vcc, v16, v3, vcc
	v_lshlrev_b64 v[2:3], 1, v[6:7]
	;; [unrolled: 5-line block ×6, first 2 shown]
	v_add_co_u32_e32 v86, vcc, s16, v2
	v_addc_co_u32_e32 v83, vcc, v83, v3, vcc
	v_mbcnt_lo_u32_b32 v4, -1, 0
	v_add_co_u32_e32 v88, vcc, s18, v2
	v_and_b32_e32 v89, 0x3ff, v0
	s_mul_i32 s0, s15, s7
	s_mul_hi_u32 s1, s14, s7
	v_mbcnt_hi_u32_b32 v4, -1, v4
	v_mul_lo_u32 v20, s15, v18
	v_mul_lo_u32 v23, s15, v21
	;; [unrolled: 1-line block ×3, first 2 shown]
	v_addc_co_u32_e32 v85, vcc, v16, v3, vcc
	v_add_u32_e32 v2, s33, v89
	v_mov_b32_e32 v3, 0
	s_add_i32 s1, s1, s0
	s_mul_i32 s0, s14, s7
	v_lshlrev_b32_e32 v4, 2, v4
	v_add3_u32 v39, v20, v39, v19
	v_add3_u32 v41, v23, v41, v22
	;; [unrolled: 1-line block ×6, first 2 shown]
	s_lshl_b64 s[16:17], s[0:1], 1
	v_and_b32_e32 v94, 0x100, v4
	v_mov_b32_e32 v26, v3
	v_mov_b32_e32 v27, v3
	v_lshlrev_b64 v[90:91], 1, v[2:3]
	s_branch .LBB88_55
.LBB88_52:                              ;   in Loop: Header=BB88_55 Depth=1
	s_or_b64 exec, exec, s[18:19]
.LBB88_53:                              ;   in Loop: Header=BB88_55 Depth=1
	s_or_b64 exec, exec, s[0:1]
	v_add_co_u32_e32 v4, vcc, v44, v90
	v_addc_co_u32_e32 v5, vcc, v1, v91, vcc
	global_load_ushort v7, v[4:5], off
	v_add_co_u32_e32 v4, vcc, v60, v90
	v_addc_co_u32_e32 v5, vcc, v29, v91, vcc
	global_load_ushort v8, v[4:5], off
	;; [unrolled: 3-line block ×16, first 2 shown]
	s_waitcnt vmcnt(16)
	ds_bpermute_b32 v24, v94, v2 offset:8
	s_waitcnt vmcnt(15)
	v_cvt_f32_f16_e32 v4, v7
	s_waitcnt vmcnt(14)
	v_cvt_f32_f16_e32 v7, v8
	;; [unrolled: 2-line block ×13, first 2 shown]
	ds_bpermute_b32 v19, v94, v6
	s_waitcnt vmcnt(2)
	v_cvt_f32_f16_e32 v22, v20
	s_waitcnt vmcnt(1)
	v_cvt_f32_f16_e32 v20, v21
	ds_bpermute_b32 v21, v94, v2
	s_waitcnt vmcnt(0)
	v_cvt_f32_f16_e32 v23, v5
	s_waitcnt lgkmcnt(1)
	v_sub_f32_e32 v5, v7, v19
	ds_bpermute_b32 v7, v94, v6 offset:4
	v_mul_f32_e32 v5, v5, v4
	s_waitcnt lgkmcnt(1)
	v_mul_f32_e32 v5, v5, v21
	ds_bpermute_b32 v19, v94, v2 offset:4
	ds_bpermute_b32 v21, v94, v6 offset:8
	s_waitcnt lgkmcnt(2)
	v_sub_f32_e32 v7, v9, v7
	v_mul_f32_e32 v7, v7, v8
	v_pk_add_f32 v[4:5], v[92:93], v[4:5]
	s_waitcnt lgkmcnt(1)
	v_mul_f32_e32 v9, v7, v19
	s_waitcnt lgkmcnt(0)
	v_sub_f32_e32 v7, v11, v21
	ds_bpermute_b32 v19, v94, v6 offset:12
	v_mul_f32_e32 v7, v7, v10
	v_mul_f32_e32 v11, v7, v24
	ds_bpermute_b32 v7, v94, v2 offset:12
	ds_bpermute_b32 v21, v94, v6 offset:16
	s_waitcnt lgkmcnt(2)
	v_sub_f32_e32 v13, v13, v19
	ds_bpermute_b32 v19, v94, v2 offset:16
	v_mul_f32_e32 v13, v13, v12
	s_waitcnt lgkmcnt(2)
	v_mul_f32_e32 v13, v13, v7
	s_waitcnt lgkmcnt(1)
	v_sub_f32_e32 v7, v15, v21
	ds_bpermute_b32 v21, v94, v6 offset:20
	v_mul_f32_e32 v7, v7, v14
	s_waitcnt lgkmcnt(1)
	v_mul_f32_e32 v15, v7, v19
	ds_bpermute_b32 v7, v94, v2 offset:20
	ds_bpermute_b32 v19, v94, v6 offset:24
	;; [unrolled: 1-line block ×3, first 2 shown]
	s_waitcnt lgkmcnt(3)
	v_sub_f32_e32 v17, v17, v21
	ds_bpermute_b32 v21, v94, v2 offset:24
	v_pk_add_f32 v[4:5], v[4:5], v[8:9]
	ds_bpermute_b32 v2, v94, v2 offset:28
	v_mul_f32_e32 v17, v17, v16
	v_pk_add_f32 v[4:5], v[4:5], v[10:11]
	s_waitcnt lgkmcnt(4)
	v_mul_f32_e32 v17, v17, v7
	s_waitcnt lgkmcnt(3)
	v_sub_f32_e32 v7, v22, v19
	v_pk_add_f32 v[4:5], v[4:5], v[12:13]
	v_mul_f32_e32 v7, v7, v18
	v_pk_add_f32 v[4:5], v[4:5], v[14:15]
	s_waitcnt lgkmcnt(2)
	v_sub_f32_e32 v6, v23, v6
	s_waitcnt lgkmcnt(1)
	v_mul_f32_e32 v19, v7, v21
	v_pk_add_f32 v[4:5], v[4:5], v[16:17]
	v_mul_f32_e32 v6, v6, v20
	v_pk_add_f32 v[4:5], v[4:5], v[18:19]
	s_waitcnt lgkmcnt(0)
	v_mul_f32_e32 v21, v6, v2
	v_pk_add_f32 v[26:27], v[4:5], v[20:21]
.LBB88_54:                              ;   in Loop: Header=BB88_55 Depth=1
	v_mov_b32_e32 v2, s17
	v_add_co_u32_e32 v30, vcc, s16, v30
	v_addc_co_u32_e32 v31, vcc, v31, v2, vcc
	v_add_co_u32_e32 v32, vcc, s16, v32
	v_addc_co_u32_e32 v33, vcc, v33, v2, vcc
	;; [unrolled: 2-line block ×29, first 2 shown]
	s_add_u32 s10, s10, s7
	v_add_co_u32_e32 v88, vcc, s16, v88
	s_addc_u32 s11, s11, 0
	v_addc_co_u32_e32 v85, vcc, v85, v2, vcc
	v_pk_mov_b32 v[4:5], s[12:13], s[12:13] op_sel:[0,1]
	s_add_u32 s8, s8, s7
	v_cmp_ge_i64_e32 vcc, s[10:11], v[4:5]
	s_addc_u32 s9, s9, 0
	s_cbranch_vccnz .LBB88_81
.LBB88_55:                              ; =>This Inner Loop Header: Depth=1
	v_pk_mov_b32 v[4:5], s[12:13], s[12:13] op_sel:[0,1]
	v_cmp_ge_i64_e32 vcc, s[8:9], v[4:5]
	v_mov_b32_e32 v2, s9
	v_add_co_u32_e64 v95, s[0:1], s8, v28
	v_mov_b32_e32 v92, v26
	v_mov_b32_e32 v93, v27
	v_addc_co_u32_e64 v96, s[0:1], 0, v2, s[0:1]
	s_cbranch_vccz .LBB88_77
; %bb.56:                               ;   in Loop: Header=BB88_55 Depth=1
	s_load_dword s0, s[2:3], 0xc
	v_mov_b32_e32 v26, 0
	v_mov_b32_e32 v27, 0
	s_waitcnt lgkmcnt(0)
	s_and_b32 s0, s0, 0xffff
	v_mad_u32_u24 v2, v87, s0, v89
	v_and_b32_e32 v2, 63, v2
	v_cmp_gt_u32_e32 vcc, 8, v2
	s_and_saveexec_b64 s[0:1], vcc
	s_cbranch_execz .LBB88_60
; %bb.57:                               ;   in Loop: Header=BB88_55 Depth=1
	v_add_co_u32_e32 v2, vcc, v95, v2
	v_addc_co_u32_e32 v5, vcc, 0, v96, vcc
	v_add_co_u32_e32 v4, vcc, 0xffffffc1, v2
	v_addc_co_u32_e32 v5, vcc, -1, v5, vcc
	v_cmp_gt_i64_e32 vcc, s[12:13], v[4:5]
	v_mov_b32_e32 v27, 0
	v_mov_b32_e32 v26, 0
	s_and_saveexec_b64 s[18:19], vcc
	s_cbranch_execz .LBB88_59
; %bb.58:                               ;   in Loop: Header=BB88_55 Depth=1
	v_lshlrev_b64 v[4:5], 2, v[4:5]
	v_mov_b32_e32 v2, s31
	v_add_co_u32_e32 v6, vcc, s30, v4
	v_addc_co_u32_e32 v7, vcc, v2, v5, vcc
	v_mov_b32_e32 v2, s29
	v_add_co_u32_e32 v4, vcc, s28, v4
	v_addc_co_u32_e32 v5, vcc, v2, v5, vcc
	global_load_dword v27, v[4:5], off
	global_load_dword v26, v[6:7], off
.LBB88_59:                              ;   in Loop: Header=BB88_55 Depth=1
	s_or_b64 exec, exec, s[18:19]
.LBB88_60:                              ;   in Loop: Header=BB88_55 Depth=1
	s_or_b64 exec, exec, s[0:1]
	s_mov_b32 s21, s20
	s_mov_b32 s22, s20
	;; [unrolled: 1-line block ×7, first 2 shown]
	v_pk_mov_b32 v[10:11], s[20:21], s[20:21] op_sel:[0,1]
	v_add_co_u32_e32 v4, vcc, 0xffffffc1, v95
	v_pk_mov_b32 v[16:17], s[26:27], s[26:27] op_sel:[0,1]
	v_addc_co_u32_e32 v5, vcc, -1, v96, vcc
	v_pk_mov_b32 v[12:13], s[22:23], s[22:23] op_sel:[0,1]
	v_pk_mov_b32 v[14:15], s[24:25], s[24:25] op_sel:[0,1]
	;; [unrolled: 1-line block ×3, first 2 shown]
	v_cmp_gt_i64_e32 vcc, s[12:13], v[4:5]
	v_pk_mov_b32 v[22:23], v[14:15], v[14:15] op_sel:[0,1]
	v_pk_mov_b32 v[20:21], v[12:13], v[12:13] op_sel:[0,1]
	;; [unrolled: 1-line block ×3, first 2 shown]
	s_and_saveexec_b64 s[0:1], vcc
	s_cbranch_execz .LBB88_62
; %bb.61:                               ;   in Loop: Header=BB88_55 Depth=1
	v_add_co_u32_e32 v4, vcc, v44, v90
	v_addc_co_u32_e32 v5, vcc, v1, v91, vcc
	global_load_ushort v2, v[4:5], off
	v_add_co_u32_e32 v4, vcc, v60, v90
	v_addc_co_u32_e32 v5, vcc, v29, v91, vcc
	global_load_ushort v10, v[4:5], off
	v_mov_b32_e32 v8, v3
	v_mov_b32_e32 v9, v3
	v_mov_b32_e32 v4, v3
	v_mov_b32_e32 v5, v3
	v_mov_b32_e32 v6, v3
	v_mov_b32_e32 v7, v3
	v_mov_b32_e32 v11, v3
	v_mov_b32_e32 v12, v3
	v_mov_b32_e32 v13, v3
	v_mov_b32_e32 v14, v3
	v_mov_b32_e32 v15, v3
	v_mov_b32_e32 v16, v3
	v_mov_b32_e32 v17, v3
	s_waitcnt vmcnt(1)
	v_cvt_f32_f16_e32 v2, v2
	v_pk_mov_b32 v[24:25], v[8:9], v[8:9] op_sel:[0,1]
	v_pk_mov_b32 v[22:23], v[6:7], v[6:7] op_sel:[0,1]
	;; [unrolled: 1-line block ×4, first 2 shown]
	s_waitcnt vmcnt(0)
	v_cvt_f32_f16_e32 v10, v10
.LBB88_62:                              ;   in Loop: Header=BB88_55 Depth=1
	s_or_b64 exec, exec, s[0:1]
	v_add_co_u32_e32 v4, vcc, 0xffffffc2, v95
	v_addc_co_u32_e32 v5, vcc, -1, v96, vcc
	v_cmp_gt_i64_e32 vcc, s[12:13], v[4:5]
	s_and_saveexec_b64 s[0:1], vcc
	s_cbranch_execz .LBB88_64
; %bb.63:                               ;   in Loop: Header=BB88_55 Depth=1
	v_add_co_u32_e32 v4, vcc, v86, v90
	v_addc_co_u32_e32 v5, vcc, v83, v91, vcc
	global_load_ushort v2, v[4:5], off
	v_add_co_u32_e32 v4, vcc, v88, v90
	v_addc_co_u32_e32 v5, vcc, v85, v91, vcc
	global_load_ushort v4, v[4:5], off
	s_waitcnt vmcnt(1)
	v_cvt_f32_f16_e32 v19, v2
	s_waitcnt vmcnt(0)
	v_cvt_f32_f16_e32 v11, v4
.LBB88_64:                              ;   in Loop: Header=BB88_55 Depth=1
	s_or_b64 exec, exec, s[0:1]
	v_add_co_u32_e32 v4, vcc, 0xffffffc3, v95
	v_addc_co_u32_e32 v5, vcc, -1, v96, vcc
	v_cmp_gt_i64_e32 vcc, s[12:13], v[4:5]
	s_and_saveexec_b64 s[0:1], vcc
	s_cbranch_execz .LBB88_66
; %bb.65:                               ;   in Loop: Header=BB88_55 Depth=1
	v_add_co_u32_e32 v4, vcc, v82, v90
	v_addc_co_u32_e32 v5, vcc, v79, v91, vcc
	global_load_ushort v2, v[4:5], off
	v_add_co_u32_e32 v4, vcc, v84, v90
	v_addc_co_u32_e32 v5, vcc, v81, v91, vcc
	global_load_ushort v4, v[4:5], off
	s_waitcnt vmcnt(1)
	v_cvt_f32_f16_e32 v20, v2
	s_waitcnt vmcnt(0)
	v_cvt_f32_f16_e32 v12, v4
.LBB88_66:                              ;   in Loop: Header=BB88_55 Depth=1
	;; [unrolled: 18-line block ×7, first 2 shown]
	s_or_b64 exec, exec, s[0:1]
	s_waitcnt vmcnt(1)
	ds_bpermute_b32 v2, v94, v27
	s_waitcnt vmcnt(0)
	ds_bpermute_b32 v4, v94, v26
	ds_bpermute_b32 v7, v94, v27 offset:4
	ds_bpermute_b32 v6, v94, v26 offset:4
	;; [unrolled: 1-line block ×3, first 2 shown]
	s_waitcnt lgkmcnt(4)
	v_sub_f32_e32 v2, v10, v2
	v_mul_f32_e32 v2, v18, v2
	s_waitcnt lgkmcnt(3)
	v_mul_f32_e32 v5, v2, v4
	ds_bpermute_b32 v4, v94, v26 offset:8
	s_waitcnt lgkmcnt(3)
	v_sub_f32_e32 v2, v11, v7
	v_mul_f32_e32 v2, v19, v2
	s_waitcnt lgkmcnt(2)
	v_mul_f32_e32 v7, v2, v6
	s_waitcnt lgkmcnt(1)
	v_sub_f32_e32 v2, v12, v8
	ds_bpermute_b32 v6, v94, v27 offset:12
	v_mul_f32_e32 v2, v20, v2
	s_waitcnt lgkmcnt(1)
	v_mul_f32_e32 v9, v2, v4
	ds_bpermute_b32 v2, v94, v26 offset:12
	ds_bpermute_b32 v4, v94, v27 offset:16
	;; [unrolled: 1-line block ×3, first 2 shown]
	s_waitcnt lgkmcnt(3)
	v_sub_f32_e32 v6, v13, v6
	v_mul_f32_e32 v6, v21, v6
	s_waitcnt lgkmcnt(2)
	v_mul_f32_e32 v11, v6, v2
	s_waitcnt lgkmcnt(1)
	v_sub_f32_e32 v2, v14, v4
	ds_bpermute_b32 v4, v94, v27 offset:20
	v_mul_f32_e32 v2, v22, v2
	s_waitcnt lgkmcnt(1)
	v_mul_f32_e32 v13, v2, v8
	ds_bpermute_b32 v2, v94, v26 offset:20
	ds_bpermute_b32 v6, v94, v27 offset:24
	;; [unrolled: 1-line block ×3, first 2 shown]
	s_waitcnt lgkmcnt(3)
	v_sub_f32_e32 v4, v15, v4
	v_mul_f32_e32 v4, v23, v4
	s_waitcnt lgkmcnt(2)
	v_mul_f32_e32 v15, v4, v2
	s_waitcnt lgkmcnt(1)
	v_sub_f32_e32 v2, v16, v6
	v_mul_f32_e32 v2, v24, v2
	s_waitcnt lgkmcnt(0)
	v_mul_f32_e32 v99, v2, v8
	v_mov_b32_e32 v4, v18
	ds_bpermute_b32 v2, v94, v27 offset:28
	v_pk_add_f32 v[4:5], v[92:93], v[4:5]
	v_mov_b32_e32 v6, v19
	v_pk_add_f32 v[4:5], v[6:7], v[4:5]
	v_mov_b32_e32 v8, v20
	ds_bpermute_b32 v6, v94, v26 offset:28
	v_pk_add_f32 v[4:5], v[8:9], v[4:5]
	v_mov_b32_e32 v10, v21
	v_pk_add_f32 v[4:5], v[10:11], v[4:5]
	v_mov_b32_e32 v12, v22
	;; [unrolled: 2-line block ×3, first 2 shown]
	s_waitcnt lgkmcnt(1)
	v_sub_f32_e32 v2, v17, v2
	v_pk_add_f32 v[4:5], v[14:15], v[4:5]
	v_mov_b32_e32 v98, v24
	v_mul_f32_e32 v2, v25, v2
	v_pk_add_f32 v[4:5], v[98:99], v[4:5]
	s_waitcnt lgkmcnt(0)
	v_mul_f32_e32 v7, v2, v6
	v_mov_b32_e32 v6, v25
	v_pk_add_f32 v[26:27], v[6:7], v[4:5]
	s_branch .LBB88_54
.LBB88_77:                              ;   in Loop: Header=BB88_55 Depth=1
                                        ; implicit-def: $vgpr27
	s_cbranch_execz .LBB88_54
; %bb.78:                               ;   in Loop: Header=BB88_55 Depth=1
	s_load_dword s0, s[2:3], 0x0
	v_mov_b32_e32 v2, 0
	v_mov_b32_e32 v6, 0
	s_waitcnt lgkmcnt(0)
	s_cmp_lt_u32 s6, s0
	s_cselect_b32 s0, 12, 18
	s_add_u32 s0, s2, s0
	s_addc_u32 s1, s3, 0
	global_load_ushort v4, v3, s[0:1]
	s_waitcnt vmcnt(0)
	v_mad_u32_u24 v4, v87, v4, v89
	v_and_b32_e32 v4, 63, v4
	v_cmp_gt_u32_e32 vcc, 8, v4
	s_and_saveexec_b64 s[0:1], vcc
	s_cbranch_execz .LBB88_53
; %bb.79:                               ;   in Loop: Header=BB88_55 Depth=1
	v_add_co_u32_e32 v2, vcc, v95, v4
	v_addc_co_u32_e32 v5, vcc, 0, v96, vcc
	v_add_co_u32_e32 v4, vcc, 0xffffffc1, v2
	v_addc_co_u32_e32 v5, vcc, -1, v5, vcc
	v_cmp_gt_i64_e32 vcc, s[12:13], v[4:5]
	v_mov_b32_e32 v6, 0
	v_mov_b32_e32 v2, 0
	s_and_saveexec_b64 s[18:19], vcc
	s_cbranch_execz .LBB88_52
; %bb.80:                               ;   in Loop: Header=BB88_55 Depth=1
	v_lshlrev_b64 v[4:5], 2, v[4:5]
	v_mov_b32_e32 v2, s31
	v_add_co_u32_e32 v8, vcc, s30, v4
	v_addc_co_u32_e32 v9, vcc, v2, v5, vcc
	v_mov_b32_e32 v2, s29
	v_add_co_u32_e32 v4, vcc, s28, v4
	v_addc_co_u32_e32 v5, vcc, v2, v5, vcc
	global_load_dword v6, v[4:5], off
	global_load_dword v2, v[8:9], off
	s_branch .LBB88_52
.LBB88_81:
	v_and_b32_e32 v2, 0x3ff, v0
	v_bfe_u32 v0, v0, 10, 10
	v_mad_u32_u24 v1, v0, 33, v2
	v_lshl_add_u32 v3, v1, 2, 0
	v_sub_u32_e32 v1, v1, v0
	s_movk_i32 s0, 0x800
	s_mov_b32 s7, 0
	v_cmp_gt_u32_e32 vcc, s0, v1
	ds_write_b32 v3, v27
	ds_write_b32 v3, v26 offset:1056
	s_waitcnt lgkmcnt(0)
	s_barrier
	s_and_saveexec_b64 s[0:1], vcc
	s_cbranch_execz .LBB88_91
; %bb.82:
	v_mbcnt_lo_u32_b32 v3, -1, 0
	v_mbcnt_hi_u32_b32 v3, -1, v3
	v_and_b32_e32 v4, 64, v3
	v_add_u32_e32 v4, 64, v4
	v_cmp_eq_u32_e64 s[2:3], 0, v2
	v_xor_b32_e32 v2, 4, v3
	v_cmp_lt_i32_e32 vcc, v2, v4
	s_load_dwordx4 s[8:11], s[4:5], 0x30
	v_cndmask_b32_e32 v2, v3, v2, vcc
	v_lshlrev_b32_e32 v8, 2, v2
	v_xor_b32_e32 v2, 2, v3
	v_cmp_lt_i32_e32 vcc, v2, v4
	v_cndmask_b32_e32 v2, v3, v2, vcc
	s_lshl_b64 s[12:13], s[6:7], 5
	v_lshlrev_b32_e32 v9, 2, v2
	v_xor_b32_e32 v2, 1, v3
	s_waitcnt lgkmcnt(0)
	s_cmp_lg_u64 s[8:9], 0
	v_cmp_lt_i32_e32 vcc, v2, v4
	v_lshrrev_b32_e32 v0, 6, v1
	s_cselect_b64 s[4:5], -1, 0
	s_cmp_lg_u64 s[10:11], 0
	v_cndmask_b32_e32 v2, v3, v2, vcc
	s_cselect_b64 s[18:19], -1, 0
	v_lshlrev_b32_e32 v10, 2, v2
	s_lshl_b64 s[6:7], s[6:7], 6
	v_lshlrev_b32_e32 v2, 1, v0
	v_mov_b32_e32 v3, s7
	v_add_co_u32_e32 v4, vcc, s6, v2
	v_and_b32_e32 v6, 63, v1
	v_addc_co_u32_e32 v5, vcc, 0, v3, vcc
	v_cmp_gt_u32_e64 s[0:1], 8, v6
	v_mov_b32_e32 v3, s11
	v_add_co_u32_e32 v2, vcc, s10, v4
	v_mad_u32_u24 v6, v6, 33, v0
	v_addc_co_u32_e32 v3, vcc, v3, v5, vcc
	v_lshl_add_u32 v11, v6, 2, 0
	v_cndmask_b32_e64 v6, 0, 1, s[4:5]
	v_mov_b32_e32 v7, s9
	v_add_co_u32_e32 v4, vcc, s8, v4
	v_cmp_ne_u32_e64 s[4:5], 1, v6
	v_cndmask_b32_e64 v6, 0, 1, s[18:19]
	v_mov_b32_e32 v1, 0
	s_mov_b64 s[16:17], 0
	v_addc_co_u32_e32 v5, vcc, v7, v5, vcc
	v_mov_b32_e32 v12, s13
	v_cmp_ne_u32_e64 s[6:7], 1, v6
                                        ; implicit-def: $vgpr6
	s_branch .LBB88_84
.LBB88_83:                              ;   in Loop: Header=BB88_84 Depth=1
	s_or_b64 exec, exec, s[8:9]
	v_add_co_u32_e32 v0, vcc, 4, v0
	v_addc_co_u32_e32 v1, vcc, 0, v1, vcc
	v_add_co_u32_e32 v2, vcc, 8, v2
	v_addc_co_u32_e32 v3, vcc, 0, v3, vcc
	v_add_co_u32_e32 v4, vcc, 8, v4
	v_add_u32_e32 v13, -4, v0
	v_addc_co_u32_e32 v5, vcc, 0, v5, vcc
	v_cmp_lt_u32_e32 vcc, 27, v13
	s_or_b64 s[16:17], vcc, s[16:17]
	v_add_u32_e32 v11, 16, v11
	s_andn2_b64 exec, exec, s[16:17]
	s_cbranch_execz .LBB88_91
.LBB88_84:                              ; =>This Inner Loop Header: Depth=1
	s_and_saveexec_b64 s[8:9], s[0:1]
	s_cbranch_execz .LBB88_86
; %bb.85:                               ;   in Loop: Header=BB88_84 Depth=1
	ds_read_b32 v7, v11
	ds_read_b32 v6, v11 offset:1056
.LBB88_86:                              ;   in Loop: Header=BB88_84 Depth=1
	s_or_b64 exec, exec, s[8:9]
	s_waitcnt lgkmcnt(1)
	ds_bpermute_b32 v15, v8, v7
	s_waitcnt lgkmcnt(1)
	ds_bpermute_b32 v14, v8, v6
	v_add_co_u32_e32 v16, vcc, s12, v0
	v_addc_co_u32_e32 v17, vcc, v12, v1, vcc
	s_waitcnt lgkmcnt(0)
	v_pk_add_f32 v[6:7], v[6:7], v[14:15]
	ds_bpermute_b32 v15, v9, v7
	ds_bpermute_b32 v14, v9, v6
	v_cmp_gt_i64_e32 vcc, s[14:15], v[16:17]
	s_and_b64 s[10:11], s[2:3], vcc
	s_waitcnt lgkmcnt(0)
	v_pk_add_f32 v[6:7], v[6:7], v[14:15]
	ds_bpermute_b32 v15, v10, v7
	ds_bpermute_b32 v14, v10, v6
	s_waitcnt lgkmcnt(0)
	v_pk_add_f32 v[6:7], v[6:7], v[14:15]
	s_and_saveexec_b64 s[8:9], s[10:11]
	s_cbranch_execz .LBB88_83
; %bb.87:                               ;   in Loop: Header=BB88_84 Depth=1
	s_and_b64 vcc, exec, s[4:5]
	s_cbranch_vccnz .LBB88_89
; %bb.88:                               ;   in Loop: Header=BB88_84 Depth=1
	v_cvt_f16_f32_e32 v13, v7
	global_store_short v[4:5], v13, off
.LBB88_89:                              ;   in Loop: Header=BB88_84 Depth=1
	s_and_b64 vcc, exec, s[6:7]
	s_cbranch_vccnz .LBB88_83
; %bb.90:                               ;   in Loop: Header=BB88_84 Depth=1
	v_cvt_f16_f32_e32 v13, v6
	global_store_short v[2:3], v13, off
	s_branch .LBB88_83
.LBB88_91:
	s_endpgm
	.section	.rodata,"a",@progbits
	.p2align	6, 0x0
	.amdhsa_kernel _ZN2at6native12_GLOBAL__N_135GammaBetaBackwardCUDAKernelTemplateIN3c104HalfEfLj32ELj8ELj64ELb0ELb0ELb0EEEvllPKT_S7_PKT0_SA_PS5_SB_
		.amdhsa_group_segment_fixed_size 0
		.amdhsa_private_segment_fixed_size 0
		.amdhsa_kernarg_size 320
		.amdhsa_user_sgpr_count 6
		.amdhsa_user_sgpr_private_segment_buffer 1
		.amdhsa_user_sgpr_dispatch_ptr 0
		.amdhsa_user_sgpr_queue_ptr 0
		.amdhsa_user_sgpr_kernarg_segment_ptr 1
		.amdhsa_user_sgpr_dispatch_id 0
		.amdhsa_user_sgpr_flat_scratch_init 0
		.amdhsa_user_sgpr_kernarg_preload_length 0
		.amdhsa_user_sgpr_kernarg_preload_offset 0
		.amdhsa_user_sgpr_private_segment_size 0
		.amdhsa_uses_dynamic_stack 0
		.amdhsa_system_sgpr_private_segment_wavefront_offset 0
		.amdhsa_system_sgpr_workgroup_id_x 1
		.amdhsa_system_sgpr_workgroup_id_y 1
		.amdhsa_system_sgpr_workgroup_id_z 0
		.amdhsa_system_sgpr_workgroup_info 0
		.amdhsa_system_vgpr_workitem_id 1
		.amdhsa_next_free_vgpr 100
		.amdhsa_next_free_sgpr 44
		.amdhsa_accum_offset 100
		.amdhsa_reserve_vcc 1
		.amdhsa_reserve_flat_scratch 0
		.amdhsa_float_round_mode_32 0
		.amdhsa_float_round_mode_16_64 0
		.amdhsa_float_denorm_mode_32 3
		.amdhsa_float_denorm_mode_16_64 3
		.amdhsa_dx10_clamp 1
		.amdhsa_ieee_mode 1
		.amdhsa_fp16_overflow 0
		.amdhsa_tg_split 0
		.amdhsa_exception_fp_ieee_invalid_op 0
		.amdhsa_exception_fp_denorm_src 0
		.amdhsa_exception_fp_ieee_div_zero 0
		.amdhsa_exception_fp_ieee_overflow 0
		.amdhsa_exception_fp_ieee_underflow 0
		.amdhsa_exception_fp_ieee_inexact 0
		.amdhsa_exception_int_div_zero 0
	.end_amdhsa_kernel
	.section	.text._ZN2at6native12_GLOBAL__N_135GammaBetaBackwardCUDAKernelTemplateIN3c104HalfEfLj32ELj8ELj64ELb0ELb0ELb0EEEvllPKT_S7_PKT0_SA_PS5_SB_,"axG",@progbits,_ZN2at6native12_GLOBAL__N_135GammaBetaBackwardCUDAKernelTemplateIN3c104HalfEfLj32ELj8ELj64ELb0ELb0ELb0EEEvllPKT_S7_PKT0_SA_PS5_SB_,comdat
.Lfunc_end88:
	.size	_ZN2at6native12_GLOBAL__N_135GammaBetaBackwardCUDAKernelTemplateIN3c104HalfEfLj32ELj8ELj64ELb0ELb0ELb0EEEvllPKT_S7_PKT0_SA_PS5_SB_, .Lfunc_end88-_ZN2at6native12_GLOBAL__N_135GammaBetaBackwardCUDAKernelTemplateIN3c104HalfEfLj32ELj8ELj64ELb0ELb0ELb0EEEvllPKT_S7_PKT0_SA_PS5_SB_
                                        ; -- End function
	.section	.AMDGPU.csdata,"",@progbits
; Kernel info:
; codeLenInByte = 7796
; NumSgprs: 48
; NumVgprs: 100
; NumAgprs: 0
; TotalNumVgprs: 100
; ScratchSize: 0
; MemoryBound: 0
; FloatMode: 240
; IeeeMode: 1
; LDSByteSize: 0 bytes/workgroup (compile time only)
; SGPRBlocks: 5
; VGPRBlocks: 12
; NumSGPRsForWavesPerEU: 48
; NumVGPRsForWavesPerEU: 100
; AccumOffset: 100
; Occupancy: 4
; WaveLimiterHint : 0
; COMPUTE_PGM_RSRC2:SCRATCH_EN: 0
; COMPUTE_PGM_RSRC2:USER_SGPR: 6
; COMPUTE_PGM_RSRC2:TRAP_HANDLER: 0
; COMPUTE_PGM_RSRC2:TGID_X_EN: 1
; COMPUTE_PGM_RSRC2:TGID_Y_EN: 1
; COMPUTE_PGM_RSRC2:TGID_Z_EN: 0
; COMPUTE_PGM_RSRC2:TIDIG_COMP_CNT: 1
; COMPUTE_PGM_RSRC3_GFX90A:ACCUM_OFFSET: 24
; COMPUTE_PGM_RSRC3_GFX90A:TG_SPLIT: 0
	.section	.text._ZN2at6native12_GLOBAL__N_135GammaBetaBackwardCUDAKernelTemplateIN3c104HalfEfLj32ELj16ELj128ELb0ELb1ELb0EEEvllPKT_S7_PKT0_SA_PS5_SB_,"axG",@progbits,_ZN2at6native12_GLOBAL__N_135GammaBetaBackwardCUDAKernelTemplateIN3c104HalfEfLj32ELj16ELj128ELb0ELb1ELb0EEEvllPKT_S7_PKT0_SA_PS5_SB_,comdat
	.globl	_ZN2at6native12_GLOBAL__N_135GammaBetaBackwardCUDAKernelTemplateIN3c104HalfEfLj32ELj16ELj128ELb0ELb1ELb0EEEvllPKT_S7_PKT0_SA_PS5_SB_ ; -- Begin function _ZN2at6native12_GLOBAL__N_135GammaBetaBackwardCUDAKernelTemplateIN3c104HalfEfLj32ELj16ELj128ELb0ELb1ELb0EEEvllPKT_S7_PKT0_SA_PS5_SB_
	.p2align	8
	.type	_ZN2at6native12_GLOBAL__N_135GammaBetaBackwardCUDAKernelTemplateIN3c104HalfEfLj32ELj16ELj128ELb0ELb1ELb0EEEvllPKT_S7_PKT0_SA_PS5_SB_,@function
_ZN2at6native12_GLOBAL__N_135GammaBetaBackwardCUDAKernelTemplateIN3c104HalfEfLj32ELj16ELj128ELb0ELb1ELb0EEEvllPKT_S7_PKT0_SA_PS5_SB_: ; @_ZN2at6native12_GLOBAL__N_135GammaBetaBackwardCUDAKernelTemplateIN3c104HalfEfLj32ELj16ELj128ELb0ELb1ELb0EEEvllPKT_S7_PKT0_SA_PS5_SB_
; %bb.0:
	s_load_dwordx4 s[20:23], s[4:5], 0x0
	s_lshl_b32 s2, s7, 7
	s_mov_b32 s3, 0
	v_bfe_u32 v12, v0, 10, 10
	s_waitcnt lgkmcnt(0)
	v_pk_mov_b32 v[2:3], s[20:21], s[20:21] op_sel:[0,1]
	v_cmp_lt_i64_e32 vcc, s[2:3], v[2:3]
	s_cbranch_vccnz .LBB89_2
; %bb.1:
	s_mov_b64 s[0:1], 0
	v_bfe_u32 v2, v0, 10, 10
	s_branch .LBB89_3
.LBB89_2:
	s_mov_b64 s[0:1], -1
                                        ; implicit-def: $vgpr2
.LBB89_3:
	s_load_dwordx4 s[16:19], s[4:5], 0x30
	v_and_b32_e32 v10, 0x3ff, v0
	s_andn2_b64 vcc, exec, s[0:1]
	v_mov_b32_e32 v1, s3
	v_mbcnt_lo_u32_b32 v11, -1, 0
	v_mov_b32_e32 v0, s3
	s_cbranch_vccnz .LBB89_11
; %bb.4:
	s_load_dword s0, s[4:5], 0x4c
	s_load_dword s7, s[4:5], 0x44
	s_load_dwordx8 s[8:15], s[4:5], 0x10
	v_mbcnt_hi_u32_b32 v4, -1, v11
	v_lshlrev_b32_e32 v2, 3, v12
	s_waitcnt lgkmcnt(0)
	s_and_b32 s0, s0, 0xffff
	v_lshlrev_b32_e32 v4, 2, v4
	v_mad_u32_u24 v0, v12, s0, v10
	v_and_b32_e32 v13, 0x100, v4
	v_mov_b32_e32 v4, s3
	v_add_co_u32_e32 v6, vcc, s2, v2
	v_and_b32_e32 v3, 63, v0
	v_addc_co_u32_e32 v7, vcc, 0, v4, vcc
	v_add_co_u32_e32 v2, vcc, v6, v3
	v_cmp_gt_u32_e64 s[0:1], 8, v3
	s_lshl_b32 s4, s7, 7
	v_addc_co_u32_e32 v3, vcc, 0, v7, vcc
	v_mul_lo_u32 v8, s23, v6
	v_mul_lo_u32 v9, s22, v7
	v_mad_u64_u32 v[6:7], s[26:27], s22, v6, 0
	v_mov_b32_e32 v1, 0
	v_lshl_add_u32 v0, s6, 5, v10
	v_add3_u32 v7, v7, v9, v8
	s_mul_i32 s7, s23, s4
	s_mul_hi_u32 s26, s22, s4
	s_mov_b32 s5, 0
	v_lshlrev_b64 v[6:7], 1, v[6:7]
	v_lshlrev_b64 v[8:9], 1, v[0:1]
	s_add_i32 s27, s26, s7
	s_mul_i32 s26, s22, s4
	s_lshl_b64 s[24:25], s[4:5], 2
	v_add_co_u32_e32 v6, vcc, v6, v8
	s_lshl_b64 s[26:27], s[26:27], 1
	s_lshl_b64 s[22:23], s[22:23], 1
	v_or_b32_e32 v14, 4, v13
	v_or_b32_e32 v15, 8, v13
	;; [unrolled: 1-line block ×7, first 2 shown]
	v_lshlrev_b64 v[4:5], 2, v[2:3]
	v_addc_co_u32_e32 v7, vcc, v7, v9, vcc
	v_mov_b32_e32 v21, s9
	v_mov_b32_e32 v22, s11
	;; [unrolled: 1-line block ×6, first 2 shown]
	v_pk_mov_b32 v[8:9], s[20:21], s[20:21] op_sel:[0,1]
	v_mov_b32_e32 v0, v1
	s_branch .LBB89_7
.LBB89_5:                               ;   in Loop: Header=BB89_7 Depth=1
	s_or_b64 exec, exec, s[30:31]
.LBB89_6:                               ;   in Loop: Header=BB89_7 Depth=1
	s_or_b64 exec, exec, s[28:29]
	v_add_co_u32_e32 v30, vcc, s8, v6
	v_addc_co_u32_e32 v31, vcc, v21, v7, vcc
	v_add_co_u32_e32 v32, vcc, s10, v6
	v_addc_co_u32_e32 v33, vcc, v22, v7, vcc
	global_load_ushort v29, v[30:31], off
	v_add_co_u32_e32 v30, vcc, s22, v30
	v_addc_co_u32_e32 v31, vcc, v31, v23, vcc
	global_load_ushort v34, v[32:33], off
	;; [unrolled: 3-line block ×13, first 2 shown]
	global_load_ushort v46, v[32:33], off
	v_add_co_u32_e32 v30, vcc, s22, v30
	v_addc_co_u32_e32 v31, vcc, v31, v23, vcc
	global_load_ushort v47, v[30:31], off
	v_add_co_u32_e32 v30, vcc, s22, v32
	v_addc_co_u32_e32 v31, vcc, v33, v23, vcc
	;; [unrolled: 3-line block ×3, first 2 shown]
	v_add_co_u32_e32 v2, vcc, s4, v2
	v_addc_co_u32_e32 v3, vcc, v3, v25, vcc
	s_waitcnt vmcnt(15)
	v_cvt_f32_f16_e32 v30, v29
	s_add_u32 s2, s2, s4
	v_add_co_u32_e32 v6, vcc, s26, v6
	s_addc_u32 s3, s3, 0
	s_waitcnt vmcnt(14)
	v_cvt_f32_f16_e32 v29, v34
	v_addc_co_u32_e32 v7, vcc, v7, v26, vcc
	v_cmp_lt_i64_e32 vcc, s[2:3], v[8:9]
	s_and_b64 vcc, exec, vcc
	s_waitcnt vmcnt(13)
	v_cvt_f32_f16_e32 v32, v35
	s_waitcnt vmcnt(12)
	v_cvt_f32_f16_e32 v33, v36
	;; [unrolled: 2-line block ×9, first 2 shown]
	ds_bpermute_b32 v43, v13, v28
	s_waitcnt vmcnt(4)
	v_cvt_f32_f16_e32 v41, v44
	s_waitcnt lgkmcnt(0)
	v_sub_f32_e32 v29, v29, v43
	ds_bpermute_b32 v43, v14, v28
	v_mul_f32_e32 v29, v29, v30
	s_waitcnt vmcnt(3)
	v_cvt_f32_f16_e32 v42, v45
	s_waitcnt vmcnt(2)
	v_cvt_f32_f16_e32 v45, v46
	ds_bpermute_b32 v46, v13, v27
	s_waitcnt lgkmcnt(1)
	v_sub_f32_e32 v33, v33, v43
	ds_bpermute_b32 v43, v15, v27
	v_mul_f32_e32 v33, v33, v32
	s_waitcnt vmcnt(1)
	v_cvt_f32_f16_e32 v44, v47
	s_waitcnt vmcnt(0)
	v_cvt_f32_f16_e32 v47, v31
	s_waitcnt lgkmcnt(1)
	v_mul_f32_e32 v31, v29, v46
	ds_bpermute_b32 v29, v14, v27
	ds_bpermute_b32 v46, v15, v28
	v_pk_add_f32 v[0:1], v[0:1], v[30:31]
	s_waitcnt lgkmcnt(1)
	v_mul_f32_e32 v33, v33, v29
	s_waitcnt lgkmcnt(0)
	v_sub_f32_e32 v29, v35, v46
	ds_bpermute_b32 v46, v16, v28
	v_mul_f32_e32 v29, v29, v34
	v_mul_f32_e32 v35, v29, v43
	ds_bpermute_b32 v29, v16, v27
	ds_bpermute_b32 v43, v17, v28
	s_waitcnt lgkmcnt(2)
	v_sub_f32_e32 v37, v37, v46
	ds_bpermute_b32 v46, v17, v27
	v_mul_f32_e32 v37, v37, v36
	s_waitcnt lgkmcnt(2)
	v_mul_f32_e32 v37, v37, v29
	s_waitcnt lgkmcnt(1)
	v_sub_f32_e32 v29, v39, v43
	ds_bpermute_b32 v43, v18, v28
	v_mul_f32_e32 v29, v29, v38
	s_waitcnt lgkmcnt(1)
	v_mul_f32_e32 v39, v29, v46
	ds_bpermute_b32 v29, v18, v27
	ds_bpermute_b32 v46, v19, v28
	;; [unrolled: 1-line block ×3, first 2 shown]
	s_waitcnt lgkmcnt(3)
	v_sub_f32_e32 v41, v41, v43
	ds_bpermute_b32 v43, v19, v27
	v_pk_add_f32 v[0:1], v[0:1], v[32:33]
	ds_bpermute_b32 v27, v20, v27
	v_mul_f32_e32 v41, v41, v40
	v_pk_add_f32 v[0:1], v[0:1], v[34:35]
	s_waitcnt lgkmcnt(4)
	v_mul_f32_e32 v41, v41, v29
	s_waitcnt lgkmcnt(3)
	v_sub_f32_e32 v29, v45, v46
	v_pk_add_f32 v[0:1], v[0:1], v[36:37]
	v_mul_f32_e32 v29, v29, v42
	v_pk_add_f32 v[0:1], v[0:1], v[38:39]
	s_waitcnt lgkmcnt(2)
	v_sub_f32_e32 v28, v47, v28
	s_waitcnt lgkmcnt(1)
	v_mul_f32_e32 v43, v29, v43
	v_pk_add_f32 v[0:1], v[0:1], v[40:41]
	v_mul_f32_e32 v28, v28, v44
	v_pk_add_f32 v[0:1], v[0:1], v[42:43]
	s_waitcnt lgkmcnt(0)
	v_mul_f32_e32 v45, v28, v27
	v_pk_add_f32 v[0:1], v[0:1], v[44:45]
	s_cbranch_vccz .LBB89_10
.LBB89_7:                               ; =>This Inner Loop Header: Depth=1
	v_mov_b32_e32 v27, 0
	v_mov_b32_e32 v28, 0
	s_and_saveexec_b64 s[28:29], s[0:1]
	s_cbranch_execz .LBB89_6
; %bb.8:                                ;   in Loop: Header=BB89_7 Depth=1
	v_cmp_gt_i64_e32 vcc, s[20:21], v[2:3]
	v_mov_b32_e32 v28, 0
	v_mov_b32_e32 v27, 0
	s_and_saveexec_b64 s[30:31], vcc
	s_cbranch_execz .LBB89_5
; %bb.9:                                ;   in Loop: Header=BB89_7 Depth=1
	v_mov_b32_e32 v27, s15
	v_add_co_u32_e32 v30, vcc, s14, v4
	v_addc_co_u32_e32 v31, vcc, v27, v5, vcc
	v_mov_b32_e32 v27, s13
	v_add_co_u32_e32 v32, vcc, s12, v4
	v_addc_co_u32_e32 v33, vcc, v27, v5, vcc
	global_load_dword v28, v[32:33], off
	global_load_dword v27, v[30:31], off
	s_branch .LBB89_5
.LBB89_10:
	v_mov_b32_e32 v2, v12
.LBB89_11:
	v_mad_u32_u24 v3, v2, 33, v10
	v_lshl_add_u32 v4, v3, 2, 0
	ds_write_b32 v4, v1
	ds_write_b32 v4, v0 offset:2112
	v_sub_u32_e32 v0, v3, v2
	s_movk_i32 s0, 0x800
	s_mov_b32 s7, 0
	v_cmp_gt_u32_e32 vcc, s0, v0
	s_waitcnt lgkmcnt(0)
	s_barrier
	s_and_saveexec_b64 s[0:1], vcc
	s_cbranch_execz .LBB89_21
; %bb.12:
	v_lshrrev_b32_e32 v4, 6, v0
	v_and_b32_e32 v5, 63, v0
	v_mbcnt_hi_u32_b32 v0, -1, v11
	v_and_b32_e32 v1, 64, v0
	v_add_u32_e32 v1, 64, v1
	v_xor_b32_e32 v2, 8, v0
	v_cmp_lt_i32_e32 vcc, v2, v1
	v_cndmask_b32_e32 v2, v0, v2, vcc
	v_lshlrev_b32_e32 v6, 2, v2
	v_xor_b32_e32 v2, 4, v0
	v_cmp_lt_i32_e32 vcc, v2, v1
	v_cndmask_b32_e32 v2, v0, v2, vcc
	v_lshlrev_b32_e32 v7, 2, v2
	;; [unrolled: 4-line block ×3, first 2 shown]
	v_xor_b32_e32 v2, 1, v0
	s_cmp_lg_u64 s[16:17], 0
	v_cmp_lt_i32_e32 vcc, v2, v1
	s_cselect_b64 s[4:5], -1, 0
	s_cmp_lg_u64 s[18:19], 0
	v_cndmask_b32_e32 v0, v0, v2, vcc
	s_cselect_b64 s[10:11], -1, 0
	v_lshlrev_b32_e32 v9, 2, v0
	s_lshl_b64 s[6:7], s[6:7], 6
	v_lshlrev_b32_e32 v0, 1, v4
	v_mov_b32_e32 v1, s7
	v_add_co_u32_e32 v2, vcc, s6, v0
	v_addc_co_u32_e32 v3, vcc, 0, v1, vcc
	v_mov_b32_e32 v1, s19
	v_add_co_u32_e32 v0, vcc, s18, v2
	v_addc_co_u32_e32 v1, vcc, v1, v3, vcc
	v_cmp_eq_u32_e64 s[2:3], 0, v10
	v_add_u32_e32 v10, -8, v4
	v_mov_b32_e32 v11, s17
	v_add_co_u32_e32 v2, vcc, s16, v2
	v_mad_u32_u24 v4, v5, 33, v4
	v_addc_co_u32_e32 v3, vcc, v11, v3, vcc
	v_lshl_add_u32 v11, v4, 2, 0
	v_cndmask_b32_e64 v4, 0, 1, s[4:5]
	v_cmp_ne_u32_e64 s[4:5], 1, v4
	v_cndmask_b32_e64 v4, 0, 1, s[10:11]
	v_cmp_gt_u32_e64 s[0:1], 16, v5
	s_mov_b64 s[8:9], 0
	v_cmp_ne_u32_e64 s[6:7], 1, v4
                                        ; implicit-def: $vgpr4
	s_branch .LBB89_14
.LBB89_13:                              ;   in Loop: Header=BB89_14 Depth=1
	s_or_b64 exec, exec, s[10:11]
	v_add_co_u32_e32 v0, vcc, 16, v0
	v_addc_co_u32_e32 v1, vcc, 0, v1, vcc
	v_add_co_u32_e32 v2, vcc, 16, v2
	v_add_u32_e32 v10, 8, v10
	v_addc_co_u32_e32 v3, vcc, 0, v3, vcc
	v_cmp_lt_u32_e32 vcc, 23, v10
	s_or_b64 s[8:9], vcc, s[8:9]
	v_add_u32_e32 v11, 32, v11
	s_andn2_b64 exec, exec, s[8:9]
	s_cbranch_execz .LBB89_21
.LBB89_14:                              ; =>This Inner Loop Header: Depth=1
	s_and_saveexec_b64 s[10:11], s[0:1]
	s_cbranch_execz .LBB89_16
; %bb.15:                               ;   in Loop: Header=BB89_14 Depth=1
	ds_read_b32 v5, v11
	ds_read_b32 v4, v11 offset:2112
.LBB89_16:                              ;   in Loop: Header=BB89_14 Depth=1
	s_or_b64 exec, exec, s[10:11]
	s_waitcnt lgkmcnt(1)
	ds_bpermute_b32 v13, v6, v5
	s_waitcnt lgkmcnt(1)
	ds_bpermute_b32 v12, v6, v4
	s_waitcnt lgkmcnt(0)
	v_pk_add_f32 v[4:5], v[4:5], v[12:13]
	ds_bpermute_b32 v13, v7, v5
	ds_bpermute_b32 v12, v7, v4
	s_waitcnt lgkmcnt(0)
	v_pk_add_f32 v[4:5], v[4:5], v[12:13]
	ds_bpermute_b32 v13, v8, v5
	;; [unrolled: 4-line block ×3, first 2 shown]
	ds_bpermute_b32 v12, v9, v4
	s_waitcnt lgkmcnt(0)
	v_pk_add_f32 v[4:5], v[4:5], v[12:13]
	s_and_saveexec_b64 s[10:11], s[2:3]
	s_cbranch_execz .LBB89_13
; %bb.17:                               ;   in Loop: Header=BB89_14 Depth=1
	s_and_b64 vcc, exec, s[4:5]
	s_cbranch_vccnz .LBB89_19
; %bb.18:                               ;   in Loop: Header=BB89_14 Depth=1
	v_cvt_f16_f32_e32 v12, v5
	global_store_short v[2:3], v12, off
.LBB89_19:                              ;   in Loop: Header=BB89_14 Depth=1
	s_and_b64 vcc, exec, s[6:7]
	s_cbranch_vccnz .LBB89_13
; %bb.20:                               ;   in Loop: Header=BB89_14 Depth=1
	v_cvt_f16_f32_e32 v12, v4
	global_store_short v[0:1], v12, off
	s_branch .LBB89_13
.LBB89_21:
	s_endpgm
	.section	.rodata,"a",@progbits
	.p2align	6, 0x0
	.amdhsa_kernel _ZN2at6native12_GLOBAL__N_135GammaBetaBackwardCUDAKernelTemplateIN3c104HalfEfLj32ELj16ELj128ELb0ELb1ELb0EEEvllPKT_S7_PKT0_SA_PS5_SB_
		.amdhsa_group_segment_fixed_size 0
		.amdhsa_private_segment_fixed_size 0
		.amdhsa_kernarg_size 320
		.amdhsa_user_sgpr_count 6
		.amdhsa_user_sgpr_private_segment_buffer 1
		.amdhsa_user_sgpr_dispatch_ptr 0
		.amdhsa_user_sgpr_queue_ptr 0
		.amdhsa_user_sgpr_kernarg_segment_ptr 1
		.amdhsa_user_sgpr_dispatch_id 0
		.amdhsa_user_sgpr_flat_scratch_init 0
		.amdhsa_user_sgpr_kernarg_preload_length 0
		.amdhsa_user_sgpr_kernarg_preload_offset 0
		.amdhsa_user_sgpr_private_segment_size 0
		.amdhsa_uses_dynamic_stack 0
		.amdhsa_system_sgpr_private_segment_wavefront_offset 0
		.amdhsa_system_sgpr_workgroup_id_x 1
		.amdhsa_system_sgpr_workgroup_id_y 1
		.amdhsa_system_sgpr_workgroup_id_z 0
		.amdhsa_system_sgpr_workgroup_info 0
		.amdhsa_system_vgpr_workitem_id 1
		.amdhsa_next_free_vgpr 48
		.amdhsa_next_free_sgpr 32
		.amdhsa_accum_offset 48
		.amdhsa_reserve_vcc 1
		.amdhsa_reserve_flat_scratch 0
		.amdhsa_float_round_mode_32 0
		.amdhsa_float_round_mode_16_64 0
		.amdhsa_float_denorm_mode_32 3
		.amdhsa_float_denorm_mode_16_64 3
		.amdhsa_dx10_clamp 1
		.amdhsa_ieee_mode 1
		.amdhsa_fp16_overflow 0
		.amdhsa_tg_split 0
		.amdhsa_exception_fp_ieee_invalid_op 0
		.amdhsa_exception_fp_denorm_src 0
		.amdhsa_exception_fp_ieee_div_zero 0
		.amdhsa_exception_fp_ieee_overflow 0
		.amdhsa_exception_fp_ieee_underflow 0
		.amdhsa_exception_fp_ieee_inexact 0
		.amdhsa_exception_int_div_zero 0
	.end_amdhsa_kernel
	.section	.text._ZN2at6native12_GLOBAL__N_135GammaBetaBackwardCUDAKernelTemplateIN3c104HalfEfLj32ELj16ELj128ELb0ELb1ELb0EEEvllPKT_S7_PKT0_SA_PS5_SB_,"axG",@progbits,_ZN2at6native12_GLOBAL__N_135GammaBetaBackwardCUDAKernelTemplateIN3c104HalfEfLj32ELj16ELj128ELb0ELb1ELb0EEEvllPKT_S7_PKT0_SA_PS5_SB_,comdat
.Lfunc_end89:
	.size	_ZN2at6native12_GLOBAL__N_135GammaBetaBackwardCUDAKernelTemplateIN3c104HalfEfLj32ELj16ELj128ELb0ELb1ELb0EEEvllPKT_S7_PKT0_SA_PS5_SB_, .Lfunc_end89-_ZN2at6native12_GLOBAL__N_135GammaBetaBackwardCUDAKernelTemplateIN3c104HalfEfLj32ELj16ELj128ELb0ELb1ELb0EEEvllPKT_S7_PKT0_SA_PS5_SB_
                                        ; -- End function
	.section	.AMDGPU.csdata,"",@progbits
; Kernel info:
; codeLenInByte = 1788
; NumSgprs: 36
; NumVgprs: 48
; NumAgprs: 0
; TotalNumVgprs: 48
; ScratchSize: 0
; MemoryBound: 0
; FloatMode: 240
; IeeeMode: 1
; LDSByteSize: 0 bytes/workgroup (compile time only)
; SGPRBlocks: 4
; VGPRBlocks: 5
; NumSGPRsForWavesPerEU: 36
; NumVGPRsForWavesPerEU: 48
; AccumOffset: 48
; Occupancy: 8
; WaveLimiterHint : 0
; COMPUTE_PGM_RSRC2:SCRATCH_EN: 0
; COMPUTE_PGM_RSRC2:USER_SGPR: 6
; COMPUTE_PGM_RSRC2:TRAP_HANDLER: 0
; COMPUTE_PGM_RSRC2:TGID_X_EN: 1
; COMPUTE_PGM_RSRC2:TGID_Y_EN: 1
; COMPUTE_PGM_RSRC2:TGID_Z_EN: 0
; COMPUTE_PGM_RSRC2:TIDIG_COMP_CNT: 1
; COMPUTE_PGM_RSRC3_GFX90A:ACCUM_OFFSET: 11
; COMPUTE_PGM_RSRC3_GFX90A:TG_SPLIT: 0
	.section	.text._ZN2at6native12_GLOBAL__N_135GammaBetaBackwardCUDAKernelTemplateIN3c104HalfEfLj32ELj16ELj128ELb0ELb0ELb0EEEvllPKT_S7_PKT0_SA_PS5_SB_,"axG",@progbits,_ZN2at6native12_GLOBAL__N_135GammaBetaBackwardCUDAKernelTemplateIN3c104HalfEfLj32ELj16ELj128ELb0ELb0ELb0EEEvllPKT_S7_PKT0_SA_PS5_SB_,comdat
	.globl	_ZN2at6native12_GLOBAL__N_135GammaBetaBackwardCUDAKernelTemplateIN3c104HalfEfLj32ELj16ELj128ELb0ELb0ELb0EEEvllPKT_S7_PKT0_SA_PS5_SB_ ; -- Begin function _ZN2at6native12_GLOBAL__N_135GammaBetaBackwardCUDAKernelTemplateIN3c104HalfEfLj32ELj16ELj128ELb0ELb0ELb0EEEvllPKT_S7_PKT0_SA_PS5_SB_
	.p2align	8
	.type	_ZN2at6native12_GLOBAL__N_135GammaBetaBackwardCUDAKernelTemplateIN3c104HalfEfLj32ELj16ELj128ELb0ELb0ELb0EEEvllPKT_S7_PKT0_SA_PS5_SB_,@function
_ZN2at6native12_GLOBAL__N_135GammaBetaBackwardCUDAKernelTemplateIN3c104HalfEfLj32ELj16ELj128ELb0ELb0ELb0EEEvllPKT_S7_PKT0_SA_PS5_SB_: ; @_ZN2at6native12_GLOBAL__N_135GammaBetaBackwardCUDAKernelTemplateIN3c104HalfEfLj32ELj16ELj128ELb0ELb0ELb0EEEvllPKT_S7_PKT0_SA_PS5_SB_
; %bb.0:
	s_load_dwordx8 s[12:19], s[4:5], 0x0
	s_load_dwordx4 s[28:31], s[4:5], 0x20
	s_lshl_b32 s33, s6, 5
	s_mov_b32 s20, 0
	s_or_b32 s0, s33, 31
	s_mov_b32 s1, s20
	s_waitcnt lgkmcnt(0)
	v_pk_mov_b32 v[2:3], s[14:15], s[14:15] op_sel:[0,1]
	v_cmp_ge_i64_e32 vcc, s[0:1], v[2:3]
	s_lshl_b32 s10, s7, 7
	s_mov_b32 s11, s20
	v_pk_mov_b32 v[2:3], s[12:13], s[12:13] op_sel:[0,1]
	v_cmp_lt_i64_e64 s[0:1], s[10:11], v[2:3]
	v_cndmask_b32_e64 v1, 0, 1, s[0:1]
	v_cmp_ne_u32_e64 s[0:1], 1, v1
	s_cbranch_vccz .LBB90_48
; %bb.1:
	v_mov_b32_e32 v27, 0
	s_and_b64 vcc, exec, s[0:1]
	v_mov_b32_e32 v26, v27
	s_cbranch_vccnz .LBB90_49
; %bb.2:
	v_and_b32_e32 v61, 0x3ff, v0
	v_bfe_u32 v63, v0, 10, 10
	v_add_u32_e32 v2, s33, v61
	v_mov_b32_e32 v3, 0
	v_lshlrev_b32_e32 v28, 3, v63
	v_cmp_gt_i64_e64 s[2:3], s[14:15], v[2:3]
	v_lshlrev_b64 v[30:31], 1, v[2:3]
	v_mov_b32_e32 v1, s11
	v_add_co_u32_e32 v2, vcc, s10, v28
	v_addc_co_u32_e32 v6, vcc, 0, v1, vcc
	v_add_co_u32_e32 v1, vcc, 7, v2
	v_addc_co_u32_e32 v4, vcc, 0, v6, vcc
	v_mul_lo_u32 v7, s15, v1
	v_mul_lo_u32 v8, s14, v4
	v_mad_u64_u32 v[4:5], s[8:9], s14, v1, 0
	s_load_dword s7, s[4:5], 0x44
	v_add3_u32 v5, v5, v8, v7
	v_lshlrev_b64 v[4:5], 1, v[4:5]
	v_mov_b32_e32 v7, s17
	v_add_co_u32_e32 v32, vcc, s16, v4
	v_addc_co_u32_e32 v1, vcc, v7, v5, vcc
	s_add_u32 s34, s4, 64
	v_mov_b32_e32 v8, s19
	v_add_co_u32_e32 v34, vcc, s18, v4
	s_addc_u32 s35, s5, 0
	s_waitcnt lgkmcnt(0)
	s_lshl_b32 s7, s7, 7
	v_addc_co_u32_e32 v29, vcc, v8, v5, vcc
	s_mul_i32 s8, s15, s7
	s_mul_hi_u32 s9, s14, s7
	v_add_co_u32_e32 v4, vcc, 6, v2
	s_add_i32 s9, s9, s8
	s_mul_i32 s8, s14, s7
	v_addc_co_u32_e32 v5, vcc, 0, v6, vcc
	s_lshl_b64 s[36:37], s[8:9], 1
	v_mul_lo_u32 v9, s15, v4
	v_mul_lo_u32 v10, s14, v5
	v_mad_u64_u32 v[4:5], s[8:9], s14, v4, 0
	v_add3_u32 v5, v5, v10, v9
	v_lshlrev_b64 v[4:5], 1, v[4:5]
	v_add_co_u32_e32 v36, vcc, s16, v4
	v_addc_co_u32_e32 v33, vcc, v7, v5, vcc
	v_add_co_u32_e32 v38, vcc, s18, v4
	v_addc_co_u32_e32 v35, vcc, v8, v5, vcc
	v_add_co_u32_e32 v4, vcc, 5, v2
	v_addc_co_u32_e32 v5, vcc, 0, v6, vcc
	v_mul_lo_u32 v9, s15, v4
	v_mul_lo_u32 v10, s14, v5
	v_mad_u64_u32 v[4:5], s[8:9], s14, v4, 0
	v_add3_u32 v5, v5, v10, v9
	v_lshlrev_b64 v[4:5], 1, v[4:5]
	v_add_co_u32_e32 v40, vcc, s16, v4
	v_addc_co_u32_e32 v37, vcc, v7, v5, vcc
	v_add_co_u32_e32 v42, vcc, s18, v4
	v_addc_co_u32_e32 v39, vcc, v8, v5, vcc
	v_add_co_u32_e32 v4, vcc, 4, v2
	v_addc_co_u32_e32 v5, vcc, 0, v6, vcc
	;; [unrolled: 11-line block ×4, first 2 shown]
	v_mul_lo_u32 v9, s15, v4
	v_mul_lo_u32 v10, s14, v5
	v_mad_u64_u32 v[4:5], s[8:9], s14, v4, 0
	v_add3_u32 v5, v5, v10, v9
	v_lshlrev_b64 v[4:5], 1, v[4:5]
	v_add_co_u32_e32 v52, vcc, s16, v4
	v_addc_co_u32_e32 v49, vcc, v7, v5, vcc
	v_add_co_u32_e32 v54, vcc, s18, v4
	v_addc_co_u32_e32 v51, vcc, v8, v5, vcc
	v_pk_mov_b32 v[4:5], s[14:15], s[14:15] op_sel:[0,1]
	v_mad_u64_u32 v[4:5], s[8:9], s14, v2, v[4:5]
	v_mul_lo_u32 v6, s14, v6
	v_mul_lo_u32 v9, s15, v2
	v_add3_u32 v5, v9, v5, v6
	v_lshlrev_b64 v[4:5], 1, v[4:5]
	v_add_co_u32_e32 v56, vcc, s16, v4
	v_addc_co_u32_e32 v53, vcc, v7, v5, vcc
	v_add_co_u32_e32 v58, vcc, s18, v4
	v_addc_co_u32_e32 v55, vcc, v8, v5, vcc
	v_mad_u64_u32 v[4:5], s[8:9], s14, v2, 0
	v_add3_u32 v5, v5, v6, v9
	v_lshlrev_b64 v[4:5], 1, v[4:5]
	v_add_co_u32_e32 v60, vcc, s16, v4
	v_mbcnt_lo_u32_b32 v2, -1, 0
	v_addc_co_u32_e32 v57, vcc, v7, v5, vcc
	v_mbcnt_hi_u32_b32 v2, -1, v2
	s_add_u32 s38, s10, 0x7f
	v_add_co_u32_e32 v62, vcc, s18, v4
	v_lshlrev_b32_e32 v2, 2, v2
	s_addc_u32 s39, 0, 0
	v_addc_co_u32_e32 v59, vcc, v8, v5, vcc
	v_and_b32_e32 v64, 0x100, v2
	s_mov_b64 s[40:41], s[10:11]
	v_mov_b32_e32 v26, v3
	v_mov_b32_e32 v27, v3
	s_branch .LBB90_5
.LBB90_3:                               ;   in Loop: Header=BB90_5 Depth=1
	s_or_b64 exec, exec, s[8:9]
	s_waitcnt vmcnt(1)
	ds_bpermute_b32 v2, v64, v68
	ds_bpermute_b32 v4, v64, v68 offset:4
	s_waitcnt vmcnt(0)
	ds_bpermute_b32 v5, v64, v67
	ds_bpermute_b32 v6, v64, v67 offset:4
	ds_bpermute_b32 v8, v64, v67 offset:12
	s_waitcnt lgkmcnt(4)
	v_sub_f32_e32 v2, v10, v2
	v_mul_f32_e32 v2, v18, v2
	s_waitcnt lgkmcnt(3)
	v_sub_f32_e32 v4, v11, v4
	s_waitcnt lgkmcnt(2)
	v_mul_f32_e32 v5, v2, v5
	ds_bpermute_b32 v2, v64, v68 offset:8
	v_mul_f32_e32 v4, v19, v4
	s_waitcnt lgkmcnt(2)
	v_mul_f32_e32 v7, v4, v6
	ds_bpermute_b32 v4, v64, v67 offset:8
	ds_bpermute_b32 v6, v64, v68 offset:12
	s_waitcnt lgkmcnt(2)
	v_sub_f32_e32 v2, v12, v2
	v_mul_f32_e32 v2, v20, v2
	v_mov_b32_e32 v10, v21
	s_waitcnt lgkmcnt(1)
	v_mul_f32_e32 v9, v2, v4
	s_waitcnt lgkmcnt(0)
	v_sub_f32_e32 v2, v13, v6
	ds_bpermute_b32 v4, v64, v68 offset:16
	v_mul_f32_e32 v2, v21, v2
	v_mul_f32_e32 v11, v2, v8
	ds_bpermute_b32 v2, v64, v67 offset:16
	ds_bpermute_b32 v6, v64, v68 offset:20
	;; [unrolled: 1-line block ×3, first 2 shown]
	s_waitcnt lgkmcnt(3)
	v_sub_f32_e32 v4, v14, v4
	v_mul_f32_e32 v4, v22, v4
	s_waitcnt lgkmcnt(2)
	v_mul_f32_e32 v13, v4, v2
	s_waitcnt lgkmcnt(1)
	v_sub_f32_e32 v2, v15, v6
	v_mul_f32_e32 v2, v23, v2
	s_waitcnt lgkmcnt(0)
	v_mul_f32_e32 v15, v2, v8
	v_mov_b32_e32 v4, v18
	ds_bpermute_b32 v2, v64, v68 offset:24
	v_pk_add_f32 v[4:5], v[26:27], v[4:5]
	v_mov_b32_e32 v6, v19
	v_pk_add_f32 v[4:5], v[6:7], v[4:5]
	ds_bpermute_b32 v7, v64, v67 offset:24
	v_mov_b32_e32 v8, v20
	v_pk_add_f32 v[4:5], v[8:9], v[4:5]
	v_pk_add_f32 v[4:5], v[10:11], v[4:5]
	v_mov_b32_e32 v12, v22
	s_waitcnt lgkmcnt(1)
	v_sub_f32_e32 v8, v16, v2
	v_pk_add_f32 v[4:5], v[12:13], v[4:5]
	v_mov_b32_e32 v14, v23
	v_mul_f32_e32 v8, v24, v8
	v_pk_add_f32 v[4:5], v[14:15], v[4:5]
	s_waitcnt lgkmcnt(0)
	v_mul_f32_e32 v9, v8, v7
	v_mov_b32_e32 v8, v24
	ds_bpermute_b32 v2, v64, v67 offset:28
	ds_bpermute_b32 v6, v64, v68 offset:28
	v_pk_add_f32 v[4:5], v[8:9], v[4:5]
.LBB90_4:                               ;   in Loop: Header=BB90_5 Depth=1
	s_waitcnt lgkmcnt(0)
	v_sub_f32_e32 v6, v17, v6
	v_mul_f32_e32 v6, v25, v6
	v_mul_f32_e32 v7, v6, v2
	v_mov_b32_e32 v2, s37
	v_add_co_u32_e32 v32, vcc, s36, v32
	v_addc_co_u32_e32 v1, vcc, v1, v2, vcc
	v_add_co_u32_e32 v34, vcc, s36, v34
	v_addc_co_u32_e32 v29, vcc, v29, v2, vcc
	;; [unrolled: 2-line block ×15, first 2 shown]
	v_mov_b32_e32 v6, v25
	s_add_u32 s40, s40, s7
	v_add_co_u32_e32 v62, vcc, s36, v62
	v_pk_add_f32 v[26:27], v[4:5], v[6:7]
	s_addc_u32 s41, s41, 0
	v_addc_co_u32_e32 v59, vcc, v59, v2, vcc
	v_pk_mov_b32 v[4:5], s[12:13], s[12:13] op_sel:[0,1]
	s_add_u32 s38, s38, s7
	v_cmp_lt_i64_e32 vcc, s[40:41], v[4:5]
	s_addc_u32 s39, s39, 0
	s_cbranch_vccz .LBB90_49
.LBB90_5:                               ; =>This Inner Loop Header: Depth=1
	v_pk_mov_b32 v[4:5], s[12:13], s[12:13] op_sel:[0,1]
	v_cmp_ge_i64_e32 vcc, s[38:39], v[4:5]
	v_mov_b32_e32 v2, s39
	v_add_co_u32_e64 v65, s[8:9], s38, v28
	v_addc_co_u32_e64 v66, s[8:9], 0, v2, s[8:9]
	s_cbranch_vccz .LBB90_27
; %bb.6:                                ;   in Loop: Header=BB90_5 Depth=1
	s_load_dword s8, s[34:35], 0xc
	v_mov_b32_e32 v67, 0
	v_mov_b32_e32 v68, 0
	s_waitcnt lgkmcnt(0)
	s_and_b32 s8, s8, 0xffff
	v_mad_u32_u24 v2, v63, s8, v61
	v_and_b32_e32 v2, 63, v2
	v_cmp_gt_u32_e32 vcc, 8, v2
	s_and_saveexec_b64 s[8:9], vcc
	s_cbranch_execz .LBB90_10
; %bb.7:                                ;   in Loop: Header=BB90_5 Depth=1
	v_add_co_u32_e32 v2, vcc, v65, v2
	v_addc_co_u32_e32 v5, vcc, 0, v66, vcc
	v_add_co_u32_e32 v4, vcc, 0xffffff81, v2
	v_addc_co_u32_e32 v5, vcc, -1, v5, vcc
	v_cmp_gt_i64_e32 vcc, s[12:13], v[4:5]
	v_mov_b32_e32 v68, 0
	v_mov_b32_e32 v67, 0
	s_and_saveexec_b64 s[22:23], vcc
	s_cbranch_execz .LBB90_9
; %bb.8:                                ;   in Loop: Header=BB90_5 Depth=1
	v_lshlrev_b64 v[4:5], 2, v[4:5]
	v_mov_b32_e32 v2, s31
	v_add_co_u32_e32 v6, vcc, s30, v4
	v_addc_co_u32_e32 v7, vcc, v2, v5, vcc
	v_mov_b32_e32 v2, s29
	v_add_co_u32_e32 v4, vcc, s28, v4
	v_addc_co_u32_e32 v5, vcc, v2, v5, vcc
	global_load_dword v68, v[4:5], off
	global_load_dword v67, v[6:7], off
.LBB90_9:                               ;   in Loop: Header=BB90_5 Depth=1
	s_or_b64 exec, exec, s[22:23]
.LBB90_10:                              ;   in Loop: Header=BB90_5 Depth=1
	s_or_b64 exec, exec, s[8:9]
	s_mov_b32 s21, s20
	v_add_co_u32_e32 v4, vcc, 0xffffff81, v65
	s_mov_b32 s22, s20
	s_mov_b32 s23, s20
	;; [unrolled: 1-line block ×6, first 2 shown]
	v_pk_mov_b32 v[10:11], s[20:21], s[20:21] op_sel:[0,1]
	v_addc_co_u32_e32 v5, vcc, -1, v66, vcc
	v_pk_mov_b32 v[16:17], s[26:27], s[26:27] op_sel:[0,1]
	v_cmp_gt_i64_e32 vcc, s[12:13], v[4:5]
	v_pk_mov_b32 v[12:13], s[22:23], s[22:23] op_sel:[0,1]
	v_pk_mov_b32 v[14:15], s[24:25], s[24:25] op_sel:[0,1]
	v_pk_mov_b32 v[24:25], v[16:17], v[16:17] op_sel:[0,1]
	s_and_b64 s[42:43], s[2:3], vcc
	v_pk_mov_b32 v[22:23], v[14:15], v[14:15] op_sel:[0,1]
	v_pk_mov_b32 v[20:21], v[12:13], v[12:13] op_sel:[0,1]
	;; [unrolled: 1-line block ×3, first 2 shown]
	s_and_saveexec_b64 s[8:9], s[42:43]
	s_cbranch_execz .LBB90_12
; %bb.11:                               ;   in Loop: Header=BB90_5 Depth=1
	v_add_co_u32_e32 v4, vcc, v60, v30
	v_addc_co_u32_e32 v5, vcc, v57, v31, vcc
	global_load_ushort v2, v[4:5], off
	v_add_co_u32_e32 v4, vcc, v62, v30
	v_addc_co_u32_e32 v5, vcc, v59, v31, vcc
	global_load_ushort v10, v[4:5], off
	v_mov_b32_e32 v8, v3
	v_mov_b32_e32 v9, v3
	;; [unrolled: 1-line block ×13, first 2 shown]
	s_waitcnt vmcnt(1)
	v_cvt_f32_f16_e32 v2, v2
	v_pk_mov_b32 v[24:25], v[8:9], v[8:9] op_sel:[0,1]
	v_pk_mov_b32 v[22:23], v[6:7], v[6:7] op_sel:[0,1]
	;; [unrolled: 1-line block ×4, first 2 shown]
	s_waitcnt vmcnt(0)
	v_cvt_f32_f16_e32 v10, v10
.LBB90_12:                              ;   in Loop: Header=BB90_5 Depth=1
	s_or_b64 exec, exec, s[8:9]
	v_add_co_u32_e32 v4, vcc, 0xffffff82, v65
	v_addc_co_u32_e32 v5, vcc, -1, v66, vcc
	v_cmp_gt_i64_e32 vcc, s[12:13], v[4:5]
	s_and_b64 s[22:23], s[2:3], vcc
	s_and_saveexec_b64 s[8:9], s[22:23]
	s_cbranch_execz .LBB90_14
; %bb.13:                               ;   in Loop: Header=BB90_5 Depth=1
	v_add_co_u32_e32 v4, vcc, v56, v30
	v_addc_co_u32_e32 v5, vcc, v53, v31, vcc
	global_load_ushort v2, v[4:5], off
	v_add_co_u32_e32 v4, vcc, v58, v30
	v_addc_co_u32_e32 v5, vcc, v55, v31, vcc
	global_load_ushort v4, v[4:5], off
	s_waitcnt vmcnt(1)
	v_cvt_f32_f16_e32 v19, v2
	s_waitcnt vmcnt(0)
	v_cvt_f32_f16_e32 v11, v4
.LBB90_14:                              ;   in Loop: Header=BB90_5 Depth=1
	s_or_b64 exec, exec, s[8:9]
	v_add_co_u32_e32 v4, vcc, 0xffffff83, v65
	v_addc_co_u32_e32 v5, vcc, -1, v66, vcc
	v_cmp_gt_i64_e32 vcc, s[12:13], v[4:5]
	s_and_b64 s[22:23], s[2:3], vcc
	s_and_saveexec_b64 s[8:9], s[22:23]
	s_cbranch_execz .LBB90_16
; %bb.15:                               ;   in Loop: Header=BB90_5 Depth=1
	v_add_co_u32_e32 v4, vcc, v52, v30
	v_addc_co_u32_e32 v5, vcc, v49, v31, vcc
	global_load_ushort v2, v[4:5], off
	v_add_co_u32_e32 v4, vcc, v54, v30
	v_addc_co_u32_e32 v5, vcc, v51, v31, vcc
	global_load_ushort v4, v[4:5], off
	s_waitcnt vmcnt(1)
	v_cvt_f32_f16_e32 v20, v2
	s_waitcnt vmcnt(0)
	v_cvt_f32_f16_e32 v12, v4
.LBB90_16:                              ;   in Loop: Header=BB90_5 Depth=1
	;; [unrolled: 19-line block ×7, first 2 shown]
	s_or_b64 exec, exec, s[8:9]
	s_waitcnt vmcnt(1)
	ds_bpermute_b32 v2, v64, v68
	ds_bpermute_b32 v4, v64, v68 offset:4
	s_waitcnt vmcnt(0)
	ds_bpermute_b32 v5, v64, v67
	ds_bpermute_b32 v6, v64, v67 offset:4
	ds_bpermute_b32 v8, v64, v67 offset:12
	s_waitcnt lgkmcnt(4)
	v_sub_f32_e32 v2, v10, v2
	v_mul_f32_e32 v2, v18, v2
	s_waitcnt lgkmcnt(3)
	v_sub_f32_e32 v4, v11, v4
	s_waitcnt lgkmcnt(2)
	v_mul_f32_e32 v5, v2, v5
	ds_bpermute_b32 v2, v64, v68 offset:8
	v_mul_f32_e32 v4, v19, v4
	s_waitcnt lgkmcnt(2)
	v_mul_f32_e32 v7, v4, v6
	ds_bpermute_b32 v4, v64, v67 offset:8
	ds_bpermute_b32 v6, v64, v68 offset:12
	s_waitcnt lgkmcnt(2)
	v_sub_f32_e32 v2, v12, v2
	v_mul_f32_e32 v2, v20, v2
	v_mov_b32_e32 v10, v21
	s_waitcnt lgkmcnt(1)
	v_mul_f32_e32 v9, v2, v4
	s_waitcnt lgkmcnt(0)
	v_sub_f32_e32 v2, v13, v6
	ds_bpermute_b32 v4, v64, v68 offset:16
	v_mul_f32_e32 v2, v21, v2
	v_mul_f32_e32 v11, v2, v8
	ds_bpermute_b32 v2, v64, v67 offset:16
	ds_bpermute_b32 v6, v64, v68 offset:20
	;; [unrolled: 1-line block ×3, first 2 shown]
	s_waitcnt lgkmcnt(3)
	v_sub_f32_e32 v4, v14, v4
	v_mul_f32_e32 v4, v22, v4
	s_waitcnt lgkmcnt(2)
	v_mul_f32_e32 v13, v4, v2
	s_waitcnt lgkmcnt(1)
	v_sub_f32_e32 v2, v15, v6
	v_mul_f32_e32 v2, v23, v2
	s_waitcnt lgkmcnt(0)
	v_mul_f32_e32 v15, v2, v8
	ds_bpermute_b32 v2, v64, v68 offset:24
	v_mov_b32_e32 v4, v18
	v_pk_add_f32 v[4:5], v[26:27], v[4:5]
	v_mov_b32_e32 v6, v19
	v_pk_add_f32 v[4:5], v[6:7], v[4:5]
	ds_bpermute_b32 v7, v64, v67 offset:24
	v_mov_b32_e32 v8, v20
	s_waitcnt lgkmcnt(1)
	v_sub_f32_e32 v2, v16, v2
	v_pk_add_f32 v[4:5], v[8:9], v[4:5]
	v_mul_f32_e32 v8, v24, v2
	ds_bpermute_b32 v2, v64, v67 offset:28
	ds_bpermute_b32 v6, v64, v68 offset:28
	v_pk_add_f32 v[4:5], v[10:11], v[4:5]
	v_mov_b32_e32 v12, v22
	v_pk_add_f32 v[4:5], v[12:13], v[4:5]
	v_mov_b32_e32 v14, v23
	v_pk_add_f32 v[4:5], v[14:15], v[4:5]
	s_waitcnt lgkmcnt(2)
	v_mul_f32_e32 v9, v8, v7
	v_mov_b32_e32 v8, v24
	v_pk_add_f32 v[4:5], v[8:9], v[4:5]
	s_branch .LBB90_4
.LBB90_27:                              ;   in Loop: Header=BB90_5 Depth=1
                                        ; implicit-def: $vgpr4_vgpr5
                                        ; implicit-def: $vgpr2
                                        ; implicit-def: $vgpr10_vgpr11_vgpr12_vgpr13_vgpr14_vgpr15_vgpr16_vgpr17
                                        ; implicit-def: $vgpr18_vgpr19_vgpr20_vgpr21_vgpr22_vgpr23_vgpr24_vgpr25
                                        ; implicit-def: $vgpr6
	s_cbranch_execz .LBB90_4
; %bb.28:                               ;   in Loop: Header=BB90_5 Depth=1
	s_load_dword s8, s[34:35], 0x0
	v_mov_b32_e32 v67, 0
	v_mov_b32_e32 v68, 0
	s_waitcnt lgkmcnt(0)
	s_cmp_lt_u32 s6, s8
	s_cselect_b32 s8, 12, 18
	s_add_u32 s8, s34, s8
	s_addc_u32 s9, s35, 0
	global_load_ushort v2, v3, s[8:9]
	s_waitcnt vmcnt(0)
	v_mad_u32_u24 v2, v63, v2, v61
	v_and_b32_e32 v2, 63, v2
	v_cmp_gt_u32_e32 vcc, 8, v2
	s_and_saveexec_b64 s[8:9], vcc
	s_cbranch_execz .LBB90_32
; %bb.29:                               ;   in Loop: Header=BB90_5 Depth=1
	v_add_co_u32_e32 v2, vcc, v65, v2
	v_addc_co_u32_e32 v5, vcc, 0, v66, vcc
	v_add_co_u32_e32 v4, vcc, 0xffffff81, v2
	v_addc_co_u32_e32 v5, vcc, -1, v5, vcc
	v_cmp_gt_i64_e32 vcc, s[12:13], v[4:5]
	v_mov_b32_e32 v68, 0
	v_mov_b32_e32 v67, 0
	s_and_saveexec_b64 s[22:23], vcc
	s_cbranch_execz .LBB90_31
; %bb.30:                               ;   in Loop: Header=BB90_5 Depth=1
	v_lshlrev_b64 v[4:5], 2, v[4:5]
	v_mov_b32_e32 v2, s31
	v_add_co_u32_e32 v6, vcc, s30, v4
	v_addc_co_u32_e32 v7, vcc, v2, v5, vcc
	v_mov_b32_e32 v2, s29
	v_add_co_u32_e32 v4, vcc, s28, v4
	v_addc_co_u32_e32 v5, vcc, v2, v5, vcc
	global_load_dword v68, v[4:5], off
	global_load_dword v67, v[6:7], off
.LBB90_31:                              ;   in Loop: Header=BB90_5 Depth=1
	s_or_b64 exec, exec, s[22:23]
.LBB90_32:                              ;   in Loop: Header=BB90_5 Depth=1
	s_or_b64 exec, exec, s[8:9]
	s_mov_b32 s21, s20
	s_mov_b32 s22, s20
	;; [unrolled: 1-line block ×7, first 2 shown]
	v_pk_mov_b32 v[10:11], s[20:21], s[20:21] op_sel:[0,1]
	v_pk_mov_b32 v[16:17], s[26:27], s[26:27] op_sel:[0,1]
	;; [unrolled: 1-line block ×8, first 2 shown]
	s_and_saveexec_b64 s[8:9], s[2:3]
	s_cbranch_execnz .LBB90_40
; %bb.33:                               ;   in Loop: Header=BB90_5 Depth=1
	s_or_b64 exec, exec, s[8:9]
	s_and_saveexec_b64 s[8:9], s[2:3]
	s_cbranch_execnz .LBB90_41
.LBB90_34:                              ;   in Loop: Header=BB90_5 Depth=1
	s_or_b64 exec, exec, s[8:9]
	s_and_saveexec_b64 s[8:9], s[2:3]
	s_cbranch_execnz .LBB90_42
.LBB90_35:                              ;   in Loop: Header=BB90_5 Depth=1
	s_or_b64 exec, exec, s[8:9]
	s_and_saveexec_b64 s[8:9], s[2:3]
	s_cbranch_execnz .LBB90_43
.LBB90_36:                              ;   in Loop: Header=BB90_5 Depth=1
	s_or_b64 exec, exec, s[8:9]
	s_and_saveexec_b64 s[8:9], s[2:3]
	s_cbranch_execnz .LBB90_44
.LBB90_37:                              ;   in Loop: Header=BB90_5 Depth=1
	s_or_b64 exec, exec, s[8:9]
	s_and_saveexec_b64 s[8:9], s[2:3]
	s_cbranch_execnz .LBB90_45
.LBB90_38:                              ;   in Loop: Header=BB90_5 Depth=1
	s_or_b64 exec, exec, s[8:9]
	s_and_saveexec_b64 s[8:9], s[2:3]
	s_cbranch_execnz .LBB90_46
.LBB90_39:                              ;   in Loop: Header=BB90_5 Depth=1
	s_or_b64 exec, exec, s[8:9]
	s_and_saveexec_b64 s[8:9], s[2:3]
	s_cbranch_execz .LBB90_3
	s_branch .LBB90_47
.LBB90_40:                              ;   in Loop: Header=BB90_5 Depth=1
	v_add_co_u32_e32 v4, vcc, v60, v30
	v_addc_co_u32_e32 v5, vcc, v57, v31, vcc
	global_load_ushort v2, v[4:5], off
	v_add_co_u32_e32 v4, vcc, v62, v30
	v_addc_co_u32_e32 v5, vcc, v59, v31, vcc
	global_load_ushort v10, v[4:5], off
	v_mov_b32_e32 v8, v3
	v_mov_b32_e32 v9, v3
	;; [unrolled: 1-line block ×13, first 2 shown]
	s_waitcnt vmcnt(1)
	v_cvt_f32_f16_e32 v2, v2
	v_pk_mov_b32 v[24:25], v[8:9], v[8:9] op_sel:[0,1]
	v_pk_mov_b32 v[22:23], v[6:7], v[6:7] op_sel:[0,1]
	;; [unrolled: 1-line block ×4, first 2 shown]
	s_waitcnt vmcnt(0)
	v_cvt_f32_f16_e32 v10, v10
	s_or_b64 exec, exec, s[8:9]
	s_and_saveexec_b64 s[8:9], s[2:3]
	s_cbranch_execz .LBB90_34
.LBB90_41:                              ;   in Loop: Header=BB90_5 Depth=1
	v_add_co_u32_e32 v4, vcc, v56, v30
	v_addc_co_u32_e32 v5, vcc, v53, v31, vcc
	global_load_ushort v2, v[4:5], off
	v_add_co_u32_e32 v4, vcc, v58, v30
	v_addc_co_u32_e32 v5, vcc, v55, v31, vcc
	global_load_ushort v4, v[4:5], off
	s_waitcnt vmcnt(1)
	v_cvt_f32_f16_e32 v19, v2
	s_waitcnt vmcnt(0)
	v_cvt_f32_f16_e32 v11, v4
	s_or_b64 exec, exec, s[8:9]
	s_and_saveexec_b64 s[8:9], s[2:3]
	s_cbranch_execz .LBB90_35
.LBB90_42:                              ;   in Loop: Header=BB90_5 Depth=1
	v_add_co_u32_e32 v4, vcc, v52, v30
	v_addc_co_u32_e32 v5, vcc, v49, v31, vcc
	global_load_ushort v2, v[4:5], off
	v_add_co_u32_e32 v4, vcc, v54, v30
	v_addc_co_u32_e32 v5, vcc, v51, v31, vcc
	global_load_ushort v4, v[4:5], off
	s_waitcnt vmcnt(1)
	v_cvt_f32_f16_e32 v20, v2
	s_waitcnt vmcnt(0)
	v_cvt_f32_f16_e32 v12, v4
	s_or_b64 exec, exec, s[8:9]
	s_and_saveexec_b64 s[8:9], s[2:3]
	s_cbranch_execz .LBB90_36
.LBB90_43:                              ;   in Loop: Header=BB90_5 Depth=1
	v_add_co_u32_e32 v4, vcc, v48, v30
	v_addc_co_u32_e32 v5, vcc, v45, v31, vcc
	global_load_ushort v2, v[4:5], off
	v_add_co_u32_e32 v4, vcc, v50, v30
	v_addc_co_u32_e32 v5, vcc, v47, v31, vcc
	global_load_ushort v4, v[4:5], off
	s_waitcnt vmcnt(1)
	v_cvt_f32_f16_e32 v21, v2
	s_waitcnt vmcnt(0)
	v_cvt_f32_f16_e32 v13, v4
	s_or_b64 exec, exec, s[8:9]
	s_and_saveexec_b64 s[8:9], s[2:3]
	s_cbranch_execz .LBB90_37
.LBB90_44:                              ;   in Loop: Header=BB90_5 Depth=1
	v_add_co_u32_e32 v4, vcc, v44, v30
	v_addc_co_u32_e32 v5, vcc, v41, v31, vcc
	global_load_ushort v2, v[4:5], off
	v_add_co_u32_e32 v4, vcc, v46, v30
	v_addc_co_u32_e32 v5, vcc, v43, v31, vcc
	global_load_ushort v4, v[4:5], off
	s_waitcnt vmcnt(1)
	v_cvt_f32_f16_e32 v22, v2
	s_waitcnt vmcnt(0)
	v_cvt_f32_f16_e32 v14, v4
	s_or_b64 exec, exec, s[8:9]
	s_and_saveexec_b64 s[8:9], s[2:3]
	s_cbranch_execz .LBB90_38
.LBB90_45:                              ;   in Loop: Header=BB90_5 Depth=1
	v_add_co_u32_e32 v4, vcc, v40, v30
	v_addc_co_u32_e32 v5, vcc, v37, v31, vcc
	global_load_ushort v2, v[4:5], off
	v_add_co_u32_e32 v4, vcc, v42, v30
	v_addc_co_u32_e32 v5, vcc, v39, v31, vcc
	global_load_ushort v4, v[4:5], off
	s_waitcnt vmcnt(1)
	v_cvt_f32_f16_e32 v23, v2
	s_waitcnt vmcnt(0)
	v_cvt_f32_f16_e32 v15, v4
	s_or_b64 exec, exec, s[8:9]
	s_and_saveexec_b64 s[8:9], s[2:3]
	s_cbranch_execz .LBB90_39
.LBB90_46:                              ;   in Loop: Header=BB90_5 Depth=1
	v_add_co_u32_e32 v4, vcc, v36, v30
	v_addc_co_u32_e32 v5, vcc, v33, v31, vcc
	global_load_ushort v2, v[4:5], off
	v_add_co_u32_e32 v4, vcc, v38, v30
	v_addc_co_u32_e32 v5, vcc, v35, v31, vcc
	global_load_ushort v4, v[4:5], off
	s_waitcnt vmcnt(1)
	v_cvt_f32_f16_e32 v24, v2
	s_waitcnt vmcnt(0)
	v_cvt_f32_f16_e32 v16, v4
	s_or_b64 exec, exec, s[8:9]
	s_and_saveexec_b64 s[8:9], s[2:3]
	s_cbranch_execz .LBB90_3
.LBB90_47:                              ;   in Loop: Header=BB90_5 Depth=1
	v_add_co_u32_e32 v4, vcc, v32, v30
	v_addc_co_u32_e32 v5, vcc, v1, v31, vcc
	global_load_ushort v2, v[4:5], off
	v_add_co_u32_e32 v4, vcc, v34, v30
	v_addc_co_u32_e32 v5, vcc, v29, v31, vcc
	global_load_ushort v4, v[4:5], off
	s_waitcnt vmcnt(1)
	v_cvt_f32_f16_e32 v25, v2
	s_waitcnt vmcnt(0)
	v_cvt_f32_f16_e32 v17, v4
	s_branch .LBB90_3
.LBB90_48:
                                        ; implicit-def: $vgpr27
	s_branch .LBB90_50
.LBB90_49:
	s_cbranch_execnz .LBB90_81
.LBB90_50:
	v_mov_b32_e32 v27, 0
	s_mov_b32 s20, 0
	s_and_b64 vcc, exec, s[0:1]
	v_mov_b32_e32 v26, v27
	s_cbranch_vccnz .LBB90_81
; %bb.51:
	s_load_dword s0, s[4:5], 0x44
	s_add_u32 s2, s4, 64
	s_addc_u32 s3, s5, 0
	v_bfe_u32 v87, v0, 10, 10
	v_lshlrev_b32_e32 v1, 4, v87
	s_waitcnt lgkmcnt(0)
	s_lshl_b32 s7, s0, 7
	s_add_u32 s8, s10, 0x7f
	s_addc_u32 s9, 0, 0
	s_lshl_b64 s[0:1], s[10:11], 1
	v_mov_b32_e32 v2, s1
	v_add_co_u32_e32 v1, vcc, s0, v1
	v_addc_co_u32_e32 v4, vcc, 0, v2, vcc
	v_add_co_u32_e32 v6, vcc, 2, v1
	v_addc_co_u32_e32 v5, vcc, 0, v4, vcc
	v_add_co_u32_e32 v9, vcc, 4, v1
	v_mul_lo_u32 v7, s14, v5
	v_addc_co_u32_e32 v5, vcc, 0, v4, vcc
	v_add_co_u32_e32 v12, vcc, 6, v1
	v_mul_lo_u32 v10, s14, v5
	v_addc_co_u32_e32 v5, vcc, 0, v4, vcc
	v_add_co_u32_e32 v15, vcc, 8, v1
	v_mul_lo_u32 v13, s14, v5
	v_addc_co_u32_e32 v5, vcc, 0, v4, vcc
	v_add_co_u32_e32 v18, vcc, 10, v1
	v_mul_lo_u32 v16, s14, v5
	v_addc_co_u32_e32 v5, vcc, 0, v4, vcc
	v_add_co_u32_e32 v21, vcc, 12, v1
	v_mul_lo_u32 v19, s14, v5
	v_addc_co_u32_e32 v5, vcc, 0, v4, vcc
	v_add_co_u32_e32 v24, vcc, 14, v1
	v_lshlrev_b32_e32 v28, 3, v87
	v_addc_co_u32_e32 v1, vcc, 0, v4, vcc
	v_mul_lo_u32 v25, s14, v1
	v_mov_b32_e32 v1, s11
	v_add_co_u32_e32 v27, vcc, s10, v28
	v_pk_mov_b32 v[2:3], s[16:17], s[16:17] op_sel:[0,1]
	v_addc_co_u32_e32 v45, vcc, 0, v1, vcc
	v_mad_u64_u32 v[30:31], s[0:1], s14, v6, v[2:3]
	v_mad_u64_u32 v[32:33], s[0:1], s14, v9, v[2:3]
	;; [unrolled: 1-line block ×7, first 2 shown]
	v_mul_lo_u32 v61, s15, v27
	v_mul_lo_u32 v62, s14, v45
	v_mad_u64_u32 v[2:3], s[0:1], s14, v27, 0
	v_add3_u32 v3, v3, v62, v61
	v_lshlrev_b64 v[2:3], 1, v[2:3]
	v_mul_lo_u32 v22, s14, v5
	v_mov_b32_e32 v83, s17
	v_add_co_u32_e32 v44, vcc, s16, v2
	v_pk_mov_b32 v[4:5], s[18:19], s[18:19] op_sel:[0,1]
	v_mul_lo_u32 v17, s15, v15
	v_addc_co_u32_e32 v1, vcc, v83, v3, vcc
	v_mad_u64_u32 v[52:53], s[0:1], s14, v15, v[4:5]
	v_add3_u32 v37, v17, v37, v16
	v_add3_u32 v53, v17, v53, v16
	v_mov_b32_e32 v16, s19
	v_add_co_u32_e32 v60, vcc, s18, v2
	v_addc_co_u32_e32 v29, vcc, v16, v3, vcc
	v_add_co_u32_e32 v2, vcc, 7, v27
	v_addc_co_u32_e32 v3, vcc, 0, v45, vcc
	v_mad_u64_u32 v[46:47], s[0:1], s14, v6, v[4:5]
	v_mad_u64_u32 v[48:49], s[0:1], s14, v9, v[4:5]
	;; [unrolled: 1-line block ×6, first 2 shown]
	v_mul_lo_u32 v4, s15, v2
	v_mul_lo_u32 v5, s14, v3
	v_mad_u64_u32 v[2:3], s[0:1], s14, v2, 0
	v_add3_u32 v3, v3, v5, v4
	v_add_co_u32_e32 v4, vcc, 6, v27
	v_mul_lo_u32 v8, s15, v6
	v_addc_co_u32_e32 v5, vcc, 0, v45, vcc
	v_add3_u32 v31, v8, v31, v7
	v_add3_u32 v47, v8, v47, v7
	v_mul_lo_u32 v6, s15, v4
	v_mul_lo_u32 v7, s14, v5
	v_mad_u64_u32 v[4:5], s[0:1], s14, v4, 0
	v_add3_u32 v5, v5, v7, v6
	v_add_co_u32_e32 v6, vcc, 5, v27
	v_addc_co_u32_e32 v7, vcc, 0, v45, vcc
	v_mul_lo_u32 v11, s15, v9
	v_mul_lo_u32 v8, s15, v6
	;; [unrolled: 1-line block ×3, first 2 shown]
	v_mad_u64_u32 v[6:7], s[0:1], s14, v6, 0
	v_add3_u32 v7, v7, v9, v8
	v_add_co_u32_e32 v8, vcc, 4, v27
	v_addc_co_u32_e32 v9, vcc, 0, v45, vcc
	v_add3_u32 v33, v11, v33, v10
	v_add3_u32 v49, v11, v49, v10
	v_mul_lo_u32 v10, s15, v8
	v_mul_lo_u32 v11, s14, v9
	v_mad_u64_u32 v[8:9], s[0:1], s14, v8, 0
	v_add3_u32 v9, v9, v11, v10
	v_add_co_u32_e32 v10, vcc, 3, v27
	v_mul_lo_u32 v14, s15, v12
	v_addc_co_u32_e32 v11, vcc, 0, v45, vcc
	v_add3_u32 v35, v14, v35, v13
	v_add3_u32 v51, v14, v51, v13
	v_mul_lo_u32 v12, s15, v10
	v_mul_lo_u32 v13, s14, v11
	v_mad_u64_u32 v[10:11], s[0:1], s14, v10, 0
	v_add3_u32 v11, v11, v13, v12
	v_add_co_u32_e32 v12, vcc, 2, v27
	v_addc_co_u32_e32 v13, vcc, 0, v45, vcc
	v_mul_lo_u32 v14, s15, v12
	v_mul_lo_u32 v15, s14, v13
	v_mad_u64_u32 v[12:13], s[0:1], s14, v12, 0
	v_add3_u32 v13, v13, v15, v14
	v_pk_mov_b32 v[14:15], s[14:15], s[14:15] op_sel:[0,1]
	v_lshlrev_b64 v[2:3], 1, v[2:3]
	v_mad_u64_u32 v[14:15], s[0:1], s14, v27, v[14:15]
	v_add3_u32 v15, v61, v15, v62
	v_add_co_u32_e32 v62, vcc, s16, v2
	v_addc_co_u32_e32 v45, vcc, v83, v3, vcc
	v_add_co_u32_e32 v64, vcc, s18, v2
	v_addc_co_u32_e32 v61, vcc, v16, v3, vcc
	v_lshlrev_b64 v[2:3], 1, v[4:5]
	v_add_co_u32_e32 v66, vcc, s16, v2
	v_addc_co_u32_e32 v63, vcc, v83, v3, vcc
	v_add_co_u32_e32 v68, vcc, s18, v2
	v_addc_co_u32_e32 v65, vcc, v16, v3, vcc
	v_lshlrev_b64 v[2:3], 1, v[6:7]
	v_add_co_u32_e32 v70, vcc, s16, v2
	v_addc_co_u32_e32 v67, vcc, v83, v3, vcc
	v_add_co_u32_e32 v72, vcc, s18, v2
	v_addc_co_u32_e32 v69, vcc, v16, v3, vcc
	v_lshlrev_b64 v[2:3], 1, v[8:9]
	v_add_co_u32_e32 v74, vcc, s16, v2
	v_addc_co_u32_e32 v71, vcc, v83, v3, vcc
	v_add_co_u32_e32 v76, vcc, s18, v2
	v_addc_co_u32_e32 v73, vcc, v16, v3, vcc
	v_lshlrev_b64 v[2:3], 1, v[10:11]
	v_add_co_u32_e32 v78, vcc, s16, v2
	v_addc_co_u32_e32 v75, vcc, v83, v3, vcc
	v_add_co_u32_e32 v80, vcc, s18, v2
	v_addc_co_u32_e32 v77, vcc, v16, v3, vcc
	v_lshlrev_b64 v[2:3], 1, v[12:13]
	v_add_co_u32_e32 v82, vcc, s16, v2
	v_addc_co_u32_e32 v79, vcc, v83, v3, vcc
	v_add_co_u32_e32 v84, vcc, s18, v2
	v_addc_co_u32_e32 v81, vcc, v16, v3, vcc
	v_lshlrev_b64 v[2:3], 1, v[14:15]
	v_add_co_u32_e32 v86, vcc, s16, v2
	v_addc_co_u32_e32 v83, vcc, v83, v3, vcc
	v_mbcnt_lo_u32_b32 v4, -1, 0
	v_add_co_u32_e32 v88, vcc, s18, v2
	v_and_b32_e32 v89, 0x3ff, v0
	s_mul_i32 s0, s15, s7
	s_mul_hi_u32 s1, s14, s7
	v_mbcnt_hi_u32_b32 v4, -1, v4
	v_mul_lo_u32 v20, s15, v18
	v_mul_lo_u32 v23, s15, v21
	;; [unrolled: 1-line block ×3, first 2 shown]
	v_addc_co_u32_e32 v85, vcc, v16, v3, vcc
	v_add_u32_e32 v2, s33, v89
	v_mov_b32_e32 v3, 0
	s_add_i32 s1, s1, s0
	s_mul_i32 s0, s14, s7
	v_lshlrev_b32_e32 v4, 2, v4
	v_add3_u32 v39, v20, v39, v19
	v_add3_u32 v41, v23, v41, v22
	;; [unrolled: 1-line block ×6, first 2 shown]
	s_lshl_b64 s[16:17], s[0:1], 1
	v_and_b32_e32 v94, 0x100, v4
	v_mov_b32_e32 v26, v3
	v_mov_b32_e32 v27, v3
	v_lshlrev_b64 v[90:91], 1, v[2:3]
	s_branch .LBB90_55
.LBB90_52:                              ;   in Loop: Header=BB90_55 Depth=1
	s_or_b64 exec, exec, s[18:19]
.LBB90_53:                              ;   in Loop: Header=BB90_55 Depth=1
	s_or_b64 exec, exec, s[0:1]
	v_add_co_u32_e32 v4, vcc, v44, v90
	v_addc_co_u32_e32 v5, vcc, v1, v91, vcc
	global_load_ushort v7, v[4:5], off
	v_add_co_u32_e32 v4, vcc, v60, v90
	v_addc_co_u32_e32 v5, vcc, v29, v91, vcc
	global_load_ushort v8, v[4:5], off
	;; [unrolled: 3-line block ×16, first 2 shown]
	s_waitcnt vmcnt(16)
	ds_bpermute_b32 v24, v94, v2 offset:8
	s_waitcnt vmcnt(15)
	v_cvt_f32_f16_e32 v4, v7
	s_waitcnt vmcnt(14)
	v_cvt_f32_f16_e32 v7, v8
	;; [unrolled: 2-line block ×13, first 2 shown]
	ds_bpermute_b32 v19, v94, v6
	s_waitcnt vmcnt(2)
	v_cvt_f32_f16_e32 v22, v20
	s_waitcnt vmcnt(1)
	v_cvt_f32_f16_e32 v20, v21
	ds_bpermute_b32 v21, v94, v2
	s_waitcnt vmcnt(0)
	v_cvt_f32_f16_e32 v23, v5
	s_waitcnt lgkmcnt(1)
	v_sub_f32_e32 v5, v7, v19
	ds_bpermute_b32 v7, v94, v6 offset:4
	v_mul_f32_e32 v5, v5, v4
	s_waitcnt lgkmcnt(1)
	v_mul_f32_e32 v5, v5, v21
	ds_bpermute_b32 v19, v94, v2 offset:4
	ds_bpermute_b32 v21, v94, v6 offset:8
	s_waitcnt lgkmcnt(2)
	v_sub_f32_e32 v7, v9, v7
	v_mul_f32_e32 v7, v7, v8
	v_pk_add_f32 v[4:5], v[92:93], v[4:5]
	s_waitcnt lgkmcnt(1)
	v_mul_f32_e32 v9, v7, v19
	s_waitcnt lgkmcnt(0)
	v_sub_f32_e32 v7, v11, v21
	ds_bpermute_b32 v19, v94, v6 offset:12
	v_mul_f32_e32 v7, v7, v10
	v_mul_f32_e32 v11, v7, v24
	ds_bpermute_b32 v7, v94, v2 offset:12
	ds_bpermute_b32 v21, v94, v6 offset:16
	s_waitcnt lgkmcnt(2)
	v_sub_f32_e32 v13, v13, v19
	ds_bpermute_b32 v19, v94, v2 offset:16
	v_mul_f32_e32 v13, v13, v12
	s_waitcnt lgkmcnt(2)
	v_mul_f32_e32 v13, v13, v7
	s_waitcnt lgkmcnt(1)
	v_sub_f32_e32 v7, v15, v21
	ds_bpermute_b32 v21, v94, v6 offset:20
	v_mul_f32_e32 v7, v7, v14
	s_waitcnt lgkmcnt(1)
	v_mul_f32_e32 v15, v7, v19
	ds_bpermute_b32 v7, v94, v2 offset:20
	ds_bpermute_b32 v19, v94, v6 offset:24
	ds_bpermute_b32 v6, v94, v6 offset:28
	s_waitcnt lgkmcnt(3)
	v_sub_f32_e32 v17, v17, v21
	ds_bpermute_b32 v21, v94, v2 offset:24
	v_pk_add_f32 v[4:5], v[4:5], v[8:9]
	ds_bpermute_b32 v2, v94, v2 offset:28
	v_mul_f32_e32 v17, v17, v16
	v_pk_add_f32 v[4:5], v[4:5], v[10:11]
	s_waitcnt lgkmcnt(4)
	v_mul_f32_e32 v17, v17, v7
	s_waitcnt lgkmcnt(3)
	v_sub_f32_e32 v7, v22, v19
	v_pk_add_f32 v[4:5], v[4:5], v[12:13]
	v_mul_f32_e32 v7, v7, v18
	v_pk_add_f32 v[4:5], v[4:5], v[14:15]
	s_waitcnt lgkmcnt(2)
	v_sub_f32_e32 v6, v23, v6
	s_waitcnt lgkmcnt(1)
	v_mul_f32_e32 v19, v7, v21
	v_pk_add_f32 v[4:5], v[4:5], v[16:17]
	v_mul_f32_e32 v6, v6, v20
	v_pk_add_f32 v[4:5], v[4:5], v[18:19]
	s_waitcnt lgkmcnt(0)
	v_mul_f32_e32 v21, v6, v2
	v_pk_add_f32 v[26:27], v[4:5], v[20:21]
.LBB90_54:                              ;   in Loop: Header=BB90_55 Depth=1
	v_mov_b32_e32 v2, s17
	v_add_co_u32_e32 v30, vcc, s16, v30
	v_addc_co_u32_e32 v31, vcc, v31, v2, vcc
	v_add_co_u32_e32 v32, vcc, s16, v32
	v_addc_co_u32_e32 v33, vcc, v33, v2, vcc
	;; [unrolled: 2-line block ×29, first 2 shown]
	s_add_u32 s10, s10, s7
	v_add_co_u32_e32 v88, vcc, s16, v88
	s_addc_u32 s11, s11, 0
	v_addc_co_u32_e32 v85, vcc, v85, v2, vcc
	v_pk_mov_b32 v[4:5], s[12:13], s[12:13] op_sel:[0,1]
	s_add_u32 s8, s8, s7
	v_cmp_ge_i64_e32 vcc, s[10:11], v[4:5]
	s_addc_u32 s9, s9, 0
	s_cbranch_vccnz .LBB90_81
.LBB90_55:                              ; =>This Inner Loop Header: Depth=1
	v_pk_mov_b32 v[4:5], s[12:13], s[12:13] op_sel:[0,1]
	v_cmp_ge_i64_e32 vcc, s[8:9], v[4:5]
	v_mov_b32_e32 v2, s9
	v_add_co_u32_e64 v95, s[0:1], s8, v28
	v_mov_b32_e32 v92, v26
	v_mov_b32_e32 v93, v27
	v_addc_co_u32_e64 v96, s[0:1], 0, v2, s[0:1]
	s_cbranch_vccz .LBB90_77
; %bb.56:                               ;   in Loop: Header=BB90_55 Depth=1
	s_load_dword s0, s[2:3], 0xc
	v_mov_b32_e32 v26, 0
	v_mov_b32_e32 v27, 0
	s_waitcnt lgkmcnt(0)
	s_and_b32 s0, s0, 0xffff
	v_mad_u32_u24 v2, v87, s0, v89
	v_and_b32_e32 v2, 63, v2
	v_cmp_gt_u32_e32 vcc, 8, v2
	s_and_saveexec_b64 s[0:1], vcc
	s_cbranch_execz .LBB90_60
; %bb.57:                               ;   in Loop: Header=BB90_55 Depth=1
	v_add_co_u32_e32 v2, vcc, v95, v2
	v_addc_co_u32_e32 v5, vcc, 0, v96, vcc
	v_add_co_u32_e32 v4, vcc, 0xffffff81, v2
	v_addc_co_u32_e32 v5, vcc, -1, v5, vcc
	v_cmp_gt_i64_e32 vcc, s[12:13], v[4:5]
	v_mov_b32_e32 v27, 0
	v_mov_b32_e32 v26, 0
	s_and_saveexec_b64 s[18:19], vcc
	s_cbranch_execz .LBB90_59
; %bb.58:                               ;   in Loop: Header=BB90_55 Depth=1
	v_lshlrev_b64 v[4:5], 2, v[4:5]
	v_mov_b32_e32 v2, s31
	v_add_co_u32_e32 v6, vcc, s30, v4
	v_addc_co_u32_e32 v7, vcc, v2, v5, vcc
	v_mov_b32_e32 v2, s29
	v_add_co_u32_e32 v4, vcc, s28, v4
	v_addc_co_u32_e32 v5, vcc, v2, v5, vcc
	global_load_dword v27, v[4:5], off
	global_load_dword v26, v[6:7], off
.LBB90_59:                              ;   in Loop: Header=BB90_55 Depth=1
	s_or_b64 exec, exec, s[18:19]
.LBB90_60:                              ;   in Loop: Header=BB90_55 Depth=1
	s_or_b64 exec, exec, s[0:1]
	s_mov_b32 s21, s20
	s_mov_b32 s22, s20
	;; [unrolled: 1-line block ×7, first 2 shown]
	v_pk_mov_b32 v[10:11], s[20:21], s[20:21] op_sel:[0,1]
	v_add_co_u32_e32 v4, vcc, 0xffffff81, v95
	v_pk_mov_b32 v[16:17], s[26:27], s[26:27] op_sel:[0,1]
	v_addc_co_u32_e32 v5, vcc, -1, v96, vcc
	v_pk_mov_b32 v[12:13], s[22:23], s[22:23] op_sel:[0,1]
	v_pk_mov_b32 v[14:15], s[24:25], s[24:25] op_sel:[0,1]
	;; [unrolled: 1-line block ×3, first 2 shown]
	v_cmp_gt_i64_e32 vcc, s[12:13], v[4:5]
	v_pk_mov_b32 v[22:23], v[14:15], v[14:15] op_sel:[0,1]
	v_pk_mov_b32 v[20:21], v[12:13], v[12:13] op_sel:[0,1]
	;; [unrolled: 1-line block ×3, first 2 shown]
	s_and_saveexec_b64 s[0:1], vcc
	s_cbranch_execz .LBB90_62
; %bb.61:                               ;   in Loop: Header=BB90_55 Depth=1
	v_add_co_u32_e32 v4, vcc, v44, v90
	v_addc_co_u32_e32 v5, vcc, v1, v91, vcc
	global_load_ushort v2, v[4:5], off
	v_add_co_u32_e32 v4, vcc, v60, v90
	v_addc_co_u32_e32 v5, vcc, v29, v91, vcc
	global_load_ushort v10, v[4:5], off
	v_mov_b32_e32 v8, v3
	v_mov_b32_e32 v9, v3
	;; [unrolled: 1-line block ×13, first 2 shown]
	s_waitcnt vmcnt(1)
	v_cvt_f32_f16_e32 v2, v2
	v_pk_mov_b32 v[24:25], v[8:9], v[8:9] op_sel:[0,1]
	v_pk_mov_b32 v[22:23], v[6:7], v[6:7] op_sel:[0,1]
	;; [unrolled: 1-line block ×4, first 2 shown]
	s_waitcnt vmcnt(0)
	v_cvt_f32_f16_e32 v10, v10
.LBB90_62:                              ;   in Loop: Header=BB90_55 Depth=1
	s_or_b64 exec, exec, s[0:1]
	v_add_co_u32_e32 v4, vcc, 0xffffff82, v95
	v_addc_co_u32_e32 v5, vcc, -1, v96, vcc
	v_cmp_gt_i64_e32 vcc, s[12:13], v[4:5]
	s_and_saveexec_b64 s[0:1], vcc
	s_cbranch_execz .LBB90_64
; %bb.63:                               ;   in Loop: Header=BB90_55 Depth=1
	v_add_co_u32_e32 v4, vcc, v86, v90
	v_addc_co_u32_e32 v5, vcc, v83, v91, vcc
	global_load_ushort v2, v[4:5], off
	v_add_co_u32_e32 v4, vcc, v88, v90
	v_addc_co_u32_e32 v5, vcc, v85, v91, vcc
	global_load_ushort v4, v[4:5], off
	s_waitcnt vmcnt(1)
	v_cvt_f32_f16_e32 v19, v2
	s_waitcnt vmcnt(0)
	v_cvt_f32_f16_e32 v11, v4
.LBB90_64:                              ;   in Loop: Header=BB90_55 Depth=1
	s_or_b64 exec, exec, s[0:1]
	v_add_co_u32_e32 v4, vcc, 0xffffff83, v95
	v_addc_co_u32_e32 v5, vcc, -1, v96, vcc
	v_cmp_gt_i64_e32 vcc, s[12:13], v[4:5]
	s_and_saveexec_b64 s[0:1], vcc
	s_cbranch_execz .LBB90_66
; %bb.65:                               ;   in Loop: Header=BB90_55 Depth=1
	v_add_co_u32_e32 v4, vcc, v82, v90
	v_addc_co_u32_e32 v5, vcc, v79, v91, vcc
	global_load_ushort v2, v[4:5], off
	v_add_co_u32_e32 v4, vcc, v84, v90
	v_addc_co_u32_e32 v5, vcc, v81, v91, vcc
	global_load_ushort v4, v[4:5], off
	s_waitcnt vmcnt(1)
	v_cvt_f32_f16_e32 v20, v2
	s_waitcnt vmcnt(0)
	v_cvt_f32_f16_e32 v12, v4
.LBB90_66:                              ;   in Loop: Header=BB90_55 Depth=1
	;; [unrolled: 18-line block ×7, first 2 shown]
	s_or_b64 exec, exec, s[0:1]
	s_waitcnt vmcnt(1)
	ds_bpermute_b32 v2, v94, v27
	s_waitcnt vmcnt(0)
	ds_bpermute_b32 v4, v94, v26
	ds_bpermute_b32 v7, v94, v27 offset:4
	ds_bpermute_b32 v6, v94, v26 offset:4
	;; [unrolled: 1-line block ×3, first 2 shown]
	s_waitcnt lgkmcnt(4)
	v_sub_f32_e32 v2, v10, v2
	v_mul_f32_e32 v2, v18, v2
	s_waitcnt lgkmcnt(3)
	v_mul_f32_e32 v5, v2, v4
	ds_bpermute_b32 v4, v94, v26 offset:8
	s_waitcnt lgkmcnt(3)
	v_sub_f32_e32 v2, v11, v7
	v_mul_f32_e32 v2, v19, v2
	s_waitcnt lgkmcnt(2)
	v_mul_f32_e32 v7, v2, v6
	s_waitcnt lgkmcnt(1)
	v_sub_f32_e32 v2, v12, v8
	ds_bpermute_b32 v6, v94, v27 offset:12
	v_mul_f32_e32 v2, v20, v2
	s_waitcnt lgkmcnt(1)
	v_mul_f32_e32 v9, v2, v4
	ds_bpermute_b32 v2, v94, v26 offset:12
	ds_bpermute_b32 v4, v94, v27 offset:16
	;; [unrolled: 1-line block ×3, first 2 shown]
	s_waitcnt lgkmcnt(3)
	v_sub_f32_e32 v6, v13, v6
	v_mul_f32_e32 v6, v21, v6
	s_waitcnt lgkmcnt(2)
	v_mul_f32_e32 v11, v6, v2
	s_waitcnt lgkmcnt(1)
	v_sub_f32_e32 v2, v14, v4
	ds_bpermute_b32 v4, v94, v27 offset:20
	v_mul_f32_e32 v2, v22, v2
	s_waitcnt lgkmcnt(1)
	v_mul_f32_e32 v13, v2, v8
	ds_bpermute_b32 v2, v94, v26 offset:20
	ds_bpermute_b32 v6, v94, v27 offset:24
	ds_bpermute_b32 v8, v94, v26 offset:24
	s_waitcnt lgkmcnt(3)
	v_sub_f32_e32 v4, v15, v4
	v_mul_f32_e32 v4, v23, v4
	s_waitcnt lgkmcnt(2)
	v_mul_f32_e32 v15, v4, v2
	s_waitcnt lgkmcnt(1)
	v_sub_f32_e32 v2, v16, v6
	v_mul_f32_e32 v2, v24, v2
	s_waitcnt lgkmcnt(0)
	v_mul_f32_e32 v99, v2, v8
	v_mov_b32_e32 v4, v18
	ds_bpermute_b32 v2, v94, v27 offset:28
	v_pk_add_f32 v[4:5], v[92:93], v[4:5]
	v_mov_b32_e32 v6, v19
	v_pk_add_f32 v[4:5], v[6:7], v[4:5]
	v_mov_b32_e32 v8, v20
	ds_bpermute_b32 v6, v94, v26 offset:28
	v_pk_add_f32 v[4:5], v[8:9], v[4:5]
	v_mov_b32_e32 v10, v21
	v_pk_add_f32 v[4:5], v[10:11], v[4:5]
	v_mov_b32_e32 v12, v22
	;; [unrolled: 2-line block ×3, first 2 shown]
	s_waitcnt lgkmcnt(1)
	v_sub_f32_e32 v2, v17, v2
	v_pk_add_f32 v[4:5], v[14:15], v[4:5]
	v_mov_b32_e32 v98, v24
	v_mul_f32_e32 v2, v25, v2
	v_pk_add_f32 v[4:5], v[98:99], v[4:5]
	s_waitcnt lgkmcnt(0)
	v_mul_f32_e32 v7, v2, v6
	v_mov_b32_e32 v6, v25
	v_pk_add_f32 v[26:27], v[6:7], v[4:5]
	s_branch .LBB90_54
.LBB90_77:                              ;   in Loop: Header=BB90_55 Depth=1
                                        ; implicit-def: $vgpr27
	s_cbranch_execz .LBB90_54
; %bb.78:                               ;   in Loop: Header=BB90_55 Depth=1
	s_load_dword s0, s[2:3], 0x0
	v_mov_b32_e32 v2, 0
	v_mov_b32_e32 v6, 0
	s_waitcnt lgkmcnt(0)
	s_cmp_lt_u32 s6, s0
	s_cselect_b32 s0, 12, 18
	s_add_u32 s0, s2, s0
	s_addc_u32 s1, s3, 0
	global_load_ushort v4, v3, s[0:1]
	s_waitcnt vmcnt(0)
	v_mad_u32_u24 v4, v87, v4, v89
	v_and_b32_e32 v4, 63, v4
	v_cmp_gt_u32_e32 vcc, 8, v4
	s_and_saveexec_b64 s[0:1], vcc
	s_cbranch_execz .LBB90_53
; %bb.79:                               ;   in Loop: Header=BB90_55 Depth=1
	v_add_co_u32_e32 v2, vcc, v95, v4
	v_addc_co_u32_e32 v5, vcc, 0, v96, vcc
	v_add_co_u32_e32 v4, vcc, 0xffffff81, v2
	v_addc_co_u32_e32 v5, vcc, -1, v5, vcc
	v_cmp_gt_i64_e32 vcc, s[12:13], v[4:5]
	v_mov_b32_e32 v6, 0
	v_mov_b32_e32 v2, 0
	s_and_saveexec_b64 s[18:19], vcc
	s_cbranch_execz .LBB90_52
; %bb.80:                               ;   in Loop: Header=BB90_55 Depth=1
	v_lshlrev_b64 v[4:5], 2, v[4:5]
	v_mov_b32_e32 v2, s31
	v_add_co_u32_e32 v8, vcc, s30, v4
	v_addc_co_u32_e32 v9, vcc, v2, v5, vcc
	v_mov_b32_e32 v2, s29
	v_add_co_u32_e32 v4, vcc, s28, v4
	v_addc_co_u32_e32 v5, vcc, v2, v5, vcc
	global_load_dword v6, v[4:5], off
	global_load_dword v2, v[8:9], off
	s_branch .LBB90_52
.LBB90_81:
	v_and_b32_e32 v2, 0x3ff, v0
	v_bfe_u32 v0, v0, 10, 10
	v_mad_u32_u24 v1, v0, 33, v2
	v_lshl_add_u32 v3, v1, 2, 0
	v_sub_u32_e32 v1, v1, v0
	s_movk_i32 s0, 0x800
	s_mov_b32 s7, 0
	v_cmp_gt_u32_e32 vcc, s0, v1
	ds_write_b32 v3, v27
	ds_write_b32 v3, v26 offset:2112
	s_waitcnt lgkmcnt(0)
	s_barrier
	s_and_saveexec_b64 s[0:1], vcc
	s_cbranch_execz .LBB90_91
; %bb.82:
	v_mbcnt_lo_u32_b32 v3, -1, 0
	v_mbcnt_hi_u32_b32 v3, -1, v3
	v_and_b32_e32 v4, 64, v3
	v_add_u32_e32 v4, 64, v4
	v_cmp_eq_u32_e64 s[2:3], 0, v2
	v_xor_b32_e32 v2, 8, v3
	v_cmp_lt_i32_e32 vcc, v2, v4
	v_cndmask_b32_e32 v2, v3, v2, vcc
	v_lshlrev_b32_e32 v8, 2, v2
	v_xor_b32_e32 v2, 4, v3
	v_cmp_lt_i32_e32 vcc, v2, v4
	s_load_dwordx4 s[8:11], s[4:5], 0x30
	v_cndmask_b32_e32 v2, v3, v2, vcc
	v_lshlrev_b32_e32 v9, 2, v2
	v_xor_b32_e32 v2, 2, v3
	v_cmp_lt_i32_e32 vcc, v2, v4
	v_cndmask_b32_e32 v2, v3, v2, vcc
	s_lshl_b64 s[12:13], s[6:7], 5
	v_lshlrev_b32_e32 v10, 2, v2
	v_xor_b32_e32 v2, 1, v3
	s_waitcnt lgkmcnt(0)
	s_cmp_lg_u64 s[8:9], 0
	v_cmp_lt_i32_e32 vcc, v2, v4
	v_lshrrev_b32_e32 v0, 6, v1
	s_cselect_b64 s[4:5], -1, 0
	s_cmp_lg_u64 s[10:11], 0
	v_cndmask_b32_e32 v2, v3, v2, vcc
	s_cselect_b64 s[18:19], -1, 0
	v_lshlrev_b32_e32 v11, 2, v2
	s_lshl_b64 s[6:7], s[6:7], 6
	v_lshlrev_b32_e32 v2, 1, v0
	v_mov_b32_e32 v3, s7
	v_add_co_u32_e32 v4, vcc, s6, v2
	v_and_b32_e32 v6, 63, v1
	v_addc_co_u32_e32 v5, vcc, 0, v3, vcc
	v_cmp_gt_u32_e64 s[0:1], 16, v6
	v_mov_b32_e32 v3, s11
	v_add_co_u32_e32 v2, vcc, s10, v4
	v_mad_u32_u24 v6, v6, 33, v0
	v_addc_co_u32_e32 v3, vcc, v3, v5, vcc
	v_lshl_add_u32 v12, v6, 2, 0
	v_cndmask_b32_e64 v6, 0, 1, s[4:5]
	v_mov_b32_e32 v7, s9
	v_add_co_u32_e32 v4, vcc, s8, v4
	v_cmp_ne_u32_e64 s[4:5], 1, v6
	v_cndmask_b32_e64 v6, 0, 1, s[18:19]
	v_mov_b32_e32 v1, 0
	s_mov_b64 s[16:17], 0
	v_addc_co_u32_e32 v5, vcc, v7, v5, vcc
	v_mov_b32_e32 v13, s13
	v_cmp_ne_u32_e64 s[6:7], 1, v6
                                        ; implicit-def: $vgpr6
	s_branch .LBB90_84
.LBB90_83:                              ;   in Loop: Header=BB90_84 Depth=1
	s_or_b64 exec, exec, s[8:9]
	v_add_co_u32_e32 v0, vcc, 8, v0
	v_addc_co_u32_e32 v1, vcc, 0, v1, vcc
	v_add_co_u32_e32 v2, vcc, 16, v2
	v_addc_co_u32_e32 v3, vcc, 0, v3, vcc
	v_add_co_u32_e32 v4, vcc, 16, v4
	v_add_u32_e32 v14, -8, v0
	v_addc_co_u32_e32 v5, vcc, 0, v5, vcc
	v_cmp_lt_u32_e32 vcc, 23, v14
	s_or_b64 s[16:17], vcc, s[16:17]
	v_add_u32_e32 v12, 32, v12
	s_andn2_b64 exec, exec, s[16:17]
	s_cbranch_execz .LBB90_91
.LBB90_84:                              ; =>This Inner Loop Header: Depth=1
	s_and_saveexec_b64 s[8:9], s[0:1]
	s_cbranch_execz .LBB90_86
; %bb.85:                               ;   in Loop: Header=BB90_84 Depth=1
	ds_read_b32 v7, v12
	ds_read_b32 v6, v12 offset:2112
.LBB90_86:                              ;   in Loop: Header=BB90_84 Depth=1
	s_or_b64 exec, exec, s[8:9]
	s_waitcnt lgkmcnt(1)
	ds_bpermute_b32 v15, v8, v7
	s_waitcnt lgkmcnt(1)
	ds_bpermute_b32 v14, v8, v6
	v_add_co_u32_e32 v16, vcc, s12, v0
	v_addc_co_u32_e32 v17, vcc, v13, v1, vcc
	s_waitcnt lgkmcnt(0)
	v_pk_add_f32 v[6:7], v[6:7], v[14:15]
	ds_bpermute_b32 v15, v9, v7
	ds_bpermute_b32 v14, v9, v6
	v_cmp_gt_i64_e32 vcc, s[14:15], v[16:17]
	s_and_b64 s[10:11], s[2:3], vcc
	s_waitcnt lgkmcnt(0)
	v_pk_add_f32 v[6:7], v[6:7], v[14:15]
	ds_bpermute_b32 v15, v10, v7
	ds_bpermute_b32 v14, v10, v6
	s_waitcnt lgkmcnt(0)
	v_pk_add_f32 v[6:7], v[6:7], v[14:15]
	ds_bpermute_b32 v15, v11, v7
	ds_bpermute_b32 v14, v11, v6
	s_waitcnt lgkmcnt(0)
	v_pk_add_f32 v[6:7], v[6:7], v[14:15]
	s_and_saveexec_b64 s[8:9], s[10:11]
	s_cbranch_execz .LBB90_83
; %bb.87:                               ;   in Loop: Header=BB90_84 Depth=1
	s_and_b64 vcc, exec, s[4:5]
	s_cbranch_vccnz .LBB90_89
; %bb.88:                               ;   in Loop: Header=BB90_84 Depth=1
	v_cvt_f16_f32_e32 v14, v7
	global_store_short v[4:5], v14, off
.LBB90_89:                              ;   in Loop: Header=BB90_84 Depth=1
	s_and_b64 vcc, exec, s[6:7]
	s_cbranch_vccnz .LBB90_83
; %bb.90:                               ;   in Loop: Header=BB90_84 Depth=1
	v_cvt_f16_f32_e32 v14, v6
	global_store_short v[2:3], v14, off
	s_branch .LBB90_83
.LBB90_91:
	s_endpgm
	.section	.rodata,"a",@progbits
	.p2align	6, 0x0
	.amdhsa_kernel _ZN2at6native12_GLOBAL__N_135GammaBetaBackwardCUDAKernelTemplateIN3c104HalfEfLj32ELj16ELj128ELb0ELb0ELb0EEEvllPKT_S7_PKT0_SA_PS5_SB_
		.amdhsa_group_segment_fixed_size 0
		.amdhsa_private_segment_fixed_size 0
		.amdhsa_kernarg_size 320
		.amdhsa_user_sgpr_count 6
		.amdhsa_user_sgpr_private_segment_buffer 1
		.amdhsa_user_sgpr_dispatch_ptr 0
		.amdhsa_user_sgpr_queue_ptr 0
		.amdhsa_user_sgpr_kernarg_segment_ptr 1
		.amdhsa_user_sgpr_dispatch_id 0
		.amdhsa_user_sgpr_flat_scratch_init 0
		.amdhsa_user_sgpr_kernarg_preload_length 0
		.amdhsa_user_sgpr_kernarg_preload_offset 0
		.amdhsa_user_sgpr_private_segment_size 0
		.amdhsa_uses_dynamic_stack 0
		.amdhsa_system_sgpr_private_segment_wavefront_offset 0
		.amdhsa_system_sgpr_workgroup_id_x 1
		.amdhsa_system_sgpr_workgroup_id_y 1
		.amdhsa_system_sgpr_workgroup_id_z 0
		.amdhsa_system_sgpr_workgroup_info 0
		.amdhsa_system_vgpr_workitem_id 1
		.amdhsa_next_free_vgpr 100
		.amdhsa_next_free_sgpr 44
		.amdhsa_accum_offset 100
		.amdhsa_reserve_vcc 1
		.amdhsa_reserve_flat_scratch 0
		.amdhsa_float_round_mode_32 0
		.amdhsa_float_round_mode_16_64 0
		.amdhsa_float_denorm_mode_32 3
		.amdhsa_float_denorm_mode_16_64 3
		.amdhsa_dx10_clamp 1
		.amdhsa_ieee_mode 1
		.amdhsa_fp16_overflow 0
		.amdhsa_tg_split 0
		.amdhsa_exception_fp_ieee_invalid_op 0
		.amdhsa_exception_fp_denorm_src 0
		.amdhsa_exception_fp_ieee_div_zero 0
		.amdhsa_exception_fp_ieee_overflow 0
		.amdhsa_exception_fp_ieee_underflow 0
		.amdhsa_exception_fp_ieee_inexact 0
		.amdhsa_exception_int_div_zero 0
	.end_amdhsa_kernel
	.section	.text._ZN2at6native12_GLOBAL__N_135GammaBetaBackwardCUDAKernelTemplateIN3c104HalfEfLj32ELj16ELj128ELb0ELb0ELb0EEEvllPKT_S7_PKT0_SA_PS5_SB_,"axG",@progbits,_ZN2at6native12_GLOBAL__N_135GammaBetaBackwardCUDAKernelTemplateIN3c104HalfEfLj32ELj16ELj128ELb0ELb0ELb0EEEvllPKT_S7_PKT0_SA_PS5_SB_,comdat
.Lfunc_end90:
	.size	_ZN2at6native12_GLOBAL__N_135GammaBetaBackwardCUDAKernelTemplateIN3c104HalfEfLj32ELj16ELj128ELb0ELb0ELb0EEEvllPKT_S7_PKT0_SA_PS5_SB_, .Lfunc_end90-_ZN2at6native12_GLOBAL__N_135GammaBetaBackwardCUDAKernelTemplateIN3c104HalfEfLj32ELj16ELj128ELb0ELb0ELb0EEEvllPKT_S7_PKT0_SA_PS5_SB_
                                        ; -- End function
	.section	.AMDGPU.csdata,"",@progbits
; Kernel info:
; codeLenInByte = 7848
; NumSgprs: 48
; NumVgprs: 100
; NumAgprs: 0
; TotalNumVgprs: 100
; ScratchSize: 0
; MemoryBound: 0
; FloatMode: 240
; IeeeMode: 1
; LDSByteSize: 0 bytes/workgroup (compile time only)
; SGPRBlocks: 5
; VGPRBlocks: 12
; NumSGPRsForWavesPerEU: 48
; NumVGPRsForWavesPerEU: 100
; AccumOffset: 100
; Occupancy: 4
; WaveLimiterHint : 0
; COMPUTE_PGM_RSRC2:SCRATCH_EN: 0
; COMPUTE_PGM_RSRC2:USER_SGPR: 6
; COMPUTE_PGM_RSRC2:TRAP_HANDLER: 0
; COMPUTE_PGM_RSRC2:TGID_X_EN: 1
; COMPUTE_PGM_RSRC2:TGID_Y_EN: 1
; COMPUTE_PGM_RSRC2:TGID_Z_EN: 0
; COMPUTE_PGM_RSRC2:TIDIG_COMP_CNT: 1
; COMPUTE_PGM_RSRC3_GFX90A:ACCUM_OFFSET: 24
; COMPUTE_PGM_RSRC3_GFX90A:TG_SPLIT: 0
	.section	.text._ZN2at6native12_GLOBAL__N_135GammaBetaBackwardCUDAKernelTemplateIN3c104HalfEfLj32ELj32ELj256ELb0ELb1ELb0EEEvllPKT_S7_PKT0_SA_PS5_SB_,"axG",@progbits,_ZN2at6native12_GLOBAL__N_135GammaBetaBackwardCUDAKernelTemplateIN3c104HalfEfLj32ELj32ELj256ELb0ELb1ELb0EEEvllPKT_S7_PKT0_SA_PS5_SB_,comdat
	.globl	_ZN2at6native12_GLOBAL__N_135GammaBetaBackwardCUDAKernelTemplateIN3c104HalfEfLj32ELj32ELj256ELb0ELb1ELb0EEEvllPKT_S7_PKT0_SA_PS5_SB_ ; -- Begin function _ZN2at6native12_GLOBAL__N_135GammaBetaBackwardCUDAKernelTemplateIN3c104HalfEfLj32ELj32ELj256ELb0ELb1ELb0EEEvllPKT_S7_PKT0_SA_PS5_SB_
	.p2align	8
	.type	_ZN2at6native12_GLOBAL__N_135GammaBetaBackwardCUDAKernelTemplateIN3c104HalfEfLj32ELj32ELj256ELb0ELb1ELb0EEEvllPKT_S7_PKT0_SA_PS5_SB_,@function
_ZN2at6native12_GLOBAL__N_135GammaBetaBackwardCUDAKernelTemplateIN3c104HalfEfLj32ELj32ELj256ELb0ELb1ELb0EEEvllPKT_S7_PKT0_SA_PS5_SB_: ; @_ZN2at6native12_GLOBAL__N_135GammaBetaBackwardCUDAKernelTemplateIN3c104HalfEfLj32ELj32ELj256ELb0ELb1ELb0EEEvllPKT_S7_PKT0_SA_PS5_SB_
; %bb.0:
	s_load_dwordx4 s[20:23], s[4:5], 0x0
	s_lshl_b32 s2, s7, 8
	s_mov_b32 s3, 0
	v_bfe_u32 v12, v0, 10, 10
	s_waitcnt lgkmcnt(0)
	v_pk_mov_b32 v[2:3], s[20:21], s[20:21] op_sel:[0,1]
	v_cmp_lt_i64_e32 vcc, s[2:3], v[2:3]
	s_cbranch_vccnz .LBB91_2
; %bb.1:
	s_mov_b64 s[0:1], 0
	v_bfe_u32 v2, v0, 10, 10
	s_branch .LBB91_3
.LBB91_2:
	s_mov_b64 s[0:1], -1
                                        ; implicit-def: $vgpr2
.LBB91_3:
	s_load_dwordx4 s[16:19], s[4:5], 0x30
	v_and_b32_e32 v10, 0x3ff, v0
	s_andn2_b64 vcc, exec, s[0:1]
	v_mov_b32_e32 v1, s3
	v_mbcnt_lo_u32_b32 v11, -1, 0
	v_mov_b32_e32 v0, s3
	s_cbranch_vccnz .LBB91_11
; %bb.4:
	s_load_dword s0, s[4:5], 0x4c
	s_load_dword s7, s[4:5], 0x44
	s_load_dwordx8 s[8:15], s[4:5], 0x10
	v_mbcnt_hi_u32_b32 v4, -1, v11
	v_lshlrev_b32_e32 v2, 3, v12
	s_waitcnt lgkmcnt(0)
	s_and_b32 s0, s0, 0xffff
	v_lshlrev_b32_e32 v4, 2, v4
	v_mad_u32_u24 v0, v12, s0, v10
	v_and_b32_e32 v13, 0x100, v4
	v_mov_b32_e32 v4, s3
	v_add_co_u32_e32 v6, vcc, s2, v2
	v_and_b32_e32 v3, 63, v0
	v_addc_co_u32_e32 v7, vcc, 0, v4, vcc
	v_add_co_u32_e32 v2, vcc, v6, v3
	v_cmp_gt_u32_e64 s[0:1], 8, v3
	s_lshl_b32 s4, s7, 8
	v_addc_co_u32_e32 v3, vcc, 0, v7, vcc
	v_mul_lo_u32 v8, s23, v6
	v_mul_lo_u32 v9, s22, v7
	v_mad_u64_u32 v[6:7], s[26:27], s22, v6, 0
	v_mov_b32_e32 v1, 0
	v_lshl_add_u32 v0, s6, 5, v10
	v_add3_u32 v7, v7, v9, v8
	s_mul_i32 s7, s23, s4
	s_mul_hi_u32 s26, s22, s4
	s_mov_b32 s5, 0
	v_lshlrev_b64 v[6:7], 1, v[6:7]
	v_lshlrev_b64 v[8:9], 1, v[0:1]
	s_add_i32 s27, s26, s7
	s_mul_i32 s26, s22, s4
	s_lshl_b64 s[24:25], s[4:5], 2
	v_add_co_u32_e32 v6, vcc, v6, v8
	s_lshl_b64 s[26:27], s[26:27], 1
	s_lshl_b64 s[22:23], s[22:23], 1
	v_or_b32_e32 v14, 4, v13
	v_or_b32_e32 v15, 8, v13
	;; [unrolled: 1-line block ×7, first 2 shown]
	v_lshlrev_b64 v[4:5], 2, v[2:3]
	v_addc_co_u32_e32 v7, vcc, v7, v9, vcc
	v_mov_b32_e32 v21, s9
	v_mov_b32_e32 v22, s11
	;; [unrolled: 1-line block ×6, first 2 shown]
	v_pk_mov_b32 v[8:9], s[20:21], s[20:21] op_sel:[0,1]
	v_mov_b32_e32 v0, v1
	s_branch .LBB91_7
.LBB91_5:                               ;   in Loop: Header=BB91_7 Depth=1
	s_or_b64 exec, exec, s[30:31]
.LBB91_6:                               ;   in Loop: Header=BB91_7 Depth=1
	s_or_b64 exec, exec, s[28:29]
	v_add_co_u32_e32 v30, vcc, s8, v6
	v_addc_co_u32_e32 v31, vcc, v21, v7, vcc
	v_add_co_u32_e32 v32, vcc, s10, v6
	v_addc_co_u32_e32 v33, vcc, v22, v7, vcc
	global_load_ushort v29, v[30:31], off
	v_add_co_u32_e32 v30, vcc, s22, v30
	v_addc_co_u32_e32 v31, vcc, v31, v23, vcc
	global_load_ushort v34, v[32:33], off
	;; [unrolled: 3-line block ×13, first 2 shown]
	global_load_ushort v46, v[32:33], off
	v_add_co_u32_e32 v30, vcc, s22, v30
	v_addc_co_u32_e32 v31, vcc, v31, v23, vcc
	global_load_ushort v47, v[30:31], off
	v_add_co_u32_e32 v30, vcc, s22, v32
	v_addc_co_u32_e32 v31, vcc, v33, v23, vcc
	;; [unrolled: 3-line block ×3, first 2 shown]
	v_add_co_u32_e32 v2, vcc, s4, v2
	v_addc_co_u32_e32 v3, vcc, v3, v25, vcc
	s_waitcnt vmcnt(15)
	v_cvt_f32_f16_e32 v30, v29
	s_add_u32 s2, s2, s4
	v_add_co_u32_e32 v6, vcc, s26, v6
	s_addc_u32 s3, s3, 0
	s_waitcnt vmcnt(14)
	v_cvt_f32_f16_e32 v29, v34
	v_addc_co_u32_e32 v7, vcc, v7, v26, vcc
	v_cmp_lt_i64_e32 vcc, s[2:3], v[8:9]
	s_and_b64 vcc, exec, vcc
	s_waitcnt vmcnt(13)
	v_cvt_f32_f16_e32 v32, v35
	s_waitcnt vmcnt(12)
	v_cvt_f32_f16_e32 v33, v36
	;; [unrolled: 2-line block ×9, first 2 shown]
	ds_bpermute_b32 v43, v13, v28
	s_waitcnt vmcnt(4)
	v_cvt_f32_f16_e32 v41, v44
	s_waitcnt lgkmcnt(0)
	v_sub_f32_e32 v29, v29, v43
	ds_bpermute_b32 v43, v14, v28
	v_mul_f32_e32 v29, v29, v30
	s_waitcnt vmcnt(3)
	v_cvt_f32_f16_e32 v42, v45
	s_waitcnt vmcnt(2)
	v_cvt_f32_f16_e32 v45, v46
	ds_bpermute_b32 v46, v13, v27
	s_waitcnt lgkmcnt(1)
	v_sub_f32_e32 v33, v33, v43
	ds_bpermute_b32 v43, v15, v27
	v_mul_f32_e32 v33, v33, v32
	s_waitcnt vmcnt(1)
	v_cvt_f32_f16_e32 v44, v47
	s_waitcnt vmcnt(0)
	v_cvt_f32_f16_e32 v47, v31
	s_waitcnt lgkmcnt(1)
	v_mul_f32_e32 v31, v29, v46
	ds_bpermute_b32 v29, v14, v27
	ds_bpermute_b32 v46, v15, v28
	v_pk_add_f32 v[0:1], v[0:1], v[30:31]
	s_waitcnt lgkmcnt(1)
	v_mul_f32_e32 v33, v33, v29
	s_waitcnt lgkmcnt(0)
	v_sub_f32_e32 v29, v35, v46
	ds_bpermute_b32 v46, v16, v28
	v_mul_f32_e32 v29, v29, v34
	v_mul_f32_e32 v35, v29, v43
	ds_bpermute_b32 v29, v16, v27
	ds_bpermute_b32 v43, v17, v28
	s_waitcnt lgkmcnt(2)
	v_sub_f32_e32 v37, v37, v46
	ds_bpermute_b32 v46, v17, v27
	v_mul_f32_e32 v37, v37, v36
	s_waitcnt lgkmcnt(2)
	v_mul_f32_e32 v37, v37, v29
	s_waitcnt lgkmcnt(1)
	v_sub_f32_e32 v29, v39, v43
	ds_bpermute_b32 v43, v18, v28
	v_mul_f32_e32 v29, v29, v38
	s_waitcnt lgkmcnt(1)
	v_mul_f32_e32 v39, v29, v46
	ds_bpermute_b32 v29, v18, v27
	ds_bpermute_b32 v46, v19, v28
	;; [unrolled: 1-line block ×3, first 2 shown]
	s_waitcnt lgkmcnt(3)
	v_sub_f32_e32 v41, v41, v43
	ds_bpermute_b32 v43, v19, v27
	v_pk_add_f32 v[0:1], v[0:1], v[32:33]
	ds_bpermute_b32 v27, v20, v27
	v_mul_f32_e32 v41, v41, v40
	v_pk_add_f32 v[0:1], v[0:1], v[34:35]
	s_waitcnt lgkmcnt(4)
	v_mul_f32_e32 v41, v41, v29
	s_waitcnt lgkmcnt(3)
	v_sub_f32_e32 v29, v45, v46
	v_pk_add_f32 v[0:1], v[0:1], v[36:37]
	v_mul_f32_e32 v29, v29, v42
	v_pk_add_f32 v[0:1], v[0:1], v[38:39]
	s_waitcnt lgkmcnt(2)
	v_sub_f32_e32 v28, v47, v28
	s_waitcnt lgkmcnt(1)
	v_mul_f32_e32 v43, v29, v43
	v_pk_add_f32 v[0:1], v[0:1], v[40:41]
	v_mul_f32_e32 v28, v28, v44
	v_pk_add_f32 v[0:1], v[0:1], v[42:43]
	s_waitcnt lgkmcnt(0)
	v_mul_f32_e32 v45, v28, v27
	v_pk_add_f32 v[0:1], v[0:1], v[44:45]
	s_cbranch_vccz .LBB91_10
.LBB91_7:                               ; =>This Inner Loop Header: Depth=1
	v_mov_b32_e32 v27, 0
	v_mov_b32_e32 v28, 0
	s_and_saveexec_b64 s[28:29], s[0:1]
	s_cbranch_execz .LBB91_6
; %bb.8:                                ;   in Loop: Header=BB91_7 Depth=1
	v_cmp_gt_i64_e32 vcc, s[20:21], v[2:3]
	v_mov_b32_e32 v28, 0
	v_mov_b32_e32 v27, 0
	s_and_saveexec_b64 s[30:31], vcc
	s_cbranch_execz .LBB91_5
; %bb.9:                                ;   in Loop: Header=BB91_7 Depth=1
	v_mov_b32_e32 v27, s15
	v_add_co_u32_e32 v30, vcc, s14, v4
	v_addc_co_u32_e32 v31, vcc, v27, v5, vcc
	v_mov_b32_e32 v27, s13
	v_add_co_u32_e32 v32, vcc, s12, v4
	v_addc_co_u32_e32 v33, vcc, v27, v5, vcc
	global_load_dword v28, v[32:33], off
	global_load_dword v27, v[30:31], off
	s_branch .LBB91_5
.LBB91_10:
	v_mov_b32_e32 v2, v12
.LBB91_11:
	v_mad_u32_u24 v3, v2, 33, v10
	v_lshl_add_u32 v4, v3, 2, 0
	ds_write_b32 v4, v1
	ds_write_b32 v4, v0 offset:4224
	v_sub_u32_e32 v0, v3, v2
	s_movk_i32 s0, 0x800
	s_mov_b32 s7, 0
	v_cmp_gt_u32_e32 vcc, s0, v0
	s_waitcnt lgkmcnt(0)
	s_barrier
	s_and_saveexec_b64 s[0:1], vcc
	s_cbranch_execz .LBB91_21
; %bb.12:
	v_lshrrev_b32_e32 v4, 6, v0
	v_and_b32_e32 v5, 63, v0
	v_mbcnt_hi_u32_b32 v0, -1, v11
	v_and_b32_e32 v1, 64, v0
	v_add_u32_e32 v1, 64, v1
	v_xor_b32_e32 v2, 16, v0
	v_cmp_lt_i32_e32 vcc, v2, v1
	v_cndmask_b32_e32 v2, v0, v2, vcc
	v_lshlrev_b32_e32 v6, 2, v2
	v_xor_b32_e32 v2, 8, v0
	v_cmp_lt_i32_e32 vcc, v2, v1
	v_cndmask_b32_e32 v2, v0, v2, vcc
	v_lshlrev_b32_e32 v7, 2, v2
	;; [unrolled: 4-line block ×4, first 2 shown]
	v_xor_b32_e32 v2, 1, v0
	s_cmp_lg_u64 s[16:17], 0
	v_cmp_lt_i32_e32 vcc, v2, v1
	s_cselect_b64 s[4:5], -1, 0
	s_cmp_lg_u64 s[18:19], 0
	v_cndmask_b32_e32 v0, v0, v2, vcc
	v_cmp_eq_u32_e64 s[2:3], 0, v10
	s_cselect_b64 s[10:11], -1, 0
	v_lshlrev_b32_e32 v10, 2, v0
	s_lshl_b64 s[6:7], s[6:7], 6
	v_lshlrev_b32_e32 v0, 1, v4
	v_mov_b32_e32 v1, s7
	v_add_co_u32_e32 v2, vcc, s6, v0
	v_addc_co_u32_e32 v3, vcc, 0, v1, vcc
	v_mov_b32_e32 v1, s19
	v_add_co_u32_e32 v0, vcc, s18, v2
	v_addc_co_u32_e32 v1, vcc, v1, v3, vcc
	v_add_u32_e32 v11, -16, v4
	v_mov_b32_e32 v12, s17
	v_add_co_u32_e32 v2, vcc, s16, v2
	v_mad_u32_u24 v4, v5, 33, v4
	v_addc_co_u32_e32 v3, vcc, v12, v3, vcc
	v_lshl_add_u32 v12, v4, 2, 0
	v_cndmask_b32_e64 v4, 0, 1, s[4:5]
	v_cmp_ne_u32_e64 s[4:5], 1, v4
	v_cndmask_b32_e64 v4, 0, 1, s[10:11]
	v_cmp_gt_u32_e64 s[0:1], 32, v5
	s_mov_b64 s[8:9], 0
	v_cmp_ne_u32_e64 s[6:7], 1, v4
                                        ; implicit-def: $vgpr4
	s_branch .LBB91_14
.LBB91_13:                              ;   in Loop: Header=BB91_14 Depth=1
	s_or_b64 exec, exec, s[10:11]
	v_add_co_u32_e32 v11, vcc, 16, v11
	s_xor_b64 s[10:11], vcc, -1
	v_add_co_u32_e32 v0, vcc, 32, v0
	v_addc_co_u32_e32 v1, vcc, 0, v1, vcc
	v_add_co_u32_e32 v2, vcc, 32, v2
	s_and_b64 s[10:11], exec, s[10:11]
	v_addc_co_u32_e32 v3, vcc, 0, v3, vcc
	s_or_b64 s[8:9], s[10:11], s[8:9]
	v_add_u32_e32 v12, 64, v12
	s_andn2_b64 exec, exec, s[8:9]
	s_cbranch_execz .LBB91_21
.LBB91_14:                              ; =>This Inner Loop Header: Depth=1
	s_and_saveexec_b64 s[10:11], s[0:1]
	s_cbranch_execz .LBB91_16
; %bb.15:                               ;   in Loop: Header=BB91_14 Depth=1
	ds_read_b32 v5, v12
	ds_read_b32 v4, v12 offset:4224
.LBB91_16:                              ;   in Loop: Header=BB91_14 Depth=1
	s_or_b64 exec, exec, s[10:11]
	s_waitcnt lgkmcnt(1)
	ds_bpermute_b32 v15, v6, v5
	s_waitcnt lgkmcnt(1)
	ds_bpermute_b32 v14, v6, v4
	s_waitcnt lgkmcnt(0)
	v_pk_add_f32 v[4:5], v[4:5], v[14:15]
	ds_bpermute_b32 v15, v7, v5
	ds_bpermute_b32 v14, v7, v4
	s_waitcnt lgkmcnt(0)
	v_pk_add_f32 v[4:5], v[4:5], v[14:15]
	ds_bpermute_b32 v15, v8, v5
	;; [unrolled: 4-line block ×4, first 2 shown]
	ds_bpermute_b32 v14, v10, v4
	s_waitcnt lgkmcnt(0)
	v_pk_add_f32 v[4:5], v[4:5], v[14:15]
	s_and_saveexec_b64 s[10:11], s[2:3]
	s_cbranch_execz .LBB91_13
; %bb.17:                               ;   in Loop: Header=BB91_14 Depth=1
	s_and_b64 vcc, exec, s[4:5]
	s_cbranch_vccnz .LBB91_19
; %bb.18:                               ;   in Loop: Header=BB91_14 Depth=1
	v_cvt_f16_f32_e32 v13, v5
	global_store_short v[2:3], v13, off
.LBB91_19:                              ;   in Loop: Header=BB91_14 Depth=1
	s_and_b64 vcc, exec, s[6:7]
	s_cbranch_vccnz .LBB91_13
; %bb.20:                               ;   in Loop: Header=BB91_14 Depth=1
	v_cvt_f16_f32_e32 v13, v4
	global_store_short v[0:1], v13, off
	s_branch .LBB91_13
.LBB91_21:
	s_endpgm
	.section	.rodata,"a",@progbits
	.p2align	6, 0x0
	.amdhsa_kernel _ZN2at6native12_GLOBAL__N_135GammaBetaBackwardCUDAKernelTemplateIN3c104HalfEfLj32ELj32ELj256ELb0ELb1ELb0EEEvllPKT_S7_PKT0_SA_PS5_SB_
		.amdhsa_group_segment_fixed_size 0
		.amdhsa_private_segment_fixed_size 0
		.amdhsa_kernarg_size 320
		.amdhsa_user_sgpr_count 6
		.amdhsa_user_sgpr_private_segment_buffer 1
		.amdhsa_user_sgpr_dispatch_ptr 0
		.amdhsa_user_sgpr_queue_ptr 0
		.amdhsa_user_sgpr_kernarg_segment_ptr 1
		.amdhsa_user_sgpr_dispatch_id 0
		.amdhsa_user_sgpr_flat_scratch_init 0
		.amdhsa_user_sgpr_kernarg_preload_length 0
		.amdhsa_user_sgpr_kernarg_preload_offset 0
		.amdhsa_user_sgpr_private_segment_size 0
		.amdhsa_uses_dynamic_stack 0
		.amdhsa_system_sgpr_private_segment_wavefront_offset 0
		.amdhsa_system_sgpr_workgroup_id_x 1
		.amdhsa_system_sgpr_workgroup_id_y 1
		.amdhsa_system_sgpr_workgroup_id_z 0
		.amdhsa_system_sgpr_workgroup_info 0
		.amdhsa_system_vgpr_workitem_id 1
		.amdhsa_next_free_vgpr 48
		.amdhsa_next_free_sgpr 32
		.amdhsa_accum_offset 48
		.amdhsa_reserve_vcc 1
		.amdhsa_reserve_flat_scratch 0
		.amdhsa_float_round_mode_32 0
		.amdhsa_float_round_mode_16_64 0
		.amdhsa_float_denorm_mode_32 3
		.amdhsa_float_denorm_mode_16_64 3
		.amdhsa_dx10_clamp 1
		.amdhsa_ieee_mode 1
		.amdhsa_fp16_overflow 0
		.amdhsa_tg_split 0
		.amdhsa_exception_fp_ieee_invalid_op 0
		.amdhsa_exception_fp_denorm_src 0
		.amdhsa_exception_fp_ieee_div_zero 0
		.amdhsa_exception_fp_ieee_overflow 0
		.amdhsa_exception_fp_ieee_underflow 0
		.amdhsa_exception_fp_ieee_inexact 0
		.amdhsa_exception_int_div_zero 0
	.end_amdhsa_kernel
	.section	.text._ZN2at6native12_GLOBAL__N_135GammaBetaBackwardCUDAKernelTemplateIN3c104HalfEfLj32ELj32ELj256ELb0ELb1ELb0EEEvllPKT_S7_PKT0_SA_PS5_SB_,"axG",@progbits,_ZN2at6native12_GLOBAL__N_135GammaBetaBackwardCUDAKernelTemplateIN3c104HalfEfLj32ELj32ELj256ELb0ELb1ELb0EEEvllPKT_S7_PKT0_SA_PS5_SB_,comdat
.Lfunc_end91:
	.size	_ZN2at6native12_GLOBAL__N_135GammaBetaBackwardCUDAKernelTemplateIN3c104HalfEfLj32ELj32ELj256ELb0ELb1ELb0EEEvllPKT_S7_PKT0_SA_PS5_SB_, .Lfunc_end91-_ZN2at6native12_GLOBAL__N_135GammaBetaBackwardCUDAKernelTemplateIN3c104HalfEfLj32ELj32ELj256ELb0ELb1ELb0EEEvllPKT_S7_PKT0_SA_PS5_SB_
                                        ; -- End function
	.section	.AMDGPU.csdata,"",@progbits
; Kernel info:
; codeLenInByte = 1836
; NumSgprs: 36
; NumVgprs: 48
; NumAgprs: 0
; TotalNumVgprs: 48
; ScratchSize: 0
; MemoryBound: 0
; FloatMode: 240
; IeeeMode: 1
; LDSByteSize: 0 bytes/workgroup (compile time only)
; SGPRBlocks: 4
; VGPRBlocks: 5
; NumSGPRsForWavesPerEU: 36
; NumVGPRsForWavesPerEU: 48
; AccumOffset: 48
; Occupancy: 8
; WaveLimiterHint : 0
; COMPUTE_PGM_RSRC2:SCRATCH_EN: 0
; COMPUTE_PGM_RSRC2:USER_SGPR: 6
; COMPUTE_PGM_RSRC2:TRAP_HANDLER: 0
; COMPUTE_PGM_RSRC2:TGID_X_EN: 1
; COMPUTE_PGM_RSRC2:TGID_Y_EN: 1
; COMPUTE_PGM_RSRC2:TGID_Z_EN: 0
; COMPUTE_PGM_RSRC2:TIDIG_COMP_CNT: 1
; COMPUTE_PGM_RSRC3_GFX90A:ACCUM_OFFSET: 11
; COMPUTE_PGM_RSRC3_GFX90A:TG_SPLIT: 0
	.section	.text._ZN2at6native12_GLOBAL__N_135GammaBetaBackwardCUDAKernelTemplateIN3c104HalfEfLj32ELj32ELj256ELb0ELb0ELb0EEEvllPKT_S7_PKT0_SA_PS5_SB_,"axG",@progbits,_ZN2at6native12_GLOBAL__N_135GammaBetaBackwardCUDAKernelTemplateIN3c104HalfEfLj32ELj32ELj256ELb0ELb0ELb0EEEvllPKT_S7_PKT0_SA_PS5_SB_,comdat
	.globl	_ZN2at6native12_GLOBAL__N_135GammaBetaBackwardCUDAKernelTemplateIN3c104HalfEfLj32ELj32ELj256ELb0ELb0ELb0EEEvllPKT_S7_PKT0_SA_PS5_SB_ ; -- Begin function _ZN2at6native12_GLOBAL__N_135GammaBetaBackwardCUDAKernelTemplateIN3c104HalfEfLj32ELj32ELj256ELb0ELb0ELb0EEEvllPKT_S7_PKT0_SA_PS5_SB_
	.p2align	8
	.type	_ZN2at6native12_GLOBAL__N_135GammaBetaBackwardCUDAKernelTemplateIN3c104HalfEfLj32ELj32ELj256ELb0ELb0ELb0EEEvllPKT_S7_PKT0_SA_PS5_SB_,@function
_ZN2at6native12_GLOBAL__N_135GammaBetaBackwardCUDAKernelTemplateIN3c104HalfEfLj32ELj32ELj256ELb0ELb0ELb0EEEvllPKT_S7_PKT0_SA_PS5_SB_: ; @_ZN2at6native12_GLOBAL__N_135GammaBetaBackwardCUDAKernelTemplateIN3c104HalfEfLj32ELj32ELj256ELb0ELb0ELb0EEEvllPKT_S7_PKT0_SA_PS5_SB_
; %bb.0:
	s_load_dwordx8 s[12:19], s[4:5], 0x0
	s_load_dwordx4 s[28:31], s[4:5], 0x20
	s_lshl_b32 s33, s6, 5
	s_mov_b32 s20, 0
	s_or_b32 s0, s33, 31
	s_mov_b32 s1, s20
	s_waitcnt lgkmcnt(0)
	v_pk_mov_b32 v[2:3], s[14:15], s[14:15] op_sel:[0,1]
	v_cmp_ge_i64_e32 vcc, s[0:1], v[2:3]
	s_lshl_b32 s10, s7, 8
	s_mov_b32 s11, s20
	v_pk_mov_b32 v[2:3], s[12:13], s[12:13] op_sel:[0,1]
	v_cmp_lt_i64_e64 s[0:1], s[10:11], v[2:3]
	v_cndmask_b32_e64 v1, 0, 1, s[0:1]
	v_cmp_ne_u32_e64 s[0:1], 1, v1
	s_cbranch_vccz .LBB92_48
; %bb.1:
	v_mov_b32_e32 v27, 0
	s_and_b64 vcc, exec, s[0:1]
	v_mov_b32_e32 v26, v27
	s_cbranch_vccnz .LBB92_49
; %bb.2:
	v_and_b32_e32 v61, 0x3ff, v0
	v_bfe_u32 v63, v0, 10, 10
	v_add_u32_e32 v2, s33, v61
	v_mov_b32_e32 v3, 0
	v_lshlrev_b32_e32 v28, 3, v63
	v_cmp_gt_i64_e64 s[2:3], s[14:15], v[2:3]
	v_lshlrev_b64 v[30:31], 1, v[2:3]
	v_mov_b32_e32 v1, s11
	v_add_co_u32_e32 v2, vcc, s10, v28
	v_addc_co_u32_e32 v6, vcc, 0, v1, vcc
	v_add_co_u32_e32 v1, vcc, 7, v2
	v_addc_co_u32_e32 v4, vcc, 0, v6, vcc
	v_mul_lo_u32 v7, s15, v1
	v_mul_lo_u32 v8, s14, v4
	v_mad_u64_u32 v[4:5], s[8:9], s14, v1, 0
	s_load_dword s7, s[4:5], 0x44
	v_add3_u32 v5, v5, v8, v7
	v_lshlrev_b64 v[4:5], 1, v[4:5]
	v_mov_b32_e32 v7, s17
	v_add_co_u32_e32 v32, vcc, s16, v4
	v_addc_co_u32_e32 v1, vcc, v7, v5, vcc
	s_add_u32 s34, s4, 64
	v_mov_b32_e32 v8, s19
	v_add_co_u32_e32 v34, vcc, s18, v4
	s_addc_u32 s35, s5, 0
	s_waitcnt lgkmcnt(0)
	s_lshl_b32 s7, s7, 8
	v_addc_co_u32_e32 v29, vcc, v8, v5, vcc
	s_mul_i32 s8, s15, s7
	s_mul_hi_u32 s9, s14, s7
	v_add_co_u32_e32 v4, vcc, 6, v2
	s_add_i32 s9, s9, s8
	s_mul_i32 s8, s14, s7
	v_addc_co_u32_e32 v5, vcc, 0, v6, vcc
	s_lshl_b64 s[36:37], s[8:9], 1
	v_mul_lo_u32 v9, s15, v4
	v_mul_lo_u32 v10, s14, v5
	v_mad_u64_u32 v[4:5], s[8:9], s14, v4, 0
	v_add3_u32 v5, v5, v10, v9
	v_lshlrev_b64 v[4:5], 1, v[4:5]
	v_add_co_u32_e32 v36, vcc, s16, v4
	v_addc_co_u32_e32 v33, vcc, v7, v5, vcc
	v_add_co_u32_e32 v38, vcc, s18, v4
	v_addc_co_u32_e32 v35, vcc, v8, v5, vcc
	v_add_co_u32_e32 v4, vcc, 5, v2
	v_addc_co_u32_e32 v5, vcc, 0, v6, vcc
	v_mul_lo_u32 v9, s15, v4
	v_mul_lo_u32 v10, s14, v5
	v_mad_u64_u32 v[4:5], s[8:9], s14, v4, 0
	v_add3_u32 v5, v5, v10, v9
	v_lshlrev_b64 v[4:5], 1, v[4:5]
	v_add_co_u32_e32 v40, vcc, s16, v4
	v_addc_co_u32_e32 v37, vcc, v7, v5, vcc
	v_add_co_u32_e32 v42, vcc, s18, v4
	v_addc_co_u32_e32 v39, vcc, v8, v5, vcc
	v_add_co_u32_e32 v4, vcc, 4, v2
	v_addc_co_u32_e32 v5, vcc, 0, v6, vcc
	;; [unrolled: 11-line block ×4, first 2 shown]
	v_mul_lo_u32 v9, s15, v4
	v_mul_lo_u32 v10, s14, v5
	v_mad_u64_u32 v[4:5], s[8:9], s14, v4, 0
	v_add3_u32 v5, v5, v10, v9
	v_lshlrev_b64 v[4:5], 1, v[4:5]
	v_add_co_u32_e32 v52, vcc, s16, v4
	v_addc_co_u32_e32 v49, vcc, v7, v5, vcc
	v_add_co_u32_e32 v54, vcc, s18, v4
	v_addc_co_u32_e32 v51, vcc, v8, v5, vcc
	v_pk_mov_b32 v[4:5], s[14:15], s[14:15] op_sel:[0,1]
	v_mad_u64_u32 v[4:5], s[8:9], s14, v2, v[4:5]
	v_mul_lo_u32 v6, s14, v6
	v_mul_lo_u32 v9, s15, v2
	v_add3_u32 v5, v9, v5, v6
	v_lshlrev_b64 v[4:5], 1, v[4:5]
	v_add_co_u32_e32 v56, vcc, s16, v4
	v_addc_co_u32_e32 v53, vcc, v7, v5, vcc
	v_add_co_u32_e32 v58, vcc, s18, v4
	v_addc_co_u32_e32 v55, vcc, v8, v5, vcc
	v_mad_u64_u32 v[4:5], s[8:9], s14, v2, 0
	v_add3_u32 v5, v5, v6, v9
	v_lshlrev_b64 v[4:5], 1, v[4:5]
	v_add_co_u32_e32 v60, vcc, s16, v4
	v_mbcnt_lo_u32_b32 v2, -1, 0
	v_addc_co_u32_e32 v57, vcc, v7, v5, vcc
	v_mbcnt_hi_u32_b32 v2, -1, v2
	s_add_u32 s38, s10, 0xff
	v_add_co_u32_e32 v62, vcc, s18, v4
	v_lshlrev_b32_e32 v2, 2, v2
	s_addc_u32 s39, 0, 0
	v_addc_co_u32_e32 v59, vcc, v8, v5, vcc
	v_and_b32_e32 v64, 0x100, v2
	s_mov_b64 s[40:41], s[10:11]
	v_mov_b32_e32 v26, v3
	v_mov_b32_e32 v27, v3
	s_branch .LBB92_5
.LBB92_3:                               ;   in Loop: Header=BB92_5 Depth=1
	s_or_b64 exec, exec, s[8:9]
	s_waitcnt vmcnt(1)
	ds_bpermute_b32 v2, v64, v68
	ds_bpermute_b32 v4, v64, v68 offset:4
	s_waitcnt vmcnt(0)
	ds_bpermute_b32 v5, v64, v67
	ds_bpermute_b32 v6, v64, v67 offset:4
	ds_bpermute_b32 v8, v64, v67 offset:12
	s_waitcnt lgkmcnt(4)
	v_sub_f32_e32 v2, v10, v2
	v_mul_f32_e32 v2, v18, v2
	s_waitcnt lgkmcnt(3)
	v_sub_f32_e32 v4, v11, v4
	s_waitcnt lgkmcnt(2)
	v_mul_f32_e32 v5, v2, v5
	ds_bpermute_b32 v2, v64, v68 offset:8
	v_mul_f32_e32 v4, v19, v4
	s_waitcnt lgkmcnt(2)
	v_mul_f32_e32 v7, v4, v6
	ds_bpermute_b32 v4, v64, v67 offset:8
	ds_bpermute_b32 v6, v64, v68 offset:12
	s_waitcnt lgkmcnt(2)
	v_sub_f32_e32 v2, v12, v2
	v_mul_f32_e32 v2, v20, v2
	v_mov_b32_e32 v10, v21
	s_waitcnt lgkmcnt(1)
	v_mul_f32_e32 v9, v2, v4
	s_waitcnt lgkmcnt(0)
	v_sub_f32_e32 v2, v13, v6
	ds_bpermute_b32 v4, v64, v68 offset:16
	v_mul_f32_e32 v2, v21, v2
	v_mul_f32_e32 v11, v2, v8
	ds_bpermute_b32 v2, v64, v67 offset:16
	ds_bpermute_b32 v6, v64, v68 offset:20
	;; [unrolled: 1-line block ×3, first 2 shown]
	s_waitcnt lgkmcnt(3)
	v_sub_f32_e32 v4, v14, v4
	v_mul_f32_e32 v4, v22, v4
	s_waitcnt lgkmcnt(2)
	v_mul_f32_e32 v13, v4, v2
	s_waitcnt lgkmcnt(1)
	v_sub_f32_e32 v2, v15, v6
	v_mul_f32_e32 v2, v23, v2
	s_waitcnt lgkmcnt(0)
	v_mul_f32_e32 v15, v2, v8
	v_mov_b32_e32 v4, v18
	ds_bpermute_b32 v2, v64, v68 offset:24
	v_pk_add_f32 v[4:5], v[26:27], v[4:5]
	v_mov_b32_e32 v6, v19
	v_pk_add_f32 v[4:5], v[6:7], v[4:5]
	ds_bpermute_b32 v7, v64, v67 offset:24
	v_mov_b32_e32 v8, v20
	v_pk_add_f32 v[4:5], v[8:9], v[4:5]
	v_pk_add_f32 v[4:5], v[10:11], v[4:5]
	v_mov_b32_e32 v12, v22
	s_waitcnt lgkmcnt(1)
	v_sub_f32_e32 v8, v16, v2
	v_pk_add_f32 v[4:5], v[12:13], v[4:5]
	v_mov_b32_e32 v14, v23
	v_mul_f32_e32 v8, v24, v8
	v_pk_add_f32 v[4:5], v[14:15], v[4:5]
	s_waitcnt lgkmcnt(0)
	v_mul_f32_e32 v9, v8, v7
	v_mov_b32_e32 v8, v24
	ds_bpermute_b32 v2, v64, v67 offset:28
	ds_bpermute_b32 v6, v64, v68 offset:28
	v_pk_add_f32 v[4:5], v[8:9], v[4:5]
.LBB92_4:                               ;   in Loop: Header=BB92_5 Depth=1
	s_waitcnt lgkmcnt(0)
	v_sub_f32_e32 v6, v17, v6
	v_mul_f32_e32 v6, v25, v6
	v_mul_f32_e32 v7, v6, v2
	v_mov_b32_e32 v2, s37
	v_add_co_u32_e32 v32, vcc, s36, v32
	v_addc_co_u32_e32 v1, vcc, v1, v2, vcc
	v_add_co_u32_e32 v34, vcc, s36, v34
	v_addc_co_u32_e32 v29, vcc, v29, v2, vcc
	;; [unrolled: 2-line block ×15, first 2 shown]
	v_mov_b32_e32 v6, v25
	s_add_u32 s40, s40, s7
	v_add_co_u32_e32 v62, vcc, s36, v62
	v_pk_add_f32 v[26:27], v[4:5], v[6:7]
	s_addc_u32 s41, s41, 0
	v_addc_co_u32_e32 v59, vcc, v59, v2, vcc
	v_pk_mov_b32 v[4:5], s[12:13], s[12:13] op_sel:[0,1]
	s_add_u32 s38, s38, s7
	v_cmp_lt_i64_e32 vcc, s[40:41], v[4:5]
	s_addc_u32 s39, s39, 0
	s_cbranch_vccz .LBB92_49
.LBB92_5:                               ; =>This Inner Loop Header: Depth=1
	v_pk_mov_b32 v[4:5], s[12:13], s[12:13] op_sel:[0,1]
	v_cmp_ge_i64_e32 vcc, s[38:39], v[4:5]
	v_mov_b32_e32 v2, s39
	v_add_co_u32_e64 v65, s[8:9], s38, v28
	v_addc_co_u32_e64 v66, s[8:9], 0, v2, s[8:9]
	s_cbranch_vccz .LBB92_27
; %bb.6:                                ;   in Loop: Header=BB92_5 Depth=1
	s_load_dword s8, s[34:35], 0xc
	v_mov_b32_e32 v67, 0
	v_mov_b32_e32 v68, 0
	s_waitcnt lgkmcnt(0)
	s_and_b32 s8, s8, 0xffff
	v_mad_u32_u24 v2, v63, s8, v61
	v_and_b32_e32 v2, 63, v2
	v_cmp_gt_u32_e32 vcc, 8, v2
	s_and_saveexec_b64 s[8:9], vcc
	s_cbranch_execz .LBB92_10
; %bb.7:                                ;   in Loop: Header=BB92_5 Depth=1
	v_add_co_u32_e32 v2, vcc, v65, v2
	v_addc_co_u32_e32 v5, vcc, 0, v66, vcc
	v_add_co_u32_e32 v4, vcc, 0xffffff01, v2
	v_addc_co_u32_e32 v5, vcc, -1, v5, vcc
	v_cmp_gt_i64_e32 vcc, s[12:13], v[4:5]
	v_mov_b32_e32 v68, 0
	v_mov_b32_e32 v67, 0
	s_and_saveexec_b64 s[22:23], vcc
	s_cbranch_execz .LBB92_9
; %bb.8:                                ;   in Loop: Header=BB92_5 Depth=1
	v_lshlrev_b64 v[4:5], 2, v[4:5]
	v_mov_b32_e32 v2, s31
	v_add_co_u32_e32 v6, vcc, s30, v4
	v_addc_co_u32_e32 v7, vcc, v2, v5, vcc
	v_mov_b32_e32 v2, s29
	v_add_co_u32_e32 v4, vcc, s28, v4
	v_addc_co_u32_e32 v5, vcc, v2, v5, vcc
	global_load_dword v68, v[4:5], off
	global_load_dword v67, v[6:7], off
.LBB92_9:                               ;   in Loop: Header=BB92_5 Depth=1
	s_or_b64 exec, exec, s[22:23]
.LBB92_10:                              ;   in Loop: Header=BB92_5 Depth=1
	s_or_b64 exec, exec, s[8:9]
	s_mov_b32 s21, s20
	v_add_co_u32_e32 v4, vcc, 0xffffff01, v65
	s_mov_b32 s22, s20
	s_mov_b32 s23, s20
	s_mov_b32 s24, s20
	s_mov_b32 s25, s20
	s_mov_b32 s26, s20
	s_mov_b32 s27, s20
	v_pk_mov_b32 v[10:11], s[20:21], s[20:21] op_sel:[0,1]
	v_addc_co_u32_e32 v5, vcc, -1, v66, vcc
	v_pk_mov_b32 v[16:17], s[26:27], s[26:27] op_sel:[0,1]
	v_cmp_gt_i64_e32 vcc, s[12:13], v[4:5]
	v_pk_mov_b32 v[12:13], s[22:23], s[22:23] op_sel:[0,1]
	v_pk_mov_b32 v[14:15], s[24:25], s[24:25] op_sel:[0,1]
	;; [unrolled: 1-line block ×3, first 2 shown]
	s_and_b64 s[42:43], s[2:3], vcc
	v_pk_mov_b32 v[22:23], v[14:15], v[14:15] op_sel:[0,1]
	v_pk_mov_b32 v[20:21], v[12:13], v[12:13] op_sel:[0,1]
	;; [unrolled: 1-line block ×3, first 2 shown]
	s_and_saveexec_b64 s[8:9], s[42:43]
	s_cbranch_execz .LBB92_12
; %bb.11:                               ;   in Loop: Header=BB92_5 Depth=1
	v_add_co_u32_e32 v4, vcc, v60, v30
	v_addc_co_u32_e32 v5, vcc, v57, v31, vcc
	global_load_ushort v2, v[4:5], off
	v_add_co_u32_e32 v4, vcc, v62, v30
	v_addc_co_u32_e32 v5, vcc, v59, v31, vcc
	global_load_ushort v10, v[4:5], off
	v_mov_b32_e32 v8, v3
	v_mov_b32_e32 v9, v3
	;; [unrolled: 1-line block ×13, first 2 shown]
	s_waitcnt vmcnt(1)
	v_cvt_f32_f16_e32 v2, v2
	v_pk_mov_b32 v[24:25], v[8:9], v[8:9] op_sel:[0,1]
	v_pk_mov_b32 v[22:23], v[6:7], v[6:7] op_sel:[0,1]
	v_pk_mov_b32 v[20:21], v[4:5], v[4:5] op_sel:[0,1]
	v_pk_mov_b32 v[18:19], v[2:3], v[2:3] op_sel:[0,1]
	s_waitcnt vmcnt(0)
	v_cvt_f32_f16_e32 v10, v10
.LBB92_12:                              ;   in Loop: Header=BB92_5 Depth=1
	s_or_b64 exec, exec, s[8:9]
	v_add_co_u32_e32 v4, vcc, 0xffffff02, v65
	v_addc_co_u32_e32 v5, vcc, -1, v66, vcc
	v_cmp_gt_i64_e32 vcc, s[12:13], v[4:5]
	s_and_b64 s[22:23], s[2:3], vcc
	s_and_saveexec_b64 s[8:9], s[22:23]
	s_cbranch_execz .LBB92_14
; %bb.13:                               ;   in Loop: Header=BB92_5 Depth=1
	v_add_co_u32_e32 v4, vcc, v56, v30
	v_addc_co_u32_e32 v5, vcc, v53, v31, vcc
	global_load_ushort v2, v[4:5], off
	v_add_co_u32_e32 v4, vcc, v58, v30
	v_addc_co_u32_e32 v5, vcc, v55, v31, vcc
	global_load_ushort v4, v[4:5], off
	s_waitcnt vmcnt(1)
	v_cvt_f32_f16_e32 v19, v2
	s_waitcnt vmcnt(0)
	v_cvt_f32_f16_e32 v11, v4
.LBB92_14:                              ;   in Loop: Header=BB92_5 Depth=1
	s_or_b64 exec, exec, s[8:9]
	v_add_co_u32_e32 v4, vcc, 0xffffff03, v65
	v_addc_co_u32_e32 v5, vcc, -1, v66, vcc
	v_cmp_gt_i64_e32 vcc, s[12:13], v[4:5]
	s_and_b64 s[22:23], s[2:3], vcc
	s_and_saveexec_b64 s[8:9], s[22:23]
	s_cbranch_execz .LBB92_16
; %bb.15:                               ;   in Loop: Header=BB92_5 Depth=1
	v_add_co_u32_e32 v4, vcc, v52, v30
	v_addc_co_u32_e32 v5, vcc, v49, v31, vcc
	global_load_ushort v2, v[4:5], off
	v_add_co_u32_e32 v4, vcc, v54, v30
	v_addc_co_u32_e32 v5, vcc, v51, v31, vcc
	global_load_ushort v4, v[4:5], off
	s_waitcnt vmcnt(1)
	v_cvt_f32_f16_e32 v20, v2
	s_waitcnt vmcnt(0)
	v_cvt_f32_f16_e32 v12, v4
.LBB92_16:                              ;   in Loop: Header=BB92_5 Depth=1
	;; [unrolled: 19-line block ×7, first 2 shown]
	s_or_b64 exec, exec, s[8:9]
	s_waitcnt vmcnt(1)
	ds_bpermute_b32 v2, v64, v68
	ds_bpermute_b32 v4, v64, v68 offset:4
	s_waitcnt vmcnt(0)
	ds_bpermute_b32 v5, v64, v67
	ds_bpermute_b32 v6, v64, v67 offset:4
	ds_bpermute_b32 v8, v64, v67 offset:12
	s_waitcnt lgkmcnt(4)
	v_sub_f32_e32 v2, v10, v2
	v_mul_f32_e32 v2, v18, v2
	s_waitcnt lgkmcnt(3)
	v_sub_f32_e32 v4, v11, v4
	s_waitcnt lgkmcnt(2)
	v_mul_f32_e32 v5, v2, v5
	ds_bpermute_b32 v2, v64, v68 offset:8
	v_mul_f32_e32 v4, v19, v4
	s_waitcnt lgkmcnt(2)
	v_mul_f32_e32 v7, v4, v6
	ds_bpermute_b32 v4, v64, v67 offset:8
	ds_bpermute_b32 v6, v64, v68 offset:12
	s_waitcnt lgkmcnt(2)
	v_sub_f32_e32 v2, v12, v2
	v_mul_f32_e32 v2, v20, v2
	v_mov_b32_e32 v10, v21
	s_waitcnt lgkmcnt(1)
	v_mul_f32_e32 v9, v2, v4
	s_waitcnt lgkmcnt(0)
	v_sub_f32_e32 v2, v13, v6
	ds_bpermute_b32 v4, v64, v68 offset:16
	v_mul_f32_e32 v2, v21, v2
	v_mul_f32_e32 v11, v2, v8
	ds_bpermute_b32 v2, v64, v67 offset:16
	ds_bpermute_b32 v6, v64, v68 offset:20
	;; [unrolled: 1-line block ×3, first 2 shown]
	s_waitcnt lgkmcnt(3)
	v_sub_f32_e32 v4, v14, v4
	v_mul_f32_e32 v4, v22, v4
	s_waitcnt lgkmcnt(2)
	v_mul_f32_e32 v13, v4, v2
	s_waitcnt lgkmcnt(1)
	v_sub_f32_e32 v2, v15, v6
	v_mul_f32_e32 v2, v23, v2
	s_waitcnt lgkmcnt(0)
	v_mul_f32_e32 v15, v2, v8
	ds_bpermute_b32 v2, v64, v68 offset:24
	v_mov_b32_e32 v4, v18
	v_pk_add_f32 v[4:5], v[26:27], v[4:5]
	v_mov_b32_e32 v6, v19
	v_pk_add_f32 v[4:5], v[6:7], v[4:5]
	ds_bpermute_b32 v7, v64, v67 offset:24
	v_mov_b32_e32 v8, v20
	s_waitcnt lgkmcnt(1)
	v_sub_f32_e32 v2, v16, v2
	v_pk_add_f32 v[4:5], v[8:9], v[4:5]
	v_mul_f32_e32 v8, v24, v2
	ds_bpermute_b32 v2, v64, v67 offset:28
	ds_bpermute_b32 v6, v64, v68 offset:28
	v_pk_add_f32 v[4:5], v[10:11], v[4:5]
	v_mov_b32_e32 v12, v22
	v_pk_add_f32 v[4:5], v[12:13], v[4:5]
	v_mov_b32_e32 v14, v23
	v_pk_add_f32 v[4:5], v[14:15], v[4:5]
	s_waitcnt lgkmcnt(2)
	v_mul_f32_e32 v9, v8, v7
	v_mov_b32_e32 v8, v24
	v_pk_add_f32 v[4:5], v[8:9], v[4:5]
	s_branch .LBB92_4
.LBB92_27:                              ;   in Loop: Header=BB92_5 Depth=1
                                        ; implicit-def: $vgpr4_vgpr5
                                        ; implicit-def: $vgpr2
                                        ; implicit-def: $vgpr10_vgpr11_vgpr12_vgpr13_vgpr14_vgpr15_vgpr16_vgpr17
                                        ; implicit-def: $vgpr18_vgpr19_vgpr20_vgpr21_vgpr22_vgpr23_vgpr24_vgpr25
                                        ; implicit-def: $vgpr6
	s_cbranch_execz .LBB92_4
; %bb.28:                               ;   in Loop: Header=BB92_5 Depth=1
	s_load_dword s8, s[34:35], 0x0
	v_mov_b32_e32 v67, 0
	v_mov_b32_e32 v68, 0
	s_waitcnt lgkmcnt(0)
	s_cmp_lt_u32 s6, s8
	s_cselect_b32 s8, 12, 18
	s_add_u32 s8, s34, s8
	s_addc_u32 s9, s35, 0
	global_load_ushort v2, v3, s[8:9]
	s_waitcnt vmcnt(0)
	v_mad_u32_u24 v2, v63, v2, v61
	v_and_b32_e32 v2, 63, v2
	v_cmp_gt_u32_e32 vcc, 8, v2
	s_and_saveexec_b64 s[8:9], vcc
	s_cbranch_execz .LBB92_32
; %bb.29:                               ;   in Loop: Header=BB92_5 Depth=1
	v_add_co_u32_e32 v2, vcc, v65, v2
	v_addc_co_u32_e32 v5, vcc, 0, v66, vcc
	v_add_co_u32_e32 v4, vcc, 0xffffff01, v2
	v_addc_co_u32_e32 v5, vcc, -1, v5, vcc
	v_cmp_gt_i64_e32 vcc, s[12:13], v[4:5]
	v_mov_b32_e32 v68, 0
	v_mov_b32_e32 v67, 0
	s_and_saveexec_b64 s[22:23], vcc
	s_cbranch_execz .LBB92_31
; %bb.30:                               ;   in Loop: Header=BB92_5 Depth=1
	v_lshlrev_b64 v[4:5], 2, v[4:5]
	v_mov_b32_e32 v2, s31
	v_add_co_u32_e32 v6, vcc, s30, v4
	v_addc_co_u32_e32 v7, vcc, v2, v5, vcc
	v_mov_b32_e32 v2, s29
	v_add_co_u32_e32 v4, vcc, s28, v4
	v_addc_co_u32_e32 v5, vcc, v2, v5, vcc
	global_load_dword v68, v[4:5], off
	global_load_dword v67, v[6:7], off
.LBB92_31:                              ;   in Loop: Header=BB92_5 Depth=1
	s_or_b64 exec, exec, s[22:23]
.LBB92_32:                              ;   in Loop: Header=BB92_5 Depth=1
	s_or_b64 exec, exec, s[8:9]
	s_mov_b32 s21, s20
	s_mov_b32 s22, s20
	;; [unrolled: 1-line block ×7, first 2 shown]
	v_pk_mov_b32 v[10:11], s[20:21], s[20:21] op_sel:[0,1]
	v_pk_mov_b32 v[16:17], s[26:27], s[26:27] op_sel:[0,1]
	;; [unrolled: 1-line block ×8, first 2 shown]
	s_and_saveexec_b64 s[8:9], s[2:3]
	s_cbranch_execnz .LBB92_40
; %bb.33:                               ;   in Loop: Header=BB92_5 Depth=1
	s_or_b64 exec, exec, s[8:9]
	s_and_saveexec_b64 s[8:9], s[2:3]
	s_cbranch_execnz .LBB92_41
.LBB92_34:                              ;   in Loop: Header=BB92_5 Depth=1
	s_or_b64 exec, exec, s[8:9]
	s_and_saveexec_b64 s[8:9], s[2:3]
	s_cbranch_execnz .LBB92_42
.LBB92_35:                              ;   in Loop: Header=BB92_5 Depth=1
	s_or_b64 exec, exec, s[8:9]
	s_and_saveexec_b64 s[8:9], s[2:3]
	s_cbranch_execnz .LBB92_43
.LBB92_36:                              ;   in Loop: Header=BB92_5 Depth=1
	s_or_b64 exec, exec, s[8:9]
	s_and_saveexec_b64 s[8:9], s[2:3]
	s_cbranch_execnz .LBB92_44
.LBB92_37:                              ;   in Loop: Header=BB92_5 Depth=1
	s_or_b64 exec, exec, s[8:9]
	s_and_saveexec_b64 s[8:9], s[2:3]
	s_cbranch_execnz .LBB92_45
.LBB92_38:                              ;   in Loop: Header=BB92_5 Depth=1
	s_or_b64 exec, exec, s[8:9]
	s_and_saveexec_b64 s[8:9], s[2:3]
	s_cbranch_execnz .LBB92_46
.LBB92_39:                              ;   in Loop: Header=BB92_5 Depth=1
	s_or_b64 exec, exec, s[8:9]
	s_and_saveexec_b64 s[8:9], s[2:3]
	s_cbranch_execz .LBB92_3
	s_branch .LBB92_47
.LBB92_40:                              ;   in Loop: Header=BB92_5 Depth=1
	v_add_co_u32_e32 v4, vcc, v60, v30
	v_addc_co_u32_e32 v5, vcc, v57, v31, vcc
	global_load_ushort v2, v[4:5], off
	v_add_co_u32_e32 v4, vcc, v62, v30
	v_addc_co_u32_e32 v5, vcc, v59, v31, vcc
	global_load_ushort v10, v[4:5], off
	v_mov_b32_e32 v8, v3
	v_mov_b32_e32 v9, v3
	;; [unrolled: 1-line block ×13, first 2 shown]
	s_waitcnt vmcnt(1)
	v_cvt_f32_f16_e32 v2, v2
	v_pk_mov_b32 v[24:25], v[8:9], v[8:9] op_sel:[0,1]
	v_pk_mov_b32 v[22:23], v[6:7], v[6:7] op_sel:[0,1]
	;; [unrolled: 1-line block ×4, first 2 shown]
	s_waitcnt vmcnt(0)
	v_cvt_f32_f16_e32 v10, v10
	s_or_b64 exec, exec, s[8:9]
	s_and_saveexec_b64 s[8:9], s[2:3]
	s_cbranch_execz .LBB92_34
.LBB92_41:                              ;   in Loop: Header=BB92_5 Depth=1
	v_add_co_u32_e32 v4, vcc, v56, v30
	v_addc_co_u32_e32 v5, vcc, v53, v31, vcc
	global_load_ushort v2, v[4:5], off
	v_add_co_u32_e32 v4, vcc, v58, v30
	v_addc_co_u32_e32 v5, vcc, v55, v31, vcc
	global_load_ushort v4, v[4:5], off
	s_waitcnt vmcnt(1)
	v_cvt_f32_f16_e32 v19, v2
	s_waitcnt vmcnt(0)
	v_cvt_f32_f16_e32 v11, v4
	s_or_b64 exec, exec, s[8:9]
	s_and_saveexec_b64 s[8:9], s[2:3]
	s_cbranch_execz .LBB92_35
.LBB92_42:                              ;   in Loop: Header=BB92_5 Depth=1
	v_add_co_u32_e32 v4, vcc, v52, v30
	v_addc_co_u32_e32 v5, vcc, v49, v31, vcc
	global_load_ushort v2, v[4:5], off
	v_add_co_u32_e32 v4, vcc, v54, v30
	v_addc_co_u32_e32 v5, vcc, v51, v31, vcc
	global_load_ushort v4, v[4:5], off
	s_waitcnt vmcnt(1)
	v_cvt_f32_f16_e32 v20, v2
	s_waitcnt vmcnt(0)
	v_cvt_f32_f16_e32 v12, v4
	s_or_b64 exec, exec, s[8:9]
	s_and_saveexec_b64 s[8:9], s[2:3]
	s_cbranch_execz .LBB92_36
.LBB92_43:                              ;   in Loop: Header=BB92_5 Depth=1
	v_add_co_u32_e32 v4, vcc, v48, v30
	v_addc_co_u32_e32 v5, vcc, v45, v31, vcc
	global_load_ushort v2, v[4:5], off
	v_add_co_u32_e32 v4, vcc, v50, v30
	v_addc_co_u32_e32 v5, vcc, v47, v31, vcc
	global_load_ushort v4, v[4:5], off
	s_waitcnt vmcnt(1)
	v_cvt_f32_f16_e32 v21, v2
	s_waitcnt vmcnt(0)
	v_cvt_f32_f16_e32 v13, v4
	s_or_b64 exec, exec, s[8:9]
	s_and_saveexec_b64 s[8:9], s[2:3]
	s_cbranch_execz .LBB92_37
.LBB92_44:                              ;   in Loop: Header=BB92_5 Depth=1
	v_add_co_u32_e32 v4, vcc, v44, v30
	v_addc_co_u32_e32 v5, vcc, v41, v31, vcc
	global_load_ushort v2, v[4:5], off
	v_add_co_u32_e32 v4, vcc, v46, v30
	v_addc_co_u32_e32 v5, vcc, v43, v31, vcc
	global_load_ushort v4, v[4:5], off
	s_waitcnt vmcnt(1)
	v_cvt_f32_f16_e32 v22, v2
	s_waitcnt vmcnt(0)
	v_cvt_f32_f16_e32 v14, v4
	s_or_b64 exec, exec, s[8:9]
	s_and_saveexec_b64 s[8:9], s[2:3]
	s_cbranch_execz .LBB92_38
.LBB92_45:                              ;   in Loop: Header=BB92_5 Depth=1
	v_add_co_u32_e32 v4, vcc, v40, v30
	v_addc_co_u32_e32 v5, vcc, v37, v31, vcc
	global_load_ushort v2, v[4:5], off
	v_add_co_u32_e32 v4, vcc, v42, v30
	v_addc_co_u32_e32 v5, vcc, v39, v31, vcc
	global_load_ushort v4, v[4:5], off
	s_waitcnt vmcnt(1)
	v_cvt_f32_f16_e32 v23, v2
	s_waitcnt vmcnt(0)
	v_cvt_f32_f16_e32 v15, v4
	s_or_b64 exec, exec, s[8:9]
	s_and_saveexec_b64 s[8:9], s[2:3]
	s_cbranch_execz .LBB92_39
.LBB92_46:                              ;   in Loop: Header=BB92_5 Depth=1
	v_add_co_u32_e32 v4, vcc, v36, v30
	v_addc_co_u32_e32 v5, vcc, v33, v31, vcc
	global_load_ushort v2, v[4:5], off
	v_add_co_u32_e32 v4, vcc, v38, v30
	v_addc_co_u32_e32 v5, vcc, v35, v31, vcc
	global_load_ushort v4, v[4:5], off
	s_waitcnt vmcnt(1)
	v_cvt_f32_f16_e32 v24, v2
	s_waitcnt vmcnt(0)
	v_cvt_f32_f16_e32 v16, v4
	s_or_b64 exec, exec, s[8:9]
	s_and_saveexec_b64 s[8:9], s[2:3]
	s_cbranch_execz .LBB92_3
.LBB92_47:                              ;   in Loop: Header=BB92_5 Depth=1
	v_add_co_u32_e32 v4, vcc, v32, v30
	v_addc_co_u32_e32 v5, vcc, v1, v31, vcc
	global_load_ushort v2, v[4:5], off
	v_add_co_u32_e32 v4, vcc, v34, v30
	v_addc_co_u32_e32 v5, vcc, v29, v31, vcc
	global_load_ushort v4, v[4:5], off
	s_waitcnt vmcnt(1)
	v_cvt_f32_f16_e32 v25, v2
	s_waitcnt vmcnt(0)
	v_cvt_f32_f16_e32 v17, v4
	s_branch .LBB92_3
.LBB92_48:
                                        ; implicit-def: $vgpr27
	s_branch .LBB92_50
.LBB92_49:
	s_cbranch_execnz .LBB92_81
.LBB92_50:
	v_mov_b32_e32 v27, 0
	s_mov_b32 s20, 0
	s_and_b64 vcc, exec, s[0:1]
	v_mov_b32_e32 v26, v27
	s_cbranch_vccnz .LBB92_81
; %bb.51:
	s_load_dword s0, s[4:5], 0x44
	s_add_u32 s2, s4, 64
	s_addc_u32 s3, s5, 0
	v_bfe_u32 v87, v0, 10, 10
	v_lshlrev_b32_e32 v1, 4, v87
	s_waitcnt lgkmcnt(0)
	s_lshl_b32 s7, s0, 8
	s_add_u32 s8, s10, 0xff
	s_addc_u32 s9, 0, 0
	s_lshl_b64 s[0:1], s[10:11], 1
	v_mov_b32_e32 v2, s1
	v_add_co_u32_e32 v1, vcc, s0, v1
	v_addc_co_u32_e32 v4, vcc, 0, v2, vcc
	v_add_co_u32_e32 v6, vcc, 2, v1
	v_addc_co_u32_e32 v5, vcc, 0, v4, vcc
	v_add_co_u32_e32 v9, vcc, 4, v1
	v_mul_lo_u32 v7, s14, v5
	v_addc_co_u32_e32 v5, vcc, 0, v4, vcc
	v_add_co_u32_e32 v12, vcc, 6, v1
	v_mul_lo_u32 v10, s14, v5
	;; [unrolled: 3-line block ×5, first 2 shown]
	v_addc_co_u32_e32 v5, vcc, 0, v4, vcc
	v_add_co_u32_e32 v24, vcc, 14, v1
	v_lshlrev_b32_e32 v28, 3, v87
	v_addc_co_u32_e32 v1, vcc, 0, v4, vcc
	v_mul_lo_u32 v25, s14, v1
	v_mov_b32_e32 v1, s11
	v_add_co_u32_e32 v27, vcc, s10, v28
	v_pk_mov_b32 v[2:3], s[16:17], s[16:17] op_sel:[0,1]
	v_addc_co_u32_e32 v45, vcc, 0, v1, vcc
	v_mad_u64_u32 v[30:31], s[0:1], s14, v6, v[2:3]
	v_mad_u64_u32 v[32:33], s[0:1], s14, v9, v[2:3]
	;; [unrolled: 1-line block ×7, first 2 shown]
	v_mul_lo_u32 v61, s15, v27
	v_mul_lo_u32 v62, s14, v45
	v_mad_u64_u32 v[2:3], s[0:1], s14, v27, 0
	v_add3_u32 v3, v3, v62, v61
	v_lshlrev_b64 v[2:3], 1, v[2:3]
	v_mul_lo_u32 v22, s14, v5
	v_mov_b32_e32 v83, s17
	v_add_co_u32_e32 v44, vcc, s16, v2
	v_pk_mov_b32 v[4:5], s[18:19], s[18:19] op_sel:[0,1]
	v_mul_lo_u32 v17, s15, v15
	v_addc_co_u32_e32 v1, vcc, v83, v3, vcc
	v_mad_u64_u32 v[52:53], s[0:1], s14, v15, v[4:5]
	v_add3_u32 v37, v17, v37, v16
	v_add3_u32 v53, v17, v53, v16
	v_mov_b32_e32 v16, s19
	v_add_co_u32_e32 v60, vcc, s18, v2
	v_addc_co_u32_e32 v29, vcc, v16, v3, vcc
	v_add_co_u32_e32 v2, vcc, 7, v27
	v_addc_co_u32_e32 v3, vcc, 0, v45, vcc
	v_mad_u64_u32 v[46:47], s[0:1], s14, v6, v[4:5]
	v_mad_u64_u32 v[48:49], s[0:1], s14, v9, v[4:5]
	;; [unrolled: 1-line block ×6, first 2 shown]
	v_mul_lo_u32 v4, s15, v2
	v_mul_lo_u32 v5, s14, v3
	v_mad_u64_u32 v[2:3], s[0:1], s14, v2, 0
	v_add3_u32 v3, v3, v5, v4
	v_add_co_u32_e32 v4, vcc, 6, v27
	v_mul_lo_u32 v8, s15, v6
	v_addc_co_u32_e32 v5, vcc, 0, v45, vcc
	v_add3_u32 v31, v8, v31, v7
	v_add3_u32 v47, v8, v47, v7
	v_mul_lo_u32 v6, s15, v4
	v_mul_lo_u32 v7, s14, v5
	v_mad_u64_u32 v[4:5], s[0:1], s14, v4, 0
	v_add3_u32 v5, v5, v7, v6
	v_add_co_u32_e32 v6, vcc, 5, v27
	v_addc_co_u32_e32 v7, vcc, 0, v45, vcc
	v_mul_lo_u32 v11, s15, v9
	v_mul_lo_u32 v8, s15, v6
	v_mul_lo_u32 v9, s14, v7
	v_mad_u64_u32 v[6:7], s[0:1], s14, v6, 0
	v_add3_u32 v7, v7, v9, v8
	v_add_co_u32_e32 v8, vcc, 4, v27
	v_addc_co_u32_e32 v9, vcc, 0, v45, vcc
	v_add3_u32 v33, v11, v33, v10
	v_add3_u32 v49, v11, v49, v10
	v_mul_lo_u32 v10, s15, v8
	v_mul_lo_u32 v11, s14, v9
	v_mad_u64_u32 v[8:9], s[0:1], s14, v8, 0
	v_add3_u32 v9, v9, v11, v10
	v_add_co_u32_e32 v10, vcc, 3, v27
	v_mul_lo_u32 v14, s15, v12
	v_addc_co_u32_e32 v11, vcc, 0, v45, vcc
	v_add3_u32 v35, v14, v35, v13
	v_add3_u32 v51, v14, v51, v13
	v_mul_lo_u32 v12, s15, v10
	v_mul_lo_u32 v13, s14, v11
	v_mad_u64_u32 v[10:11], s[0:1], s14, v10, 0
	v_add3_u32 v11, v11, v13, v12
	v_add_co_u32_e32 v12, vcc, 2, v27
	v_addc_co_u32_e32 v13, vcc, 0, v45, vcc
	v_mul_lo_u32 v14, s15, v12
	v_mul_lo_u32 v15, s14, v13
	v_mad_u64_u32 v[12:13], s[0:1], s14, v12, 0
	v_add3_u32 v13, v13, v15, v14
	v_pk_mov_b32 v[14:15], s[14:15], s[14:15] op_sel:[0,1]
	v_lshlrev_b64 v[2:3], 1, v[2:3]
	v_mad_u64_u32 v[14:15], s[0:1], s14, v27, v[14:15]
	v_add3_u32 v15, v61, v15, v62
	v_add_co_u32_e32 v62, vcc, s16, v2
	v_addc_co_u32_e32 v45, vcc, v83, v3, vcc
	v_add_co_u32_e32 v64, vcc, s18, v2
	v_addc_co_u32_e32 v61, vcc, v16, v3, vcc
	v_lshlrev_b64 v[2:3], 1, v[4:5]
	v_add_co_u32_e32 v66, vcc, s16, v2
	v_addc_co_u32_e32 v63, vcc, v83, v3, vcc
	v_add_co_u32_e32 v68, vcc, s18, v2
	v_addc_co_u32_e32 v65, vcc, v16, v3, vcc
	v_lshlrev_b64 v[2:3], 1, v[6:7]
	;; [unrolled: 5-line block ×6, first 2 shown]
	v_add_co_u32_e32 v86, vcc, s16, v2
	v_addc_co_u32_e32 v83, vcc, v83, v3, vcc
	v_mbcnt_lo_u32_b32 v4, -1, 0
	v_add_co_u32_e32 v88, vcc, s18, v2
	v_and_b32_e32 v89, 0x3ff, v0
	s_mul_i32 s0, s15, s7
	s_mul_hi_u32 s1, s14, s7
	v_mbcnt_hi_u32_b32 v4, -1, v4
	v_mul_lo_u32 v20, s15, v18
	v_mul_lo_u32 v23, s15, v21
	;; [unrolled: 1-line block ×3, first 2 shown]
	v_addc_co_u32_e32 v85, vcc, v16, v3, vcc
	v_add_u32_e32 v2, s33, v89
	v_mov_b32_e32 v3, 0
	s_add_i32 s1, s1, s0
	s_mul_i32 s0, s14, s7
	v_lshlrev_b32_e32 v4, 2, v4
	v_add3_u32 v39, v20, v39, v19
	v_add3_u32 v41, v23, v41, v22
	;; [unrolled: 1-line block ×6, first 2 shown]
	s_lshl_b64 s[16:17], s[0:1], 1
	v_and_b32_e32 v94, 0x100, v4
	v_mov_b32_e32 v26, v3
	v_mov_b32_e32 v27, v3
	v_lshlrev_b64 v[90:91], 1, v[2:3]
	s_branch .LBB92_55
.LBB92_52:                              ;   in Loop: Header=BB92_55 Depth=1
	s_or_b64 exec, exec, s[18:19]
.LBB92_53:                              ;   in Loop: Header=BB92_55 Depth=1
	s_or_b64 exec, exec, s[0:1]
	v_add_co_u32_e32 v4, vcc, v44, v90
	v_addc_co_u32_e32 v5, vcc, v1, v91, vcc
	global_load_ushort v7, v[4:5], off
	v_add_co_u32_e32 v4, vcc, v60, v90
	v_addc_co_u32_e32 v5, vcc, v29, v91, vcc
	global_load_ushort v8, v[4:5], off
	;; [unrolled: 3-line block ×16, first 2 shown]
	s_waitcnt vmcnt(16)
	ds_bpermute_b32 v24, v94, v2 offset:8
	s_waitcnt vmcnt(15)
	v_cvt_f32_f16_e32 v4, v7
	s_waitcnt vmcnt(14)
	v_cvt_f32_f16_e32 v7, v8
	s_waitcnt vmcnt(13)
	v_cvt_f32_f16_e32 v8, v9
	s_waitcnt vmcnt(12)
	v_cvt_f32_f16_e32 v9, v10
	s_waitcnt vmcnt(11)
	v_cvt_f32_f16_e32 v10, v11
	s_waitcnt vmcnt(10)
	v_cvt_f32_f16_e32 v11, v12
	s_waitcnt vmcnt(9)
	v_cvt_f32_f16_e32 v12, v13
	s_waitcnt vmcnt(8)
	v_cvt_f32_f16_e32 v13, v14
	s_waitcnt vmcnt(7)
	v_cvt_f32_f16_e32 v14, v15
	s_waitcnt vmcnt(6)
	v_cvt_f32_f16_e32 v15, v16
	s_waitcnt vmcnt(5)
	v_cvt_f32_f16_e32 v16, v17
	s_waitcnt vmcnt(4)
	v_cvt_f32_f16_e32 v17, v18
	s_waitcnt vmcnt(3)
	v_cvt_f32_f16_e32 v18, v19
	ds_bpermute_b32 v19, v94, v6
	s_waitcnt vmcnt(2)
	v_cvt_f32_f16_e32 v22, v20
	s_waitcnt vmcnt(1)
	v_cvt_f32_f16_e32 v20, v21
	ds_bpermute_b32 v21, v94, v2
	s_waitcnt vmcnt(0)
	v_cvt_f32_f16_e32 v23, v5
	s_waitcnt lgkmcnt(1)
	v_sub_f32_e32 v5, v7, v19
	ds_bpermute_b32 v7, v94, v6 offset:4
	v_mul_f32_e32 v5, v5, v4
	s_waitcnt lgkmcnt(1)
	v_mul_f32_e32 v5, v5, v21
	ds_bpermute_b32 v19, v94, v2 offset:4
	ds_bpermute_b32 v21, v94, v6 offset:8
	s_waitcnt lgkmcnt(2)
	v_sub_f32_e32 v7, v9, v7
	v_mul_f32_e32 v7, v7, v8
	v_pk_add_f32 v[4:5], v[92:93], v[4:5]
	s_waitcnt lgkmcnt(1)
	v_mul_f32_e32 v9, v7, v19
	s_waitcnt lgkmcnt(0)
	v_sub_f32_e32 v7, v11, v21
	ds_bpermute_b32 v19, v94, v6 offset:12
	v_mul_f32_e32 v7, v7, v10
	v_mul_f32_e32 v11, v7, v24
	ds_bpermute_b32 v7, v94, v2 offset:12
	ds_bpermute_b32 v21, v94, v6 offset:16
	s_waitcnt lgkmcnt(2)
	v_sub_f32_e32 v13, v13, v19
	ds_bpermute_b32 v19, v94, v2 offset:16
	v_mul_f32_e32 v13, v13, v12
	s_waitcnt lgkmcnt(2)
	v_mul_f32_e32 v13, v13, v7
	s_waitcnt lgkmcnt(1)
	v_sub_f32_e32 v7, v15, v21
	ds_bpermute_b32 v21, v94, v6 offset:20
	v_mul_f32_e32 v7, v7, v14
	s_waitcnt lgkmcnt(1)
	v_mul_f32_e32 v15, v7, v19
	ds_bpermute_b32 v7, v94, v2 offset:20
	ds_bpermute_b32 v19, v94, v6 offset:24
	;; [unrolled: 1-line block ×3, first 2 shown]
	s_waitcnt lgkmcnt(3)
	v_sub_f32_e32 v17, v17, v21
	ds_bpermute_b32 v21, v94, v2 offset:24
	v_pk_add_f32 v[4:5], v[4:5], v[8:9]
	ds_bpermute_b32 v2, v94, v2 offset:28
	v_mul_f32_e32 v17, v17, v16
	v_pk_add_f32 v[4:5], v[4:5], v[10:11]
	s_waitcnt lgkmcnt(4)
	v_mul_f32_e32 v17, v17, v7
	s_waitcnt lgkmcnt(3)
	v_sub_f32_e32 v7, v22, v19
	v_pk_add_f32 v[4:5], v[4:5], v[12:13]
	v_mul_f32_e32 v7, v7, v18
	v_pk_add_f32 v[4:5], v[4:5], v[14:15]
	s_waitcnt lgkmcnt(2)
	v_sub_f32_e32 v6, v23, v6
	s_waitcnt lgkmcnt(1)
	v_mul_f32_e32 v19, v7, v21
	v_pk_add_f32 v[4:5], v[4:5], v[16:17]
	v_mul_f32_e32 v6, v6, v20
	v_pk_add_f32 v[4:5], v[4:5], v[18:19]
	s_waitcnt lgkmcnt(0)
	v_mul_f32_e32 v21, v6, v2
	v_pk_add_f32 v[26:27], v[4:5], v[20:21]
.LBB92_54:                              ;   in Loop: Header=BB92_55 Depth=1
	v_mov_b32_e32 v2, s17
	v_add_co_u32_e32 v30, vcc, s16, v30
	v_addc_co_u32_e32 v31, vcc, v31, v2, vcc
	v_add_co_u32_e32 v32, vcc, s16, v32
	v_addc_co_u32_e32 v33, vcc, v33, v2, vcc
	;; [unrolled: 2-line block ×29, first 2 shown]
	s_add_u32 s10, s10, s7
	v_add_co_u32_e32 v88, vcc, s16, v88
	s_addc_u32 s11, s11, 0
	v_addc_co_u32_e32 v85, vcc, v85, v2, vcc
	v_pk_mov_b32 v[4:5], s[12:13], s[12:13] op_sel:[0,1]
	s_add_u32 s8, s8, s7
	v_cmp_ge_i64_e32 vcc, s[10:11], v[4:5]
	s_addc_u32 s9, s9, 0
	s_cbranch_vccnz .LBB92_81
.LBB92_55:                              ; =>This Inner Loop Header: Depth=1
	v_pk_mov_b32 v[4:5], s[12:13], s[12:13] op_sel:[0,1]
	v_cmp_ge_i64_e32 vcc, s[8:9], v[4:5]
	v_mov_b32_e32 v2, s9
	v_add_co_u32_e64 v95, s[0:1], s8, v28
	v_mov_b32_e32 v92, v26
	v_mov_b32_e32 v93, v27
	v_addc_co_u32_e64 v96, s[0:1], 0, v2, s[0:1]
	s_cbranch_vccz .LBB92_77
; %bb.56:                               ;   in Loop: Header=BB92_55 Depth=1
	s_load_dword s0, s[2:3], 0xc
	v_mov_b32_e32 v26, 0
	v_mov_b32_e32 v27, 0
	s_waitcnt lgkmcnt(0)
	s_and_b32 s0, s0, 0xffff
	v_mad_u32_u24 v2, v87, s0, v89
	v_and_b32_e32 v2, 63, v2
	v_cmp_gt_u32_e32 vcc, 8, v2
	s_and_saveexec_b64 s[0:1], vcc
	s_cbranch_execz .LBB92_60
; %bb.57:                               ;   in Loop: Header=BB92_55 Depth=1
	v_add_co_u32_e32 v2, vcc, v95, v2
	v_addc_co_u32_e32 v5, vcc, 0, v96, vcc
	v_add_co_u32_e32 v4, vcc, 0xffffff01, v2
	v_addc_co_u32_e32 v5, vcc, -1, v5, vcc
	v_cmp_gt_i64_e32 vcc, s[12:13], v[4:5]
	v_mov_b32_e32 v27, 0
	v_mov_b32_e32 v26, 0
	s_and_saveexec_b64 s[18:19], vcc
	s_cbranch_execz .LBB92_59
; %bb.58:                               ;   in Loop: Header=BB92_55 Depth=1
	v_lshlrev_b64 v[4:5], 2, v[4:5]
	v_mov_b32_e32 v2, s31
	v_add_co_u32_e32 v6, vcc, s30, v4
	v_addc_co_u32_e32 v7, vcc, v2, v5, vcc
	v_mov_b32_e32 v2, s29
	v_add_co_u32_e32 v4, vcc, s28, v4
	v_addc_co_u32_e32 v5, vcc, v2, v5, vcc
	global_load_dword v27, v[4:5], off
	global_load_dword v26, v[6:7], off
.LBB92_59:                              ;   in Loop: Header=BB92_55 Depth=1
	s_or_b64 exec, exec, s[18:19]
.LBB92_60:                              ;   in Loop: Header=BB92_55 Depth=1
	s_or_b64 exec, exec, s[0:1]
	s_mov_b32 s21, s20
	s_mov_b32 s22, s20
	;; [unrolled: 1-line block ×7, first 2 shown]
	v_pk_mov_b32 v[10:11], s[20:21], s[20:21] op_sel:[0,1]
	v_add_co_u32_e32 v4, vcc, 0xffffff01, v95
	v_pk_mov_b32 v[16:17], s[26:27], s[26:27] op_sel:[0,1]
	v_addc_co_u32_e32 v5, vcc, -1, v96, vcc
	v_pk_mov_b32 v[12:13], s[22:23], s[22:23] op_sel:[0,1]
	v_pk_mov_b32 v[14:15], s[24:25], s[24:25] op_sel:[0,1]
	;; [unrolled: 1-line block ×3, first 2 shown]
	v_cmp_gt_i64_e32 vcc, s[12:13], v[4:5]
	v_pk_mov_b32 v[22:23], v[14:15], v[14:15] op_sel:[0,1]
	v_pk_mov_b32 v[20:21], v[12:13], v[12:13] op_sel:[0,1]
	v_pk_mov_b32 v[18:19], v[10:11], v[10:11] op_sel:[0,1]
	s_and_saveexec_b64 s[0:1], vcc
	s_cbranch_execz .LBB92_62
; %bb.61:                               ;   in Loop: Header=BB92_55 Depth=1
	v_add_co_u32_e32 v4, vcc, v44, v90
	v_addc_co_u32_e32 v5, vcc, v1, v91, vcc
	global_load_ushort v2, v[4:5], off
	v_add_co_u32_e32 v4, vcc, v60, v90
	v_addc_co_u32_e32 v5, vcc, v29, v91, vcc
	global_load_ushort v10, v[4:5], off
	v_mov_b32_e32 v8, v3
	v_mov_b32_e32 v9, v3
	;; [unrolled: 1-line block ×13, first 2 shown]
	s_waitcnt vmcnt(1)
	v_cvt_f32_f16_e32 v2, v2
	v_pk_mov_b32 v[24:25], v[8:9], v[8:9] op_sel:[0,1]
	v_pk_mov_b32 v[22:23], v[6:7], v[6:7] op_sel:[0,1]
	;; [unrolled: 1-line block ×4, first 2 shown]
	s_waitcnt vmcnt(0)
	v_cvt_f32_f16_e32 v10, v10
.LBB92_62:                              ;   in Loop: Header=BB92_55 Depth=1
	s_or_b64 exec, exec, s[0:1]
	v_add_co_u32_e32 v4, vcc, 0xffffff02, v95
	v_addc_co_u32_e32 v5, vcc, -1, v96, vcc
	v_cmp_gt_i64_e32 vcc, s[12:13], v[4:5]
	s_and_saveexec_b64 s[0:1], vcc
	s_cbranch_execz .LBB92_64
; %bb.63:                               ;   in Loop: Header=BB92_55 Depth=1
	v_add_co_u32_e32 v4, vcc, v86, v90
	v_addc_co_u32_e32 v5, vcc, v83, v91, vcc
	global_load_ushort v2, v[4:5], off
	v_add_co_u32_e32 v4, vcc, v88, v90
	v_addc_co_u32_e32 v5, vcc, v85, v91, vcc
	global_load_ushort v4, v[4:5], off
	s_waitcnt vmcnt(1)
	v_cvt_f32_f16_e32 v19, v2
	s_waitcnt vmcnt(0)
	v_cvt_f32_f16_e32 v11, v4
.LBB92_64:                              ;   in Loop: Header=BB92_55 Depth=1
	s_or_b64 exec, exec, s[0:1]
	v_add_co_u32_e32 v4, vcc, 0xffffff03, v95
	v_addc_co_u32_e32 v5, vcc, -1, v96, vcc
	v_cmp_gt_i64_e32 vcc, s[12:13], v[4:5]
	s_and_saveexec_b64 s[0:1], vcc
	s_cbranch_execz .LBB92_66
; %bb.65:                               ;   in Loop: Header=BB92_55 Depth=1
	v_add_co_u32_e32 v4, vcc, v82, v90
	v_addc_co_u32_e32 v5, vcc, v79, v91, vcc
	global_load_ushort v2, v[4:5], off
	v_add_co_u32_e32 v4, vcc, v84, v90
	v_addc_co_u32_e32 v5, vcc, v81, v91, vcc
	global_load_ushort v4, v[4:5], off
	s_waitcnt vmcnt(1)
	v_cvt_f32_f16_e32 v20, v2
	s_waitcnt vmcnt(0)
	v_cvt_f32_f16_e32 v12, v4
.LBB92_66:                              ;   in Loop: Header=BB92_55 Depth=1
	;; [unrolled: 18-line block ×7, first 2 shown]
	s_or_b64 exec, exec, s[0:1]
	s_waitcnt vmcnt(1)
	ds_bpermute_b32 v2, v94, v27
	s_waitcnt vmcnt(0)
	ds_bpermute_b32 v4, v94, v26
	ds_bpermute_b32 v7, v94, v27 offset:4
	ds_bpermute_b32 v6, v94, v26 offset:4
	;; [unrolled: 1-line block ×3, first 2 shown]
	s_waitcnt lgkmcnt(4)
	v_sub_f32_e32 v2, v10, v2
	v_mul_f32_e32 v2, v18, v2
	s_waitcnt lgkmcnt(3)
	v_mul_f32_e32 v5, v2, v4
	ds_bpermute_b32 v4, v94, v26 offset:8
	s_waitcnt lgkmcnt(3)
	v_sub_f32_e32 v2, v11, v7
	v_mul_f32_e32 v2, v19, v2
	s_waitcnt lgkmcnt(2)
	v_mul_f32_e32 v7, v2, v6
	s_waitcnt lgkmcnt(1)
	v_sub_f32_e32 v2, v12, v8
	ds_bpermute_b32 v6, v94, v27 offset:12
	v_mul_f32_e32 v2, v20, v2
	s_waitcnt lgkmcnt(1)
	v_mul_f32_e32 v9, v2, v4
	ds_bpermute_b32 v2, v94, v26 offset:12
	ds_bpermute_b32 v4, v94, v27 offset:16
	;; [unrolled: 1-line block ×3, first 2 shown]
	s_waitcnt lgkmcnt(3)
	v_sub_f32_e32 v6, v13, v6
	v_mul_f32_e32 v6, v21, v6
	s_waitcnt lgkmcnt(2)
	v_mul_f32_e32 v11, v6, v2
	s_waitcnt lgkmcnt(1)
	v_sub_f32_e32 v2, v14, v4
	ds_bpermute_b32 v4, v94, v27 offset:20
	v_mul_f32_e32 v2, v22, v2
	s_waitcnt lgkmcnt(1)
	v_mul_f32_e32 v13, v2, v8
	ds_bpermute_b32 v2, v94, v26 offset:20
	ds_bpermute_b32 v6, v94, v27 offset:24
	;; [unrolled: 1-line block ×3, first 2 shown]
	s_waitcnt lgkmcnt(3)
	v_sub_f32_e32 v4, v15, v4
	v_mul_f32_e32 v4, v23, v4
	s_waitcnt lgkmcnt(2)
	v_mul_f32_e32 v15, v4, v2
	s_waitcnt lgkmcnt(1)
	v_sub_f32_e32 v2, v16, v6
	v_mul_f32_e32 v2, v24, v2
	s_waitcnt lgkmcnt(0)
	v_mul_f32_e32 v99, v2, v8
	v_mov_b32_e32 v4, v18
	ds_bpermute_b32 v2, v94, v27 offset:28
	v_pk_add_f32 v[4:5], v[92:93], v[4:5]
	v_mov_b32_e32 v6, v19
	v_pk_add_f32 v[4:5], v[6:7], v[4:5]
	v_mov_b32_e32 v8, v20
	ds_bpermute_b32 v6, v94, v26 offset:28
	v_pk_add_f32 v[4:5], v[8:9], v[4:5]
	v_mov_b32_e32 v10, v21
	v_pk_add_f32 v[4:5], v[10:11], v[4:5]
	v_mov_b32_e32 v12, v22
	;; [unrolled: 2-line block ×3, first 2 shown]
	s_waitcnt lgkmcnt(1)
	v_sub_f32_e32 v2, v17, v2
	v_pk_add_f32 v[4:5], v[14:15], v[4:5]
	v_mov_b32_e32 v98, v24
	v_mul_f32_e32 v2, v25, v2
	v_pk_add_f32 v[4:5], v[98:99], v[4:5]
	s_waitcnt lgkmcnt(0)
	v_mul_f32_e32 v7, v2, v6
	v_mov_b32_e32 v6, v25
	v_pk_add_f32 v[26:27], v[6:7], v[4:5]
	s_branch .LBB92_54
.LBB92_77:                              ;   in Loop: Header=BB92_55 Depth=1
                                        ; implicit-def: $vgpr27
	s_cbranch_execz .LBB92_54
; %bb.78:                               ;   in Loop: Header=BB92_55 Depth=1
	s_load_dword s0, s[2:3], 0x0
	v_mov_b32_e32 v2, 0
	v_mov_b32_e32 v6, 0
	s_waitcnt lgkmcnt(0)
	s_cmp_lt_u32 s6, s0
	s_cselect_b32 s0, 12, 18
	s_add_u32 s0, s2, s0
	s_addc_u32 s1, s3, 0
	global_load_ushort v4, v3, s[0:1]
	s_waitcnt vmcnt(0)
	v_mad_u32_u24 v4, v87, v4, v89
	v_and_b32_e32 v4, 63, v4
	v_cmp_gt_u32_e32 vcc, 8, v4
	s_and_saveexec_b64 s[0:1], vcc
	s_cbranch_execz .LBB92_53
; %bb.79:                               ;   in Loop: Header=BB92_55 Depth=1
	v_add_co_u32_e32 v2, vcc, v95, v4
	v_addc_co_u32_e32 v5, vcc, 0, v96, vcc
	v_add_co_u32_e32 v4, vcc, 0xffffff01, v2
	v_addc_co_u32_e32 v5, vcc, -1, v5, vcc
	v_cmp_gt_i64_e32 vcc, s[12:13], v[4:5]
	v_mov_b32_e32 v6, 0
	v_mov_b32_e32 v2, 0
	s_and_saveexec_b64 s[18:19], vcc
	s_cbranch_execz .LBB92_52
; %bb.80:                               ;   in Loop: Header=BB92_55 Depth=1
	v_lshlrev_b64 v[4:5], 2, v[4:5]
	v_mov_b32_e32 v2, s31
	v_add_co_u32_e32 v8, vcc, s30, v4
	v_addc_co_u32_e32 v9, vcc, v2, v5, vcc
	v_mov_b32_e32 v2, s29
	v_add_co_u32_e32 v4, vcc, s28, v4
	v_addc_co_u32_e32 v5, vcc, v2, v5, vcc
	global_load_dword v6, v[4:5], off
	global_load_dword v2, v[8:9], off
	s_branch .LBB92_52
.LBB92_81:
	v_and_b32_e32 v2, 0x3ff, v0
	v_bfe_u32 v0, v0, 10, 10
	v_mad_u32_u24 v1, v0, 33, v2
	v_lshl_add_u32 v3, v1, 2, 0
	v_sub_u32_e32 v1, v1, v0
	s_movk_i32 s0, 0x800
	s_mov_b32 s7, 0
	v_cmp_gt_u32_e32 vcc, s0, v1
	ds_write_b32 v3, v27
	ds_write_b32 v3, v26 offset:4224
	s_waitcnt lgkmcnt(0)
	s_barrier
	s_and_saveexec_b64 s[0:1], vcc
	s_cbranch_execz .LBB92_91
; %bb.82:
	v_mbcnt_lo_u32_b32 v3, -1, 0
	v_mbcnt_hi_u32_b32 v3, -1, v3
	v_and_b32_e32 v4, 64, v3
	v_add_u32_e32 v4, 64, v4
	v_cmp_eq_u32_e64 s[2:3], 0, v2
	v_xor_b32_e32 v2, 16, v3
	v_cmp_lt_i32_e32 vcc, v2, v4
	v_cndmask_b32_e32 v2, v3, v2, vcc
	v_lshlrev_b32_e32 v8, 2, v2
	v_xor_b32_e32 v2, 8, v3
	v_cmp_lt_i32_e32 vcc, v2, v4
	v_cndmask_b32_e32 v2, v3, v2, vcc
	v_lshlrev_b32_e32 v9, 2, v2
	v_xor_b32_e32 v2, 4, v3
	v_cmp_lt_i32_e32 vcc, v2, v4
	s_load_dwordx4 s[8:11], s[4:5], 0x30
	v_cndmask_b32_e32 v2, v3, v2, vcc
	v_lshlrev_b32_e32 v10, 2, v2
	v_xor_b32_e32 v2, 2, v3
	v_cmp_lt_i32_e32 vcc, v2, v4
	v_cndmask_b32_e32 v2, v3, v2, vcc
	s_lshl_b64 s[4:5], s[6:7], 5
	v_lshlrev_b32_e32 v11, 2, v2
	v_xor_b32_e32 v2, 1, v3
	s_waitcnt lgkmcnt(0)
	s_cmp_lg_u64 s[8:9], 0
	v_cmp_lt_i32_e32 vcc, v2, v4
	v_lshrrev_b32_e32 v0, 6, v1
	s_cselect_b64 s[16:17], -1, 0
	s_cmp_lg_u64 s[10:11], 0
	v_cndmask_b32_e32 v2, v3, v2, vcc
	s_cselect_b64 s[18:19], -1, 0
	v_lshlrev_b32_e32 v12, 2, v2
	s_lshl_b64 s[6:7], s[6:7], 6
	v_lshlrev_b32_e32 v2, 1, v0
	v_mov_b32_e32 v3, s7
	v_add_co_u32_e32 v4, vcc, s6, v2
	v_addc_co_u32_e32 v5, vcc, 0, v3, vcc
	v_mov_b32_e32 v3, s11
	v_add_co_u32_e32 v2, vcc, s10, v4
	v_and_b32_e32 v6, 63, v1
	v_addc_co_u32_e32 v3, vcc, v3, v5, vcc
	v_cmp_gt_u32_e64 s[0:1], 32, v6
	v_mov_b32_e32 v7, s9
	v_add_co_u32_e32 v4, vcc, s8, v4
	v_mad_u32_u24 v6, v6, 33, v0
	v_mov_b32_e32 v1, 0
	s_mov_b64 s[12:13], 0
	v_addc_co_u32_e32 v5, vcc, v7, v5, vcc
	v_lshl_add_u32 v13, v6, 2, 0
	v_mov_b32_e32 v14, s5
                                        ; implicit-def: $vgpr6
	s_branch .LBB92_84
.LBB92_83:                              ;   in Loop: Header=BB92_84 Depth=1
	s_or_b64 exec, exec, s[6:7]
	v_add_co_u32_e32 v0, vcc, 16, v0
	v_addc_co_u32_e32 v1, vcc, 0, v1, vcc
	v_add_co_u32_e32 v2, vcc, 32, v2
	v_addc_co_u32_e32 v3, vcc, 0, v3, vcc
	v_add_co_u32_e32 v4, vcc, 32, v4
	v_add_u32_e32 v15, -16, v0
	v_addc_co_u32_e32 v5, vcc, 0, v5, vcc
	v_cmp_lt_u32_e32 vcc, 15, v15
	s_or_b64 s[12:13], vcc, s[12:13]
	v_add_u32_e32 v13, 64, v13
	s_andn2_b64 exec, exec, s[12:13]
	s_cbranch_execz .LBB92_91
.LBB92_84:                              ; =>This Inner Loop Header: Depth=1
	s_and_saveexec_b64 s[6:7], s[0:1]
	s_cbranch_execz .LBB92_86
; %bb.85:                               ;   in Loop: Header=BB92_84 Depth=1
	ds_read_b32 v7, v13
	ds_read_b32 v6, v13 offset:4224
.LBB92_86:                              ;   in Loop: Header=BB92_84 Depth=1
	s_or_b64 exec, exec, s[6:7]
	s_waitcnt lgkmcnt(1)
	ds_bpermute_b32 v17, v8, v7
	s_waitcnt lgkmcnt(1)
	ds_bpermute_b32 v16, v8, v6
	v_add_co_u32_e32 v18, vcc, s4, v0
	v_addc_co_u32_e32 v19, vcc, v14, v1, vcc
	s_waitcnt lgkmcnt(0)
	v_pk_add_f32 v[6:7], v[6:7], v[16:17]
	ds_bpermute_b32 v17, v9, v7
	ds_bpermute_b32 v16, v9, v6
	v_cmp_gt_i64_e32 vcc, s[14:15], v[18:19]
	s_and_b64 s[8:9], s[2:3], vcc
	s_waitcnt lgkmcnt(0)
	v_pk_add_f32 v[6:7], v[6:7], v[16:17]
	ds_bpermute_b32 v17, v10, v7
	ds_bpermute_b32 v16, v10, v6
	s_waitcnt lgkmcnt(0)
	v_pk_add_f32 v[6:7], v[6:7], v[16:17]
	ds_bpermute_b32 v17, v11, v7
	ds_bpermute_b32 v16, v11, v6
	;; [unrolled: 4-line block ×3, first 2 shown]
	s_waitcnt lgkmcnt(0)
	v_pk_add_f32 v[6:7], v[6:7], v[16:17]
	s_and_saveexec_b64 s[6:7], s[8:9]
	s_cbranch_execz .LBB92_83
; %bb.87:                               ;   in Loop: Header=BB92_84 Depth=1
	s_andn2_b64 vcc, exec, s[16:17]
	s_cbranch_vccnz .LBB92_89
; %bb.88:                               ;   in Loop: Header=BB92_84 Depth=1
	v_cvt_f16_f32_e32 v15, v7
	global_store_short v[4:5], v15, off
.LBB92_89:                              ;   in Loop: Header=BB92_84 Depth=1
	s_andn2_b64 vcc, exec, s[18:19]
	s_cbranch_vccnz .LBB92_83
; %bb.90:                               ;   in Loop: Header=BB92_84 Depth=1
	v_cvt_f16_f32_e32 v15, v6
	global_store_short v[2:3], v15, off
	s_branch .LBB92_83
.LBB92_91:
	s_endpgm
	.section	.rodata,"a",@progbits
	.p2align	6, 0x0
	.amdhsa_kernel _ZN2at6native12_GLOBAL__N_135GammaBetaBackwardCUDAKernelTemplateIN3c104HalfEfLj32ELj32ELj256ELb0ELb0ELb0EEEvllPKT_S7_PKT0_SA_PS5_SB_
		.amdhsa_group_segment_fixed_size 0
		.amdhsa_private_segment_fixed_size 0
		.amdhsa_kernarg_size 320
		.amdhsa_user_sgpr_count 6
		.amdhsa_user_sgpr_private_segment_buffer 1
		.amdhsa_user_sgpr_dispatch_ptr 0
		.amdhsa_user_sgpr_queue_ptr 0
		.amdhsa_user_sgpr_kernarg_segment_ptr 1
		.amdhsa_user_sgpr_dispatch_id 0
		.amdhsa_user_sgpr_flat_scratch_init 0
		.amdhsa_user_sgpr_kernarg_preload_length 0
		.amdhsa_user_sgpr_kernarg_preload_offset 0
		.amdhsa_user_sgpr_private_segment_size 0
		.amdhsa_uses_dynamic_stack 0
		.amdhsa_system_sgpr_private_segment_wavefront_offset 0
		.amdhsa_system_sgpr_workgroup_id_x 1
		.amdhsa_system_sgpr_workgroup_id_y 1
		.amdhsa_system_sgpr_workgroup_id_z 0
		.amdhsa_system_sgpr_workgroup_info 0
		.amdhsa_system_vgpr_workitem_id 1
		.amdhsa_next_free_vgpr 100
		.amdhsa_next_free_sgpr 44
		.amdhsa_accum_offset 100
		.amdhsa_reserve_vcc 1
		.amdhsa_reserve_flat_scratch 0
		.amdhsa_float_round_mode_32 0
		.amdhsa_float_round_mode_16_64 0
		.amdhsa_float_denorm_mode_32 3
		.amdhsa_float_denorm_mode_16_64 3
		.amdhsa_dx10_clamp 1
		.amdhsa_ieee_mode 1
		.amdhsa_fp16_overflow 0
		.amdhsa_tg_split 0
		.amdhsa_exception_fp_ieee_invalid_op 0
		.amdhsa_exception_fp_denorm_src 0
		.amdhsa_exception_fp_ieee_div_zero 0
		.amdhsa_exception_fp_ieee_overflow 0
		.amdhsa_exception_fp_ieee_underflow 0
		.amdhsa_exception_fp_ieee_inexact 0
		.amdhsa_exception_int_div_zero 0
	.end_amdhsa_kernel
	.section	.text._ZN2at6native12_GLOBAL__N_135GammaBetaBackwardCUDAKernelTemplateIN3c104HalfEfLj32ELj32ELj256ELb0ELb0ELb0EEEvllPKT_S7_PKT0_SA_PS5_SB_,"axG",@progbits,_ZN2at6native12_GLOBAL__N_135GammaBetaBackwardCUDAKernelTemplateIN3c104HalfEfLj32ELj32ELj256ELb0ELb0ELb0EEEvllPKT_S7_PKT0_SA_PS5_SB_,comdat
.Lfunc_end92:
	.size	_ZN2at6native12_GLOBAL__N_135GammaBetaBackwardCUDAKernelTemplateIN3c104HalfEfLj32ELj32ELj256ELb0ELb0ELb0EEEvllPKT_S7_PKT0_SA_PS5_SB_, .Lfunc_end92-_ZN2at6native12_GLOBAL__N_135GammaBetaBackwardCUDAKernelTemplateIN3c104HalfEfLj32ELj32ELj256ELb0ELb0ELb0EEEvllPKT_S7_PKT0_SA_PS5_SB_
                                        ; -- End function
	.section	.AMDGPU.csdata,"",@progbits
; Kernel info:
; codeLenInByte = 7860
; NumSgprs: 48
; NumVgprs: 100
; NumAgprs: 0
; TotalNumVgprs: 100
; ScratchSize: 0
; MemoryBound: 0
; FloatMode: 240
; IeeeMode: 1
; LDSByteSize: 0 bytes/workgroup (compile time only)
; SGPRBlocks: 5
; VGPRBlocks: 12
; NumSGPRsForWavesPerEU: 48
; NumVGPRsForWavesPerEU: 100
; AccumOffset: 100
; Occupancy: 4
; WaveLimiterHint : 0
; COMPUTE_PGM_RSRC2:SCRATCH_EN: 0
; COMPUTE_PGM_RSRC2:USER_SGPR: 6
; COMPUTE_PGM_RSRC2:TRAP_HANDLER: 0
; COMPUTE_PGM_RSRC2:TGID_X_EN: 1
; COMPUTE_PGM_RSRC2:TGID_Y_EN: 1
; COMPUTE_PGM_RSRC2:TGID_Z_EN: 0
; COMPUTE_PGM_RSRC2:TIDIG_COMP_CNT: 1
; COMPUTE_PGM_RSRC3_GFX90A:ACCUM_OFFSET: 24
; COMPUTE_PGM_RSRC3_GFX90A:TG_SPLIT: 0
	.section	.text._ZN2at6native12_GLOBAL__N_118cuComputeGradInputIN3c108BFloat16EfLb0EEEvPKT_S7_llPKT0_SA_S7_PS5_,"axG",@progbits,_ZN2at6native12_GLOBAL__N_118cuComputeGradInputIN3c108BFloat16EfLb0EEEvPKT_S7_llPKT0_SA_S7_PS5_,comdat
	.globl	_ZN2at6native12_GLOBAL__N_118cuComputeGradInputIN3c108BFloat16EfLb0EEEvPKT_S7_llPKT0_SA_S7_PS5_ ; -- Begin function _ZN2at6native12_GLOBAL__N_118cuComputeGradInputIN3c108BFloat16EfLb0EEEvPKT_S7_llPKT0_SA_S7_PS5_
	.p2align	8
	.type	_ZN2at6native12_GLOBAL__N_118cuComputeGradInputIN3c108BFloat16EfLb0EEEvPKT_S7_llPKT0_SA_S7_PS5_,@function
_ZN2at6native12_GLOBAL__N_118cuComputeGradInputIN3c108BFloat16EfLb0EEEvPKT_S7_llPKT0_SA_S7_PS5_: ; @_ZN2at6native12_GLOBAL__N_118cuComputeGradInputIN3c108BFloat16EfLb0EEEvPKT_S7_llPKT0_SA_S7_PS5_
; %bb.0:
	s_load_dwordx4 s[24:27], s[4:5], 0x10
	s_mov_b32 s14, s7
	s_ashr_i32 s15, s7, 31
	s_waitcnt lgkmcnt(0)
	v_pk_mov_b32 v[2:3], s[24:25], s[24:25] op_sel:[0,1]
	v_cmp_ge_i64_e32 vcc, s[14:15], v[2:3]
	s_cbranch_vccnz .LBB93_47
; %bb.1:
	s_load_dword s0, s[4:5], 0x4c
	s_load_dword s33, s[4:5], 0x44
	s_load_dwordx4 s[28:31], s[4:5], 0x0
	s_load_dwordx8 s[16:23], s[4:5], 0x20
	v_and_b32_e32 v12, 0x3ff, v0
	s_waitcnt lgkmcnt(0)
	s_lshr_b32 s44, s0, 16
	s_and_b32 s45, s0, 0xffff
	v_cmp_gt_u16_e64 s[34:35], s0, 1
	s_cmp_lg_u64 s[20:21], 0
	s_cselect_b64 s[6:7], -1, 0
	s_xor_b32 s1, s26, s27
	s_flbit_i32 s0, s27
	s_ashr_i32 s1, s1, 31
	s_add_i32 s0, s0, -1
	s_add_i32 s1, s1, 32
	s_min_u32 s2, s0, s1
	s_lshl_b64 s[0:1], s[26:27], s2
	s_min_u32 s0, s0, 1
	s_or_b32 s0, s1, s0
	v_cvt_f32_i32_e32 v1, s0
	s_sub_i32 s0, 32, s2
	v_bfe_u32 v13, v0, 10, 10
	v_mad_u32_u24 v0, v13, s45, v12
	v_ldexp_f32 v2, v1, s0
	v_div_scale_f32 v1, s[0:1], v2, v2, 1.0
	v_rcp_f32_e32 v4, v1
	v_lshlrev_b32_e32 v3, 3, v0
	s_mul_i32 s46, s44, s45
	v_lshlrev_b32_e32 v6, 3, v12
	v_fma_f32 v5, -v1, v4, 1.0
	v_fmac_f32_e32 v4, v5, v4
	v_div_scale_f32 v5, vcc, 1.0, v2, 1.0
	v_mul_f32_e32 v7, v5, v4
	v_fma_f32 v8, -v1, v7, v5
	v_fmac_f32_e32 v7, v8, v4
	v_fma_f32 v1, -v1, v7, v5
	v_div_fmas_f32 v1, v1, v4, v7
	v_cndmask_b32_e64 v4, 0, 1, s[6:7]
	v_cmp_gt_i64_e64 s[6:7], s[26:27], 0
	v_div_fixup_f32 v14, v1, v2, 1.0
	v_mov_b32_e32 v1, 0
	v_cndmask_b32_e64 v5, 0, 1, s[6:7]
	v_add_u32_e32 v16, 0, v3
	v_mbcnt_lo_u32_b32 v3, -1, 0
	v_cmp_gt_u16_e64 s[36:37], s44, 1
	s_mov_b32 s38, 0
	v_cmp_eq_u32_e64 s[0:1], 0, v13
	v_cmp_ne_u32_e64 s[2:3], 0, v13
	v_cmp_gt_i64_e64 s[4:5], s[26:27], v[0:1]
	v_add_u32_e32 v15, s46, v0
	s_movk_i32 s47, 0x7fff
	v_cmp_ne_u32_e64 s[6:7], 1, v4
	v_cmp_ne_u32_e64 s[8:9], 1, v5
	v_pk_mov_b32 v[4:5], s[26:27], s[26:27] op_sel:[0,1]
	v_mbcnt_hi_u32_b32 v17, -1, v3
	v_add_u32_e32 v18, 0, v6
	v_mov_b32_e32 v19, 0x7fc0
	s_branch .LBB93_4
.LBB93_2:                               ;   in Loop: Header=BB93_4 Depth=1
	s_or_b64 exec, exec, s[10:11]
.LBB93_3:                               ;   in Loop: Header=BB93_4 Depth=1
	s_add_i32 s14, s33, s14
	s_ashr_i32 s15, s14, 31
	v_pk_mov_b32 v[6:7], s[24:25], s[24:25] op_sel:[0,1]
	v_cmp_ge_i64_e32 vcc, s[14:15], v[6:7]
	s_barrier
	s_cbranch_vccnz .LBB93_47
.LBB93_4:                               ; =>This Loop Header: Depth=1
                                        ;     Child Loop BB93_8 Depth 2
                                        ;     Child Loop BB93_19 Depth 2
	;; [unrolled: 1-line block ×6, first 2 shown]
	s_mul_i32 s10, s14, s27
	s_mul_hi_u32 s11, s14, s26
	s_add_i32 s10, s11, s10
	s_mul_i32 s11, s15, s26
	s_add_i32 s11, s10, s11
	s_lshl_b64 s[12:13], s[14:15], 2
	s_add_u32 s40, s16, s12
	s_addc_u32 s41, s17, s13
	s_add_u32 s12, s18, s12
	s_mul_i32 s10, s14, s26
	s_addc_u32 s13, s19, s13
	s_load_dword s15, s[40:41], 0x0
	s_load_dword s52, s[12:13], 0x0
	s_lshl_b64 s[40:41], s[10:11], 1
	s_add_u32 s48, s30, s40
	s_addc_u32 s49, s31, s41
	s_add_u32 s50, s28, s40
	s_addc_u32 s51, s29, s41
	s_and_b64 vcc, exec, s[6:7]
	s_cbranch_vccnz .LBB93_15
; %bb.5:                                ;   in Loop: Header=BB93_4 Depth=1
	s_mov_b32 s39, s38
	s_and_b64 vcc, exec, s[8:9]
	v_pk_mov_b32 v[6:7], s[38:39], s[38:39] op_sel:[0,1]
	s_cbranch_vccnz .LBB93_14
; %bb.6:                                ;   in Loop: Header=BB93_4 Depth=1
	v_mov_b32_e32 v6, 0
	s_mov_b32 s12, 0
	v_mov_b32_e32 v7, v6
	s_branch .LBB93_8
.LBB93_7:                               ;   in Loop: Header=BB93_8 Depth=2
	s_or_b64 exec, exec, s[10:11]
	s_waitcnt vmcnt(0)
	v_lshlrev_b32_e32 v8, 16, v10
	v_lshlrev_b32_e32 v3, 16, v3
	;; [unrolled: 1-line block ×3, first 2 shown]
	s_waitcnt lgkmcnt(0)
	v_subrev_f32_e32 v10, s15, v8
	v_mul_f32_e32 v8, v3, v9
	s_add_i32 s12, s12, s46
	v_mul_f32_e32 v3, v10, v8
	s_ashr_i32 s13, s12, 31
	v_mul_f32_e32 v9, s52, v3
	v_cmp_ge_i64_e32 vcc, s[12:13], v[4:5]
	v_pk_add_f32 v[6:7], v[6:7], v[8:9]
	s_cbranch_vccnz .LBB93_14
.LBB93_8:                               ;   Parent Loop BB93_4 Depth=1
                                        ; =>  This Inner Loop Header: Depth=2
	v_add_u32_e32 v8, s12, v0
	v_ashrrev_i32_e32 v9, 31, v8
	v_cmp_gt_i64_e32 vcc, s[26:27], v[8:9]
	v_lshlrev_b64 v[8:9], 1, v[8:9]
	v_mov_b32_e32 v3, 0
	s_and_saveexec_b64 s[42:43], vcc
	s_cbranch_execnz .LBB93_11
; %bb.9:                                ;   in Loop: Header=BB93_8 Depth=2
	s_or_b64 exec, exec, s[42:43]
	v_mov_b32_e32 v10, 0
	s_and_saveexec_b64 s[42:43], vcc
	s_cbranch_execnz .LBB93_12
.LBB93_10:                              ;   in Loop: Header=BB93_8 Depth=2
	s_or_b64 exec, exec, s[42:43]
	v_mov_b32_e32 v11, 0
	s_and_saveexec_b64 s[10:11], vcc
	s_cbranch_execz .LBB93_7
	s_branch .LBB93_13
.LBB93_11:                              ;   in Loop: Header=BB93_8 Depth=2
	v_mov_b32_e32 v3, s21
	v_add_co_u32_e64 v10, s[10:11], s20, v8
	v_addc_co_u32_e64 v11, s[10:11], v3, v9, s[10:11]
	global_load_ushort v3, v[10:11], off
	s_or_b64 exec, exec, s[42:43]
	v_mov_b32_e32 v10, 0
	s_and_saveexec_b64 s[42:43], vcc
	s_cbranch_execz .LBB93_10
.LBB93_12:                              ;   in Loop: Header=BB93_8 Depth=2
	v_mov_b32_e32 v11, s49
	v_add_co_u32_e64 v10, s[10:11], s48, v8
	v_addc_co_u32_e64 v11, s[10:11], v11, v9, s[10:11]
	global_load_ushort v10, v[10:11], off
	s_or_b64 exec, exec, s[42:43]
	v_mov_b32_e32 v11, 0
	s_and_saveexec_b64 s[10:11], vcc
	s_cbranch_execz .LBB93_7
.LBB93_13:                              ;   in Loop: Header=BB93_8 Depth=2
	v_mov_b32_e32 v11, s51
	v_add_co_u32_e32 v8, vcc, s50, v8
	v_addc_co_u32_e32 v9, vcc, v11, v9, vcc
	global_load_ushort v11, v[8:9], off
	s_branch .LBB93_7
.LBB93_14:                              ;   in Loop: Header=BB93_4 Depth=1
	s_cbranch_execz .LBB93_16
	s_branch .LBB93_23
.LBB93_15:                              ;   in Loop: Header=BB93_4 Depth=1
                                        ; implicit-def: $vgpr6_vgpr7
.LBB93_16:                              ;   in Loop: Header=BB93_4 Depth=1
	s_mov_b32 s39, s38
	s_and_b64 vcc, exec, s[8:9]
	v_pk_mov_b32 v[6:7], s[38:39], s[38:39] op_sel:[0,1]
	s_cbranch_vccnz .LBB93_23
; %bb.17:                               ;   in Loop: Header=BB93_4 Depth=1
	v_mov_b32_e32 v6, 0
	s_mov_b32 s12, 0
	v_mov_b32_e32 v7, v6
	s_branch .LBB93_19
.LBB93_18:                              ;   in Loop: Header=BB93_19 Depth=2
	s_or_b64 exec, exec, s[10:11]
	s_waitcnt vmcnt(0)
	v_lshlrev_b32_e32 v3, 16, v3
	v_lshlrev_b32_e32 v8, 16, v10
	s_waitcnt lgkmcnt(0)
	v_subrev_f32_e32 v3, s15, v3
	v_mul_f32_e32 v3, v3, v8
	v_mul_f32_e32 v9, s52, v3
	s_add_i32 s12, s12, s46
	v_pk_add_f32 v[6:7], v[6:7], v[8:9]
	s_ashr_i32 s13, s12, 31
	v_pk_mov_b32 v[8:9], s[26:27], s[26:27] op_sel:[0,1]
	v_cmp_ge_i64_e32 vcc, s[12:13], v[8:9]
	s_cbranch_vccnz .LBB93_23
.LBB93_19:                              ;   Parent Loop BB93_4 Depth=1
                                        ; =>  This Inner Loop Header: Depth=2
	v_add_u32_e32 v8, s12, v0
	v_ashrrev_i32_e32 v9, 31, v8
	v_cmp_gt_i64_e32 vcc, s[26:27], v[8:9]
	v_lshlrev_b64 v[8:9], 1, v[8:9]
	v_mov_b32_e32 v3, 0
	s_and_saveexec_b64 s[42:43], vcc
	s_cbranch_execz .LBB93_21
; %bb.20:                               ;   in Loop: Header=BB93_19 Depth=2
	v_mov_b32_e32 v3, s49
	v_add_co_u32_e64 v10, s[10:11], s48, v8
	v_addc_co_u32_e64 v11, s[10:11], v3, v9, s[10:11]
	global_load_ushort v3, v[10:11], off
.LBB93_21:                              ;   in Loop: Header=BB93_19 Depth=2
	s_or_b64 exec, exec, s[42:43]
	v_mov_b32_e32 v10, 0
	s_and_saveexec_b64 s[10:11], vcc
	s_cbranch_execz .LBB93_18
; %bb.22:                               ;   in Loop: Header=BB93_19 Depth=2
	v_mov_b32_e32 v10, s51
	v_add_co_u32_e32 v8, vcc, s50, v8
	v_addc_co_u32_e32 v9, vcc, v10, v9, vcc
	global_load_ushort v10, v[8:9], off
	s_branch .LBB93_18
.LBB93_23:                              ;   in Loop: Header=BB93_4 Depth=1
	s_andn2_b64 vcc, exec, s[34:35]
	s_cbranch_vccnz .LBB93_26
; %bb.24:                               ;   in Loop: Header=BB93_4 Depth=1
	v_and_b32_e32 v3, 64, v17
	v_add_u32_e32 v3, 64, v3
	s_mov_b32 s10, s45
.LBB93_25:                              ;   Parent Loop BB93_4 Depth=1
                                        ; =>  This Inner Loop Header: Depth=2
	s_lshr_b32 s11, s10, 1
	v_xor_b32_e32 v8, s11, v17
	v_cmp_lt_i32_e32 vcc, v8, v3
	v_cndmask_b32_e32 v8, v17, v8, vcc
	v_lshlrev_b32_e32 v9, 2, v8
	ds_bpermute_b32 v8, v9, v6
	ds_bpermute_b32 v9, v9, v7
	s_cmp_lt_u32 s10, 4
	s_mov_b32 s10, s11
	s_waitcnt lgkmcnt(0)
	v_pk_add_f32 v[6:7], v[6:7], v[8:9]
	s_cbranch_scc0 .LBB93_25
.LBB93_26:                              ;   in Loop: Header=BB93_4 Depth=1
	s_andn2_b64 vcc, exec, s[36:37]
	s_mov_b32 s39, s44
	s_cbranch_vccnz .LBB93_38
.LBB93_27:                              ;   Parent Loop BB93_4 Depth=1
                                        ; =>  This Inner Loop Header: Depth=2
	s_lshr_b32 s42, s39, 1
	s_and_b32 s12, s39, 0xfffe
	v_cmp_le_u32_e64 s[10:11], s42, v13
	v_cmp_gt_u32_e64 s[12:13], s12, v13
	v_cmp_gt_u32_e32 vcc, s42, v13
	s_and_b64 s[12:13], s[10:11], s[12:13]
	s_and_saveexec_b64 s[10:11], s[12:13]
	s_cbranch_execz .LBB93_29
; %bb.28:                               ;   in Loop: Header=BB93_27 Depth=2
	v_subrev_u32_e32 v3, s42, v13
	v_mad_i32_i24 v3, v3, s45, v12
	v_lshl_add_u32 v3, v3, 3, 0
	ds_write_b64 v3, v[6:7]
.LBB93_29:                              ;   in Loop: Header=BB93_27 Depth=2
	s_or_b64 exec, exec, s[10:11]
	s_waitcnt lgkmcnt(0)
	s_barrier
	s_and_saveexec_b64 s[10:11], vcc
	s_cbranch_execz .LBB93_31
; %bb.30:                               ;   in Loop: Header=BB93_27 Depth=2
	ds_read_b64 v[8:9], v16
	s_waitcnt lgkmcnt(0)
	v_pk_add_f32 v[6:7], v[6:7], v[8:9]
.LBB93_31:                              ;   in Loop: Header=BB93_27 Depth=2
	s_or_b64 exec, exec, s[10:11]
	s_cmp_lt_u32 s39, 4
	s_barrier
	s_cbranch_scc1 .LBB93_33
; %bb.32:                               ;   in Loop: Header=BB93_27 Depth=2
	s_mov_b32 s39, s42
	s_branch .LBB93_27
.LBB93_33:                              ;   in Loop: Header=BB93_4 Depth=1
	s_and_saveexec_b64 s[10:11], s[0:1]
	s_cbranch_execz .LBB93_35
; %bb.34:                               ;   in Loop: Header=BB93_4 Depth=1
	ds_write_b64 v18, v[6:7]
.LBB93_35:                              ;   in Loop: Header=BB93_4 Depth=1
	s_or_b64 exec, exec, s[10:11]
	s_waitcnt lgkmcnt(0)
	s_barrier
	s_and_saveexec_b64 s[10:11], s[2:3]
	s_cbranch_execz .LBB93_37
; %bb.36:                               ;   in Loop: Header=BB93_4 Depth=1
	ds_read_b64 v[6:7], v18
.LBB93_37:                              ;   in Loop: Header=BB93_4 Depth=1
	s_or_b64 exec, exec, s[10:11]
.LBB93_38:                              ;   in Loop: Header=BB93_4 Depth=1
	s_add_u32 s39, s22, s40
	s_addc_u32 s40, s23, s41
	s_and_b64 vcc, exec, s[6:7]
	s_waitcnt lgkmcnt(0)
	v_mul_f32_e32 v20, s52, v14
	s_cbranch_vccnz .LBB93_43
; %bb.39:                               ;   in Loop: Header=BB93_4 Depth=1
	s_and_saveexec_b64 s[10:11], s[4:5]
	s_cbranch_execz .LBB93_42
; %bb.40:                               ;   in Loop: Header=BB93_4 Depth=1
	s_mov_b64 s[12:13], 0
	v_pk_mov_b32 v[8:9], v[0:1], v[0:1] op_sel:[0,1]
.LBB93_41:                              ;   Parent Loop BB93_4 Depth=1
                                        ; =>  This Inner Loop Header: Depth=2
	v_lshlrev_b64 v[10:11], 1, v[8:9]
	v_mov_b32_e32 v3, s49
	v_add_co_u32_e32 v22, vcc, s48, v10
	v_addc_co_u32_e32 v23, vcc, v3, v11, vcc
	v_mov_b32_e32 v9, s51
	v_add_co_u32_e32 v24, vcc, s50, v10
	v_addc_co_u32_e32 v25, vcc, v9, v11, vcc
	;; [unrolled: 3-line block ×3, first 2 shown]
	global_load_ushort v3, v[22:23], off
	global_load_ushort v21, v[24:25], off
	s_nop 0
	global_load_ushort v22, v[26:27], off
	v_mov_b32_e32 v9, s40
	v_add_u32_e32 v8, s46, v8
	v_add_co_u32_e32 v10, vcc, s39, v10
	v_addc_co_u32_e32 v11, vcc, v9, v11, vcc
	v_ashrrev_i32_e32 v9, 31, v8
	v_cmp_le_i64_e32 vcc, s[26:27], v[8:9]
	s_or_b64 s[12:13], vcc, s[12:13]
	s_waitcnt vmcnt(2)
	v_lshlrev_b32_e32 v3, 16, v3
	s_waitcnt vmcnt(1)
	v_lshlrev_b32_e32 v21, 16, v21
	;; [unrolled: 2-line block ×3, first 2 shown]
	v_mul_f32_e32 v21, v2, v21
	v_subrev_f32_e32 v3, s15, v3
	v_fma_f32 v21, v21, v22, -v6
	v_mul_f32_e32 v3, s52, v3
	v_fma_f32 v3, -v7, v3, v21
	v_mul_f32_e32 v3, v20, v3
	v_bfe_u32 v21, v3, 16, 1
	v_add3_u32 v21, v3, v21, s47
	v_lshrrev_b32_e32 v21, 16, v21
	v_cmp_o_f32_e32 vcc, v3, v3
	v_cndmask_b32_e32 v3, v19, v21, vcc
	global_store_short v[10:11], v3, off
	s_andn2_b64 exec, exec, s[12:13]
	s_cbranch_execnz .LBB93_41
.LBB93_42:                              ;   in Loop: Header=BB93_4 Depth=1
	s_or_b64 exec, exec, s[10:11]
	s_cbranch_execnz .LBB93_3
	s_branch .LBB93_44
.LBB93_43:                              ;   in Loop: Header=BB93_4 Depth=1
.LBB93_44:                              ;   in Loop: Header=BB93_4 Depth=1
	s_and_saveexec_b64 s[10:11], s[4:5]
	s_cbranch_execz .LBB93_2
; %bb.45:                               ;   in Loop: Header=BB93_4 Depth=1
	v_mov_b32_e32 v3, s52
	s_mov_b64 s[12:13], 0
	v_mov_b32_e32 v8, v15
	v_pk_mov_b32 v[10:11], v[0:1], v[0:1] op_sel:[0,1]
.LBB93_46:                              ;   Parent Loop BB93_4 Depth=1
                                        ; =>  This Inner Loop Header: Depth=2
	v_lshlrev_b64 v[10:11], 1, v[10:11]
	v_mov_b32_e32 v9, s49
	v_add_co_u32_e32 v22, vcc, s48, v10
	v_addc_co_u32_e32 v23, vcc, v9, v11, vcc
	v_mov_b32_e32 v21, s51
	v_add_co_u32_e32 v24, vcc, s50, v10
	v_addc_co_u32_e32 v25, vcc, v21, v11, vcc
	global_load_ushort v21, v[22:23], off
	s_nop 0
	global_load_ushort v24, v[24:25], off
	v_mov_b32_e32 v23, s40
	v_add_co_u32_e32 v22, vcc, s39, v10
	v_ashrrev_i32_e32 v9, 31, v8
	v_addc_co_u32_e32 v23, vcc, v23, v11, vcc
	v_pk_mov_b32 v[10:11], v[8:9], v[8:9] op_sel:[0,1]
	v_cmp_le_i64_e32 vcc, s[26:27], v[8:9]
	s_or_b64 s[12:13], vcc, s[12:13]
	v_add_u32_e32 v8, s46, v8
	s_waitcnt vmcnt(1)
	v_lshlrev_b32_e32 v9, 16, v21
	s_waitcnt vmcnt(0)
	v_lshlrev_b32_e32 v24, 16, v24
	v_subrev_f32_e32 v25, s15, v9
	v_pk_mul_f32 v[24:25], v[2:3], v[24:25]
	v_sub_f32_e32 v9, v24, v6
	v_fma_f32 v9, -v25, v7, v9
	v_mul_f32_e32 v9, v20, v9
	v_bfe_u32 v21, v9, 16, 1
	v_add3_u32 v21, v9, v21, s47
	v_lshrrev_b32_e32 v21, 16, v21
	v_cmp_o_f32_e32 vcc, v9, v9
	v_cndmask_b32_e32 v9, v19, v21, vcc
	global_store_short v[22:23], v9, off
	s_andn2_b64 exec, exec, s[12:13]
	s_cbranch_execnz .LBB93_46
	s_branch .LBB93_2
.LBB93_47:
	s_endpgm
	.section	.rodata,"a",@progbits
	.p2align	6, 0x0
	.amdhsa_kernel _ZN2at6native12_GLOBAL__N_118cuComputeGradInputIN3c108BFloat16EfLb0EEEvPKT_S7_llPKT0_SA_S7_PS5_
		.amdhsa_group_segment_fixed_size 0
		.amdhsa_private_segment_fixed_size 0
		.amdhsa_kernarg_size 320
		.amdhsa_user_sgpr_count 6
		.amdhsa_user_sgpr_private_segment_buffer 1
		.amdhsa_user_sgpr_dispatch_ptr 0
		.amdhsa_user_sgpr_queue_ptr 0
		.amdhsa_user_sgpr_kernarg_segment_ptr 1
		.amdhsa_user_sgpr_dispatch_id 0
		.amdhsa_user_sgpr_flat_scratch_init 0
		.amdhsa_user_sgpr_kernarg_preload_length 0
		.amdhsa_user_sgpr_kernarg_preload_offset 0
		.amdhsa_user_sgpr_private_segment_size 0
		.amdhsa_uses_dynamic_stack 0
		.amdhsa_system_sgpr_private_segment_wavefront_offset 0
		.amdhsa_system_sgpr_workgroup_id_x 1
		.amdhsa_system_sgpr_workgroup_id_y 1
		.amdhsa_system_sgpr_workgroup_id_z 0
		.amdhsa_system_sgpr_workgroup_info 0
		.amdhsa_system_vgpr_workitem_id 1
		.amdhsa_next_free_vgpr 28
		.amdhsa_next_free_sgpr 53
		.amdhsa_accum_offset 28
		.amdhsa_reserve_vcc 1
		.amdhsa_reserve_flat_scratch 0
		.amdhsa_float_round_mode_32 0
		.amdhsa_float_round_mode_16_64 0
		.amdhsa_float_denorm_mode_32 3
		.amdhsa_float_denorm_mode_16_64 3
		.amdhsa_dx10_clamp 1
		.amdhsa_ieee_mode 1
		.amdhsa_fp16_overflow 0
		.amdhsa_tg_split 0
		.amdhsa_exception_fp_ieee_invalid_op 0
		.amdhsa_exception_fp_denorm_src 0
		.amdhsa_exception_fp_ieee_div_zero 0
		.amdhsa_exception_fp_ieee_overflow 0
		.amdhsa_exception_fp_ieee_underflow 0
		.amdhsa_exception_fp_ieee_inexact 0
		.amdhsa_exception_int_div_zero 0
	.end_amdhsa_kernel
	.section	.text._ZN2at6native12_GLOBAL__N_118cuComputeGradInputIN3c108BFloat16EfLb0EEEvPKT_S7_llPKT0_SA_S7_PS5_,"axG",@progbits,_ZN2at6native12_GLOBAL__N_118cuComputeGradInputIN3c108BFloat16EfLb0EEEvPKT_S7_llPKT0_SA_S7_PS5_,comdat
.Lfunc_end93:
	.size	_ZN2at6native12_GLOBAL__N_118cuComputeGradInputIN3c108BFloat16EfLb0EEEvPKT_S7_llPKT0_SA_S7_PS5_, .Lfunc_end93-_ZN2at6native12_GLOBAL__N_118cuComputeGradInputIN3c108BFloat16EfLb0EEEvPKT_S7_llPKT0_SA_S7_PS5_
                                        ; -- End function
	.section	.AMDGPU.csdata,"",@progbits
; Kernel info:
; codeLenInByte = 1744
; NumSgprs: 57
; NumVgprs: 28
; NumAgprs: 0
; TotalNumVgprs: 28
; ScratchSize: 0
; MemoryBound: 0
; FloatMode: 240
; IeeeMode: 1
; LDSByteSize: 0 bytes/workgroup (compile time only)
; SGPRBlocks: 7
; VGPRBlocks: 3
; NumSGPRsForWavesPerEU: 57
; NumVGPRsForWavesPerEU: 28
; AccumOffset: 28
; Occupancy: 8
; WaveLimiterHint : 0
; COMPUTE_PGM_RSRC2:SCRATCH_EN: 0
; COMPUTE_PGM_RSRC2:USER_SGPR: 6
; COMPUTE_PGM_RSRC2:TRAP_HANDLER: 0
; COMPUTE_PGM_RSRC2:TGID_X_EN: 1
; COMPUTE_PGM_RSRC2:TGID_Y_EN: 1
; COMPUTE_PGM_RSRC2:TGID_Z_EN: 0
; COMPUTE_PGM_RSRC2:TIDIG_COMP_CNT: 1
; COMPUTE_PGM_RSRC3_GFX90A:ACCUM_OFFSET: 6
; COMPUTE_PGM_RSRC3_GFX90A:TG_SPLIT: 0
	.section	.text._ZN2at6native12_GLOBAL__N_128layer_norm_grad_input_kernelIN3c108BFloat16EfLb0EEEvPKT_S7_PKT0_SA_S7_PS5_i,"axG",@progbits,_ZN2at6native12_GLOBAL__N_128layer_norm_grad_input_kernelIN3c108BFloat16EfLb0EEEvPKT_S7_PKT0_SA_S7_PS5_i,comdat
	.globl	_ZN2at6native12_GLOBAL__N_128layer_norm_grad_input_kernelIN3c108BFloat16EfLb0EEEvPKT_S7_PKT0_SA_S7_PS5_i ; -- Begin function _ZN2at6native12_GLOBAL__N_128layer_norm_grad_input_kernelIN3c108BFloat16EfLb0EEEvPKT_S7_PKT0_SA_S7_PS5_i
	.p2align	8
	.type	_ZN2at6native12_GLOBAL__N_128layer_norm_grad_input_kernelIN3c108BFloat16EfLb0EEEvPKT_S7_PKT0_SA_S7_PS5_i,@function
_ZN2at6native12_GLOBAL__N_128layer_norm_grad_input_kernelIN3c108BFloat16EfLb0EEEvPKT_S7_PKT0_SA_S7_PS5_i: ; @_ZN2at6native12_GLOBAL__N_128layer_norm_grad_input_kernelIN3c108BFloat16EfLb0EEEvPKT_S7_PKT0_SA_S7_PS5_i
; %bb.0:
	s_load_dword s18, s[4:5], 0x30
	s_load_dwordx2 s[16:17], s[4:5], 0x20
	s_load_dwordx8 s[8:15], s[4:5], 0x0
	s_mov_b32 s7, 0
	s_lshl_b64 s[2:3], s[6:7], 2
	s_waitcnt lgkmcnt(0)
	s_ashr_i32 s0, s18, 31
	s_mul_hi_u32 s1, s18, s6
	s_mul_i32 s0, s0, s6
	s_add_i32 s1, s1, s0
	s_add_u32 s12, s12, s2
	s_addc_u32 s13, s13, s3
	s_add_u32 s2, s14, s2
	s_mul_i32 s0, s18, s6
	s_addc_u32 s3, s15, s3
	s_load_dword s19, s[12:13], 0x0
	s_load_dword s20, s[2:3], 0x0
	s_lshl_b64 s[12:13], s[0:1], 1
	s_add_u32 s21, s10, s12
	v_lshlrev_b32_e32 v4, 2, v0
	s_addc_u32 s23, s11, s13
	s_add_u32 s22, s8, s12
	v_or_b32_e32 v1, 3, v4
	s_mov_b32 s6, s7
	s_addc_u32 s24, s9, s13
	v_cmp_gt_u32_e32 vcc, s18, v1
	v_pk_mov_b32 v[2:3], s[6:7], s[6:7] op_sel:[0,1]
	s_and_saveexec_b64 s[2:3], vcc
	s_cbranch_execz .LBB94_12
; %bb.1:
	s_load_dword s0, s[4:5], 0x44
	s_cmp_lg_u64 s[16:17], 0
	s_cselect_b64 s[14:15], -1, 0
	v_mov_b32_e32 v2, 0
	v_cndmask_b32_e64 v3, 0, 1, s[14:15]
	s_waitcnt lgkmcnt(0)
	s_and_b32 s0, s0, 0xffff
	s_lshl_b32 s25, s0, 2
	s_add_u32 s26, s16, 2
	s_addc_u32 s27, s17, 0
	s_add_u32 s28, s16, 4
	s_addc_u32 s29, s17, 0
	s_add_u32 s30, s16, 6
	s_mov_b64 s[6:7], 0
	s_addc_u32 s31, s17, 0
	v_mov_b32_e32 v5, 0
	v_mov_b32_e32 v1, s23
	;; [unrolled: 1-line block ×3, first 2 shown]
	v_cmp_ne_u32_e64 s[0:1], 1, v3
	v_mov_b32_e32 v3, v2
	s_branch .LBB94_3
.LBB94_2:                               ;   in Loop: Header=BB94_3 Depth=1
	global_load_ushort v23, v[6:7], off offset:6
	global_load_ushort v24, v[8:9], off offset:6
	s_waitcnt vmcnt(7)
	v_lshlrev_b32_e32 v6, 16, v16
	s_waitcnt vmcnt(6)
	v_lshlrev_b32_e32 v7, 16, v17
	v_subrev_f32_e32 v6, s19, v6
	v_mul_f32_e32 v7, v14, v7
	s_waitcnt vmcnt(5)
	v_lshlrev_b32_e32 v8, 16, v19
	s_waitcnt vmcnt(4)
	v_lshlrev_b32_e32 v9, 16, v20
	v_mul_f32_e32 v6, v6, v7
	s_waitcnt vmcnt(3)
	v_lshlrev_b32_e32 v10, 16, v21
	s_waitcnt vmcnt(2)
	v_lshlrev_b32_e32 v11, 16, v22
	v_subrev_f32_e32 v8, s19, v8
	v_mul_f32_e32 v9, v13, v9
	v_mul_f32_e32 v6, s20, v6
	v_subrev_f32_e32 v10, s19, v10
	v_mul_f32_e32 v11, v18, v11
	v_mul_f32_e32 v8, v8, v9
	v_pk_add_f32 v[2:3], v[2:3], v[6:7]
	v_add_u32_e32 v4, s25, v4
	v_mul_f32_e32 v10, v10, v11
	v_mul_f32_e32 v8, s20, v8
	v_add_u32_e32 v13, 3, v4
	v_mul_f32_e32 v10, s20, v10
	v_pk_add_f32 v[2:3], v[2:3], v[8:9]
	v_cmp_le_u32_e32 vcc, s18, v13
	v_pk_add_f32 v[2:3], v[2:3], v[10:11]
	s_or_b64 s[6:7], vcc, s[6:7]
	s_waitcnt vmcnt(1)
	v_lshlrev_b32_e32 v6, 16, v23
	s_waitcnt vmcnt(0)
	v_lshlrev_b32_e32 v7, 16, v24
	v_subrev_f32_e32 v6, s19, v6
	v_mul_f32_e32 v7, v15, v7
	v_mul_f32_e32 v6, v6, v7
	;; [unrolled: 1-line block ×3, first 2 shown]
	v_pk_add_f32 v[2:3], v[2:3], v[6:7]
	s_andn2_b64 exec, exec, s[6:7]
	s_cbranch_execz .LBB94_11
.LBB94_3:                               ; =>This Inner Loop Header: Depth=1
	s_and_b64 vcc, exec, s[14:15]
	v_mov_b32_e32 v13, 1.0
	v_lshlrev_b64 v[10:11], 1, v[4:5]
	v_mov_b32_e32 v14, 1.0
	s_cbranch_vccz .LBB94_5
; %bb.4:                                ;   in Loop: Header=BB94_3 Depth=1
	v_mov_b32_e32 v7, s17
	v_add_co_u32_e32 v6, vcc, s16, v10
	v_addc_co_u32_e32 v7, vcc, v7, v11, vcc
	global_load_ushort v6, v[6:7], off
	s_waitcnt vmcnt(0)
	v_lshlrev_b32_e32 v14, 16, v6
.LBB94_5:                               ;   in Loop: Header=BB94_3 Depth=1
	v_add_co_u32_e32 v6, vcc, s21, v10
	v_addc_co_u32_e32 v7, vcc, v1, v11, vcc
	v_add_co_u32_e32 v8, vcc, s22, v10
	v_addc_co_u32_e32 v9, vcc, v12, v11, vcc
	global_load_ushort v16, v[6:7], off
	global_load_ushort v17, v[8:9], off
	s_and_b64 vcc, exec, s[0:1]
	s_cbranch_vccnz .LBB94_7
; %bb.6:                                ;   in Loop: Header=BB94_3 Depth=1
	v_mov_b32_e32 v13, s27
	v_add_co_u32_e32 v18, vcc, s26, v10
	v_addc_co_u32_e32 v19, vcc, v13, v11, vcc
	global_load_ushort v13, v[18:19], off
	s_waitcnt vmcnt(0)
	v_lshlrev_b32_e32 v13, 16, v13
.LBB94_7:                               ;   in Loop: Header=BB94_3 Depth=1
	global_load_ushort v19, v[6:7], off offset:2
	global_load_ushort v20, v[8:9], off offset:2
	s_and_b64 vcc, exec, s[0:1]
	v_mov_b32_e32 v15, 1.0
	v_mov_b32_e32 v18, 1.0
	s_cbranch_vccnz .LBB94_9
; %bb.8:                                ;   in Loop: Header=BB94_3 Depth=1
	v_mov_b32_e32 v18, s29
	v_add_co_u32_e32 v22, vcc, s28, v10
	v_addc_co_u32_e32 v23, vcc, v18, v11, vcc
	global_load_ushort v18, v[22:23], off
	s_waitcnt vmcnt(0)
	v_lshlrev_b32_e32 v18, 16, v18
.LBB94_9:                               ;   in Loop: Header=BB94_3 Depth=1
	global_load_ushort v21, v[6:7], off offset:4
	global_load_ushort v22, v[8:9], off offset:4
	s_and_b64 vcc, exec, s[0:1]
	s_cbranch_vccnz .LBB94_2
; %bb.10:                               ;   in Loop: Header=BB94_3 Depth=1
	v_mov_b32_e32 v15, s31
	v_add_co_u32_e32 v10, vcc, s30, v10
	v_addc_co_u32_e32 v11, vcc, v15, v11, vcc
	global_load_ushort v10, v[10:11], off
	s_waitcnt vmcnt(0)
	v_lshlrev_b32_e32 v15, 16, v10
	s_branch .LBB94_2
.LBB94_11:
	s_or_b64 exec, exec, s[6:7]
.LBB94_12:
	s_or_b64 exec, exec, s[2:3]
	v_cmp_gt_u32_e32 vcc, s18, v4
	s_and_saveexec_b64 s[2:3], vcc
	s_cbranch_execz .LBB94_19
; %bb.13:
	v_mov_b32_e32 v5, 0
	v_lshlrev_b64 v[8:9], 1, v[4:5]
	v_mov_b32_e32 v1, s17
	v_add_co_u32_e32 v6, vcc, s16, v8
	v_addc_co_u32_e32 v7, vcc, v1, v9, vcc
	v_mov_b32_e32 v1, s13
	v_add_co_u32_e32 v5, vcc, s12, v8
	v_addc_co_u32_e32 v1, vcc, v1, v9, vcc
	v_mov_b32_e32 v9, s11
	v_add_co_u32_e32 v8, vcc, s10, v5
	s_cmp_lg_u64 s[16:17], 0
	v_addc_co_u32_e32 v9, vcc, v9, v1, vcc
	v_mov_b32_e32 v11, s9
	v_add_co_u32_e32 v10, vcc, s8, v5
	s_cselect_b64 s[0:1], -1, 0
	v_addc_co_u32_e32 v11, vcc, v11, v1, vcc
	v_cndmask_b32_e64 v1, 0, 1, s[0:1]
	s_mov_b64 s[6:7], 0
	v_cmp_ne_u32_e64 s[0:1], 1, v1
	s_branch .LBB94_16
.LBB94_14:                              ;   in Loop: Header=BB94_16 Depth=1
	global_load_ushort v1, v[6:7], off
	s_waitcnt vmcnt(0)
	v_lshlrev_b32_e32 v1, 16, v1
.LBB94_15:                              ;   in Loop: Header=BB94_16 Depth=1
	global_load_ushort v5, v[8:9], off
	global_load_ushort v12, v[10:11], off
	v_add_co_u32_e32 v6, vcc, 2, v6
	v_addc_co_u32_e32 v7, vcc, 0, v7, vcc
	v_add_co_u32_e32 v8, vcc, 2, v8
	v_add_u32_e32 v4, 1, v4
	v_addc_co_u32_e32 v9, vcc, 0, v9, vcc
	v_cmp_le_u32_e32 vcc, s18, v4
	s_or_b64 s[6:7], vcc, s[6:7]
	v_add_co_u32_e32 v10, vcc, 2, v10
	v_addc_co_u32_e32 v11, vcc, 0, v11, vcc
	s_waitcnt vmcnt(1)
	v_lshlrev_b32_e32 v5, 16, v5
	s_waitcnt vmcnt(0)
	v_lshlrev_b32_e32 v12, 16, v12
	s_waitcnt lgkmcnt(0)
	v_subrev_f32_e32 v5, s19, v5
	v_mul_f32_e32 v13, v1, v12
	v_mul_f32_e32 v1, v5, v13
	;; [unrolled: 1-line block ×3, first 2 shown]
	v_pk_add_f32 v[2:3], v[2:3], v[12:13]
	s_andn2_b64 exec, exec, s[6:7]
	s_cbranch_execz .LBB94_18
.LBB94_16:                              ; =>This Inner Loop Header: Depth=1
	s_and_b64 vcc, exec, s[0:1]
	s_cbranch_vccz .LBB94_14
; %bb.17:                               ;   in Loop: Header=BB94_16 Depth=1
	v_mov_b32_e32 v1, 1.0
	s_branch .LBB94_15
.LBB94_18:
	s_or_b64 exec, exec, s[6:7]
.LBB94_19:
	s_or_b64 exec, exec, s[2:3]
	v_mbcnt_lo_u32_b32 v1, -1, 0
	v_mbcnt_hi_u32_b32 v5, -1, v1
	v_and_b32_e32 v9, 63, v5
	v_cmp_gt_u32_e32 vcc, 32, v9
	v_cndmask_b32_e64 v1, 0, 1, vcc
	v_lshlrev_b32_e32 v1, 5, v1
	v_add_lshl_u32 v1, v1, v5, 2
	ds_bpermute_b32 v4, v1, v3
	v_cmp_gt_u32_e32 vcc, 48, v9
	v_cndmask_b32_e64 v6, 0, 1, vcc
	v_lshlrev_b32_e32 v6, 4, v6
	v_cmp_gt_u32_e32 vcc, 56, v9
	s_waitcnt lgkmcnt(0)
	v_add_f32_e32 v4, v3, v4
	v_add_lshl_u32 v3, v6, v5, 2
	ds_bpermute_b32 v6, v3, v4
	v_cndmask_b32_e64 v7, 0, 1, vcc
	v_lshlrev_b32_e32 v7, 3, v7
	v_cmp_gt_u32_e32 vcc, 60, v9
	v_cndmask_b32_e64 v8, 0, 1, vcc
	s_waitcnt lgkmcnt(0)
	v_add_f32_e32 v4, v4, v6
	v_add_lshl_u32 v6, v7, v5, 2
	ds_bpermute_b32 v7, v6, v4
	v_lshlrev_b32_e32 v8, 2, v8
	v_cmp_gt_u32_e32 vcc, 62, v9
	v_cndmask_b32_e64 v10, 0, 1, vcc
	v_lshlrev_b32_e32 v10, 1, v10
	s_waitcnt lgkmcnt(0)
	v_add_f32_e32 v4, v4, v7
	v_add_lshl_u32 v7, v8, v5, 2
	ds_bpermute_b32 v8, v7, v4
	v_cmp_ne_u32_e32 vcc, 63, v9
	s_waitcnt lgkmcnt(0)
	s_barrier
	v_add_f32_e32 v4, v4, v8
	v_add_lshl_u32 v8, v10, v5, 2
	ds_bpermute_b32 v11, v8, v4
	v_addc_co_u32_e32 v5, vcc, 0, v5, vcc
	v_lshlrev_b32_e32 v9, 2, v5
	v_and_b32_e32 v10, 63, v0
	s_waitcnt lgkmcnt(0)
	v_add_f32_e32 v4, v4, v11
	ds_bpermute_b32 v11, v9, v4
	v_cmp_eq_u32_e32 vcc, 0, v10
	v_lshrrev_b32_e32 v5, 4, v0
	s_and_saveexec_b64 s[0:1], vcc
	s_cbranch_execz .LBB94_21
; %bb.20:
	v_add_u32_e32 v12, 0, v5
	s_waitcnt lgkmcnt(0)
	v_add_f32_e32 v4, v4, v11
	ds_write_b32 v12, v4
.LBB94_21:
	s_or_b64 exec, exec, s[0:1]
	s_waitcnt lgkmcnt(0)
	s_barrier
	s_load_dword s8, s[4:5], 0x44
	v_mov_b32_e32 v4, 0
	v_lshl_add_u32 v10, v10, 2, 0
	s_waitcnt lgkmcnt(0)
	s_bfe_u32 s0, s8, 0xa0006
	v_cmp_gt_u32_e64 s[0:1], s0, v0
	s_and_saveexec_b64 s[2:3], s[0:1]
	s_cbranch_execz .LBB94_23
; %bb.22:
	ds_read_b32 v4, v10
.LBB94_23:
	s_or_b64 exec, exec, s[2:3]
	v_cmp_gt_u32_e64 s[2:3], 64, v0
	s_and_saveexec_b64 s[6:7], s[2:3]
	s_cbranch_execz .LBB94_25
; %bb.24:
	s_waitcnt lgkmcnt(0)
	ds_bpermute_b32 v11, v1, v4
	s_waitcnt lgkmcnt(0)
	v_add_f32_e32 v4, v4, v11
	ds_bpermute_b32 v11, v3, v4
	s_waitcnt lgkmcnt(0)
	v_add_f32_e32 v4, v4, v11
	;; [unrolled: 3-line block ×6, first 2 shown]
.LBB94_25:
	s_or_b64 exec, exec, s[6:7]
	ds_bpermute_b32 v11, v1, v2
	s_waitcnt lgkmcnt(0)
	s_barrier
	v_add_f32_e32 v2, v2, v11
	ds_bpermute_b32 v11, v3, v2
	s_waitcnt lgkmcnt(0)
	v_add_f32_e32 v2, v2, v11
	ds_bpermute_b32 v11, v6, v2
	s_waitcnt lgkmcnt(0)
	;; [unrolled: 3-line block ×4, first 2 shown]
	v_add_f32_e32 v2, v2, v11
	ds_bpermute_b32 v11, v9, v2
	s_and_saveexec_b64 s[6:7], vcc
	s_cbranch_execz .LBB94_27
; %bb.26:
	v_add_u32_e32 v5, 0, v5
	s_waitcnt lgkmcnt(0)
	v_add_f32_e32 v2, v2, v11
	ds_write_b32 v5, v2
.LBB94_27:
	s_or_b64 exec, exec, s[6:7]
	v_mov_b32_e32 v5, 0
	s_waitcnt lgkmcnt(0)
	s_barrier
	s_and_saveexec_b64 s[6:7], s[0:1]
	s_cbranch_execnz .LBB94_38
; %bb.28:
	s_or_b64 exec, exec, s[6:7]
	s_and_saveexec_b64 s[0:1], s[2:3]
	s_cbranch_execnz .LBB94_39
.LBB94_29:
	s_or_b64 exec, exec, s[0:1]
	v_cmp_eq_u32_e32 vcc, 0, v0
	s_and_saveexec_b64 s[0:1], vcc
	s_cbranch_execz .LBB94_31
.LBB94_30:
	v_mov_b32_e32 v1, 0
	s_waitcnt lgkmcnt(0)
	ds_write_b64 v1, v[4:5]
.LBB94_31:
	s_or_b64 exec, exec, s[0:1]
	v_cmp_gt_i32_e32 vcc, s18, v0
	s_waitcnt lgkmcnt(0)
	s_barrier
	s_and_saveexec_b64 s[0:1], vcc
	s_cbranch_execz .LBB94_37
; %bb.32:
	v_cvt_f32_i32_e32 v6, s18
	v_mov_b32_e32 v1, 0
	ds_read_b64 v[2:3], v1
	s_and_b32 s6, s8, 0xffff
	v_div_scale_f32 v4, s[0:1], v6, v6, 1.0
	v_rcp_f32_e32 v5, v4
	s_load_dwordx2 s[0:1], s[4:5], 0x28
	v_div_scale_f32 v1, vcc, 1.0, v6, 1.0
	v_fma_f32 v7, -v4, v5, 1.0
	v_fmac_f32_e32 v5, v7, v5
	v_mul_f32_e32 v7, v1, v5
	v_fma_f32 v8, -v4, v7, v1
	v_fmac_f32_e32 v7, v8, v5
	s_waitcnt lgkmcnt(0)
	s_add_u32 s4, s0, s12
	v_fma_f32 v1, -v4, v7, v1
	s_addc_u32 s7, s1, s13
	v_div_fmas_f32 v1, v1, v5, v7
	s_cmp_lg_u64 s[16:17], 0
	v_div_fixup_f32 v1, v1, v6, 1.0
	s_cselect_b64 s[0:1], -1, 0
	v_mul_f32_e32 v7, s20, v1
	v_cndmask_b32_e64 v1, 0, 1, s[0:1]
	s_mov_b64 s[2:3], 0
	v_mov_b32_e32 v8, s23
	v_mov_b32_e32 v9, s24
	v_cmp_ne_u32_e64 s[0:1], 1, v1
	s_movk_i32 s5, 0x7fff
	v_mov_b32_e32 v10, 0x7fc0
	v_mov_b32_e32 v11, s7
	s_branch .LBB94_35
.LBB94_33:                              ;   in Loop: Header=BB94_35 Depth=1
	v_mov_b32_e32 v13, s17
	v_add_co_u32_e32 v14, vcc, s16, v4
	v_addc_co_u32_e32 v15, vcc, v13, v5, vcc
	global_load_ushort v13, v[14:15], off
	s_waitcnt vmcnt(0)
	v_lshlrev_b32_e32 v13, 16, v13
.LBB94_34:                              ;   in Loop: Header=BB94_35 Depth=1
	s_waitcnt vmcnt(1)
	v_lshlrev_b32_e32 v1, 16, v1
	v_subrev_f32_e32 v1, s19, v1
	v_mul_f32_e32 v1, s20, v1
	v_mul_f32_e32 v13, v13, v6
	s_waitcnt vmcnt(0)
	v_lshlrev_b32_e32 v12, 16, v12
	v_mul_f32_e32 v1, v3, v1
	v_fma_f32 v1, v13, v12, -v1
	v_sub_f32_e32 v1, v1, v2
	v_mul_f32_e32 v1, v7, v1
	v_bfe_u32 v12, v1, 16, 1
	v_add3_u32 v12, v1, v12, s5
	v_lshrrev_b32_e32 v12, 16, v12
	v_cmp_o_f32_e32 vcc, v1, v1
	v_cndmask_b32_e32 v1, v10, v12, vcc
	v_add_co_u32_e32 v4, vcc, s4, v4
	v_addc_co_u32_e32 v5, vcc, v11, v5, vcc
	v_add_u32_e32 v0, s6, v0
	v_cmp_le_i32_e32 vcc, s18, v0
	s_or_b64 s[2:3], vcc, s[2:3]
	global_store_short v[4:5], v1, off
	s_andn2_b64 exec, exec, s[2:3]
	s_cbranch_execz .LBB94_37
.LBB94_35:                              ; =>This Inner Loop Header: Depth=1
	v_ashrrev_i32_e32 v1, 31, v0
	v_lshlrev_b64 v[4:5], 1, v[0:1]
	v_add_co_u32_e32 v12, vcc, s21, v4
	v_addc_co_u32_e32 v13, vcc, v8, v5, vcc
	global_load_ushort v1, v[12:13], off
	v_add_co_u32_e32 v12, vcc, s22, v4
	v_addc_co_u32_e32 v13, vcc, v9, v5, vcc
	global_load_ushort v12, v[12:13], off
	s_and_b64 vcc, exec, s[0:1]
	s_cbranch_vccz .LBB94_33
; %bb.36:                               ;   in Loop: Header=BB94_35 Depth=1
	v_mov_b32_e32 v13, 1.0
	s_branch .LBB94_34
.LBB94_37:
	s_endpgm
.LBB94_38:
	ds_read_b32 v5, v10
	s_or_b64 exec, exec, s[6:7]
	s_and_saveexec_b64 s[0:1], s[2:3]
	s_cbranch_execz .LBB94_29
.LBB94_39:
	s_waitcnt lgkmcnt(0)
	ds_bpermute_b32 v1, v1, v5
	s_waitcnt lgkmcnt(0)
	v_add_f32_e32 v1, v5, v1
	ds_bpermute_b32 v2, v3, v1
	s_waitcnt lgkmcnt(0)
	v_add_f32_e32 v1, v1, v2
	;; [unrolled: 3-line block ×6, first 2 shown]
	s_or_b64 exec, exec, s[0:1]
	v_cmp_eq_u32_e32 vcc, 0, v0
	s_and_saveexec_b64 s[0:1], vcc
	s_cbranch_execnz .LBB94_30
	s_branch .LBB94_31
	.section	.rodata,"a",@progbits
	.p2align	6, 0x0
	.amdhsa_kernel _ZN2at6native12_GLOBAL__N_128layer_norm_grad_input_kernelIN3c108BFloat16EfLb0EEEvPKT_S7_PKT0_SA_S7_PS5_i
		.amdhsa_group_segment_fixed_size 0
		.amdhsa_private_segment_fixed_size 0
		.amdhsa_kernarg_size 312
		.amdhsa_user_sgpr_count 6
		.amdhsa_user_sgpr_private_segment_buffer 1
		.amdhsa_user_sgpr_dispatch_ptr 0
		.amdhsa_user_sgpr_queue_ptr 0
		.amdhsa_user_sgpr_kernarg_segment_ptr 1
		.amdhsa_user_sgpr_dispatch_id 0
		.amdhsa_user_sgpr_flat_scratch_init 0
		.amdhsa_user_sgpr_kernarg_preload_length 0
		.amdhsa_user_sgpr_kernarg_preload_offset 0
		.amdhsa_user_sgpr_private_segment_size 0
		.amdhsa_uses_dynamic_stack 0
		.amdhsa_system_sgpr_private_segment_wavefront_offset 0
		.amdhsa_system_sgpr_workgroup_id_x 1
		.amdhsa_system_sgpr_workgroup_id_y 0
		.amdhsa_system_sgpr_workgroup_id_z 0
		.amdhsa_system_sgpr_workgroup_info 0
		.amdhsa_system_vgpr_workitem_id 0
		.amdhsa_next_free_vgpr 25
		.amdhsa_next_free_sgpr 32
		.amdhsa_accum_offset 28
		.amdhsa_reserve_vcc 1
		.amdhsa_reserve_flat_scratch 0
		.amdhsa_float_round_mode_32 0
		.amdhsa_float_round_mode_16_64 0
		.amdhsa_float_denorm_mode_32 3
		.amdhsa_float_denorm_mode_16_64 3
		.amdhsa_dx10_clamp 1
		.amdhsa_ieee_mode 1
		.amdhsa_fp16_overflow 0
		.amdhsa_tg_split 0
		.amdhsa_exception_fp_ieee_invalid_op 0
		.amdhsa_exception_fp_denorm_src 0
		.amdhsa_exception_fp_ieee_div_zero 0
		.amdhsa_exception_fp_ieee_overflow 0
		.amdhsa_exception_fp_ieee_underflow 0
		.amdhsa_exception_fp_ieee_inexact 0
		.amdhsa_exception_int_div_zero 0
	.end_amdhsa_kernel
	.section	.text._ZN2at6native12_GLOBAL__N_128layer_norm_grad_input_kernelIN3c108BFloat16EfLb0EEEvPKT_S7_PKT0_SA_S7_PS5_i,"axG",@progbits,_ZN2at6native12_GLOBAL__N_128layer_norm_grad_input_kernelIN3c108BFloat16EfLb0EEEvPKT_S7_PKT0_SA_S7_PS5_i,comdat
.Lfunc_end94:
	.size	_ZN2at6native12_GLOBAL__N_128layer_norm_grad_input_kernelIN3c108BFloat16EfLb0EEEvPKT_S7_PKT0_SA_S7_PS5_i, .Lfunc_end94-_ZN2at6native12_GLOBAL__N_128layer_norm_grad_input_kernelIN3c108BFloat16EfLb0EEEvPKT_S7_PKT0_SA_S7_PS5_i
                                        ; -- End function
	.section	.AMDGPU.csdata,"",@progbits
; Kernel info:
; codeLenInByte = 2140
; NumSgprs: 36
; NumVgprs: 25
; NumAgprs: 0
; TotalNumVgprs: 25
; ScratchSize: 0
; MemoryBound: 0
; FloatMode: 240
; IeeeMode: 1
; LDSByteSize: 0 bytes/workgroup (compile time only)
; SGPRBlocks: 4
; VGPRBlocks: 3
; NumSGPRsForWavesPerEU: 36
; NumVGPRsForWavesPerEU: 25
; AccumOffset: 28
; Occupancy: 8
; WaveLimiterHint : 0
; COMPUTE_PGM_RSRC2:SCRATCH_EN: 0
; COMPUTE_PGM_RSRC2:USER_SGPR: 6
; COMPUTE_PGM_RSRC2:TRAP_HANDLER: 0
; COMPUTE_PGM_RSRC2:TGID_X_EN: 1
; COMPUTE_PGM_RSRC2:TGID_Y_EN: 0
; COMPUTE_PGM_RSRC2:TGID_Z_EN: 0
; COMPUTE_PGM_RSRC2:TIDIG_COMP_CNT: 0
; COMPUTE_PGM_RSRC3_GFX90A:ACCUM_OFFSET: 6
; COMPUTE_PGM_RSRC3_GFX90A:TG_SPLIT: 0
	.section	.text._ZN2at6native12_GLOBAL__N_133GammaBetaBackwardSimpleCUDAKernelIN3c108BFloat16EfLb0EEEvllPKT_S7_PKT0_SA_PS5_SB_,"axG",@progbits,_ZN2at6native12_GLOBAL__N_133GammaBetaBackwardSimpleCUDAKernelIN3c108BFloat16EfLb0EEEvllPKT_S7_PKT0_SA_PS5_SB_,comdat
	.globl	_ZN2at6native12_GLOBAL__N_133GammaBetaBackwardSimpleCUDAKernelIN3c108BFloat16EfLb0EEEvllPKT_S7_PKT0_SA_PS5_SB_ ; -- Begin function _ZN2at6native12_GLOBAL__N_133GammaBetaBackwardSimpleCUDAKernelIN3c108BFloat16EfLb0EEEvllPKT_S7_PKT0_SA_PS5_SB_
	.p2align	8
	.type	_ZN2at6native12_GLOBAL__N_133GammaBetaBackwardSimpleCUDAKernelIN3c108BFloat16EfLb0EEEvllPKT_S7_PKT0_SA_PS5_SB_,@function
_ZN2at6native12_GLOBAL__N_133GammaBetaBackwardSimpleCUDAKernelIN3c108BFloat16EfLb0EEEvllPKT_S7_PKT0_SA_PS5_SB_: ; @_ZN2at6native12_GLOBAL__N_133GammaBetaBackwardSimpleCUDAKernelIN3c108BFloat16EfLb0EEEvllPKT_S7_PKT0_SA_PS5_SB_
; %bb.0:
	s_load_dword s0, s[4:5], 0x4c
	s_load_dwordx16 s[8:23], s[4:5], 0x0
	v_mov_b32_e32 v1, 0
	v_mov_b32_e32 v2, s6
	s_waitcnt lgkmcnt(0)
	s_and_b32 s0, s0, 0xffff
	v_mad_u64_u32 v[2:3], s[0:1], s0, v2, v[0:1]
	v_cmp_gt_i64_e32 vcc, s[10:11], v[2:3]
	s_and_saveexec_b64 s[0:1], vcc
	s_cbranch_execz .LBB95_12
; %bb.1:
	v_cmp_lt_i64_e64 s[0:1], s[8:9], 1
	s_and_b64 vcc, exec, s[0:1]
	v_lshlrev_b64 v[2:3], 1, v[2:3]
	v_mov_b32_e32 v0, 0
	s_cbranch_vccnz .LBB95_8
; %bb.2:
	s_cmp_lg_u64 s[20:21], 0
	s_cselect_b64 s[0:1], -1, 0
	s_cmp_lg_u64 s[22:23], 0
	s_cselect_b64 s[2:3], -1, 0
	v_cndmask_b32_e64 v0, 0, 1, s[0:1]
	s_lshl_b64 s[4:5], s[10:11], 1
	v_cmp_ne_u32_e64 s[0:1], 1, v0
	v_cndmask_b32_e64 v0, 0, 1, s[2:3]
	v_mov_b32_e32 v1, 0
	v_cmp_ne_u32_e64 s[2:3], 1, v0
	v_mov_b32_e32 v6, s5
	v_pk_mov_b32 v[4:5], v[2:3], v[2:3] op_sel:[0,1]
	v_mov_b32_e32 v0, 0
	s_branch .LBB95_4
.LBB95_3:                               ;   in Loop: Header=BB95_4 Depth=1
	s_add_u32 s8, s8, -1
	s_addc_u32 s9, s9, -1
	s_add_u32 s18, s18, 4
	s_addc_u32 s19, s19, 0
	s_add_u32 s16, s16, 4
	s_addc_u32 s17, s17, 0
	v_add_co_u32_e32 v4, vcc, s4, v4
	v_add_f32_e32 v1, v1, v7
	v_add_f32_e32 v0, v0, v8
	s_cmp_eq_u64 s[8:9], 0
	v_addc_co_u32_e32 v5, vcc, v5, v6, vcc
	s_cbranch_scc1 .LBB95_8
.LBB95_4:                               ; =>This Inner Loop Header: Depth=1
	s_and_b64 vcc, exec, s[0:1]
	v_mov_b32_e32 v7, 0
	s_cbranch_vccnz .LBB95_6
; %bb.5:                                ;   in Loop: Header=BB95_4 Depth=1
	v_mov_b32_e32 v7, s13
	v_add_co_u32_e32 v8, vcc, s12, v4
	v_addc_co_u32_e32 v9, vcc, v7, v5, vcc
	global_load_ushort v7, v[8:9], off
	v_mov_b32_e32 v9, s15
	v_add_co_u32_e32 v8, vcc, s14, v4
	v_addc_co_u32_e32 v9, vcc, v9, v5, vcc
	global_load_ushort v8, v[8:9], off
	s_load_dword s5, s[16:17], 0x0
	s_load_dword s6, s[18:19], 0x0
	s_waitcnt vmcnt(1)
	v_lshlrev_b32_e32 v7, 16, v7
	s_waitcnt vmcnt(0)
	v_lshlrev_b32_e32 v8, 16, v8
	s_waitcnt lgkmcnt(0)
	v_subrev_f32_e32 v8, s5, v8
	v_mul_f32_e32 v7, v8, v7
	v_mul_f32_e32 v7, s6, v7
.LBB95_6:                               ;   in Loop: Header=BB95_4 Depth=1
	s_and_b64 vcc, exec, s[2:3]
	v_mov_b32_e32 v8, 0
	s_cbranch_vccnz .LBB95_3
; %bb.7:                                ;   in Loop: Header=BB95_4 Depth=1
	v_mov_b32_e32 v9, s13
	v_add_co_u32_e32 v8, vcc, s12, v4
	v_addc_co_u32_e32 v9, vcc, v9, v5, vcc
	global_load_ushort v8, v[8:9], off
	s_waitcnt vmcnt(0)
	v_lshlrev_b32_e32 v8, 16, v8
	s_branch .LBB95_3
.LBB95_8:
	s_cmp_lg_u64 s[20:21], 0
	s_cbranch_scc0 .LBB95_10
; %bb.9:
	v_bfe_u32 v4, v1, 16, 1
	s_movk_i32 s0, 0x7fff
	v_add3_u32 v4, v1, v4, s0
	v_lshrrev_b32_e32 v4, 16, v4
	v_mov_b32_e32 v5, 0x7fc0
	v_cmp_o_f32_e32 vcc, v1, v1
	v_cndmask_b32_e32 v1, v5, v4, vcc
	v_mov_b32_e32 v5, s21
	v_add_co_u32_e32 v4, vcc, s20, v2
	v_addc_co_u32_e32 v5, vcc, v5, v3, vcc
	global_store_short v[4:5], v1, off
.LBB95_10:
	s_cmp_eq_u64 s[22:23], 0
	s_cbranch_scc1 .LBB95_12
; %bb.11:
	v_bfe_u32 v1, v0, 16, 1
	s_movk_i32 s0, 0x7fff
	v_add3_u32 v1, v0, v1, s0
	v_lshrrev_b32_e32 v1, 16, v1
	v_mov_b32_e32 v4, 0x7fc0
	v_cmp_o_f32_e32 vcc, v0, v0
	v_cndmask_b32_e32 v4, v4, v1, vcc
	v_mov_b32_e32 v1, s23
	v_add_co_u32_e32 v0, vcc, s22, v2
	v_addc_co_u32_e32 v1, vcc, v1, v3, vcc
	global_store_short v[0:1], v4, off
.LBB95_12:
	s_endpgm
	.section	.rodata,"a",@progbits
	.p2align	6, 0x0
	.amdhsa_kernel _ZN2at6native12_GLOBAL__N_133GammaBetaBackwardSimpleCUDAKernelIN3c108BFloat16EfLb0EEEvllPKT_S7_PKT0_SA_PS5_SB_
		.amdhsa_group_segment_fixed_size 0
		.amdhsa_private_segment_fixed_size 0
		.amdhsa_kernarg_size 320
		.amdhsa_user_sgpr_count 6
		.amdhsa_user_sgpr_private_segment_buffer 1
		.amdhsa_user_sgpr_dispatch_ptr 0
		.amdhsa_user_sgpr_queue_ptr 0
		.amdhsa_user_sgpr_kernarg_segment_ptr 1
		.amdhsa_user_sgpr_dispatch_id 0
		.amdhsa_user_sgpr_flat_scratch_init 0
		.amdhsa_user_sgpr_kernarg_preload_length 0
		.amdhsa_user_sgpr_kernarg_preload_offset 0
		.amdhsa_user_sgpr_private_segment_size 0
		.amdhsa_uses_dynamic_stack 0
		.amdhsa_system_sgpr_private_segment_wavefront_offset 0
		.amdhsa_system_sgpr_workgroup_id_x 1
		.amdhsa_system_sgpr_workgroup_id_y 0
		.amdhsa_system_sgpr_workgroup_id_z 0
		.amdhsa_system_sgpr_workgroup_info 0
		.amdhsa_system_vgpr_workitem_id 0
		.amdhsa_next_free_vgpr 10
		.amdhsa_next_free_sgpr 24
		.amdhsa_accum_offset 12
		.amdhsa_reserve_vcc 1
		.amdhsa_reserve_flat_scratch 0
		.amdhsa_float_round_mode_32 0
		.amdhsa_float_round_mode_16_64 0
		.amdhsa_float_denorm_mode_32 3
		.amdhsa_float_denorm_mode_16_64 3
		.amdhsa_dx10_clamp 1
		.amdhsa_ieee_mode 1
		.amdhsa_fp16_overflow 0
		.amdhsa_tg_split 0
		.amdhsa_exception_fp_ieee_invalid_op 0
		.amdhsa_exception_fp_denorm_src 0
		.amdhsa_exception_fp_ieee_div_zero 0
		.amdhsa_exception_fp_ieee_overflow 0
		.amdhsa_exception_fp_ieee_underflow 0
		.amdhsa_exception_fp_ieee_inexact 0
		.amdhsa_exception_int_div_zero 0
	.end_amdhsa_kernel
	.section	.text._ZN2at6native12_GLOBAL__N_133GammaBetaBackwardSimpleCUDAKernelIN3c108BFloat16EfLb0EEEvllPKT_S7_PKT0_SA_PS5_SB_,"axG",@progbits,_ZN2at6native12_GLOBAL__N_133GammaBetaBackwardSimpleCUDAKernelIN3c108BFloat16EfLb0EEEvllPKT_S7_PKT0_SA_PS5_SB_,comdat
.Lfunc_end95:
	.size	_ZN2at6native12_GLOBAL__N_133GammaBetaBackwardSimpleCUDAKernelIN3c108BFloat16EfLb0EEEvllPKT_S7_PKT0_SA_PS5_SB_, .Lfunc_end95-_ZN2at6native12_GLOBAL__N_133GammaBetaBackwardSimpleCUDAKernelIN3c108BFloat16EfLb0EEEvllPKT_S7_PKT0_SA_PS5_SB_
                                        ; -- End function
	.section	.AMDGPU.csdata,"",@progbits
; Kernel info:
; codeLenInByte = 492
; NumSgprs: 28
; NumVgprs: 10
; NumAgprs: 0
; TotalNumVgprs: 10
; ScratchSize: 0
; MemoryBound: 0
; FloatMode: 240
; IeeeMode: 1
; LDSByteSize: 0 bytes/workgroup (compile time only)
; SGPRBlocks: 3
; VGPRBlocks: 1
; NumSGPRsForWavesPerEU: 28
; NumVGPRsForWavesPerEU: 10
; AccumOffset: 12
; Occupancy: 8
; WaveLimiterHint : 0
; COMPUTE_PGM_RSRC2:SCRATCH_EN: 0
; COMPUTE_PGM_RSRC2:USER_SGPR: 6
; COMPUTE_PGM_RSRC2:TRAP_HANDLER: 0
; COMPUTE_PGM_RSRC2:TGID_X_EN: 1
; COMPUTE_PGM_RSRC2:TGID_Y_EN: 0
; COMPUTE_PGM_RSRC2:TGID_Z_EN: 0
; COMPUTE_PGM_RSRC2:TIDIG_COMP_CNT: 0
; COMPUTE_PGM_RSRC3_GFX90A:ACCUM_OFFSET: 2
; COMPUTE_PGM_RSRC3_GFX90A:TG_SPLIT: 0
	.section	.text._ZN2at6native12_GLOBAL__N_135GammaBetaBackwardCUDAKernelTemplateIN3c108BFloat16EfLj64ELj1ELj32ELb1ELb1ELb0EEEvllPKT_S7_PKT0_SA_PS5_SB_,"axG",@progbits,_ZN2at6native12_GLOBAL__N_135GammaBetaBackwardCUDAKernelTemplateIN3c108BFloat16EfLj64ELj1ELj32ELb1ELb1ELb0EEEvllPKT_S7_PKT0_SA_PS5_SB_,comdat
	.globl	_ZN2at6native12_GLOBAL__N_135GammaBetaBackwardCUDAKernelTemplateIN3c108BFloat16EfLj64ELj1ELj32ELb1ELb1ELb0EEEvllPKT_S7_PKT0_SA_PS5_SB_ ; -- Begin function _ZN2at6native12_GLOBAL__N_135GammaBetaBackwardCUDAKernelTemplateIN3c108BFloat16EfLj64ELj1ELj32ELb1ELb1ELb0EEEvllPKT_S7_PKT0_SA_PS5_SB_
	.p2align	8
	.type	_ZN2at6native12_GLOBAL__N_135GammaBetaBackwardCUDAKernelTemplateIN3c108BFloat16EfLj64ELj1ELj32ELb1ELb1ELb0EEEvllPKT_S7_PKT0_SA_PS5_SB_,@function
_ZN2at6native12_GLOBAL__N_135GammaBetaBackwardCUDAKernelTemplateIN3c108BFloat16EfLj64ELj1ELj32ELb1ELb1ELb0EEEvllPKT_S7_PKT0_SA_PS5_SB_: ; @_ZN2at6native12_GLOBAL__N_135GammaBetaBackwardCUDAKernelTemplateIN3c108BFloat16EfLj64ELj1ELj32ELb1ELb1ELb0EEEvllPKT_S7_PKT0_SA_PS5_SB_
; %bb.0:
	s_load_dwordx4 s[16:19], s[4:5], 0x0
	s_lshl_b32 s24, s7, 5
	s_mov_b32 s25, 0
	s_mov_b32 s2, s7
	v_bfe_u32 v12, v0, 10, 10
	s_waitcnt lgkmcnt(0)
	v_pk_mov_b32 v[2:3], s[16:17], s[16:17] op_sel:[0,1]
	v_cmp_lt_i64_e32 vcc, s[24:25], v[2:3]
	s_cbranch_vccnz .LBB96_2
; %bb.1:
	s_add_u32 s26, s4, 64
	s_addc_u32 s27, s5, 0
	s_mov_b64 s[0:1], 0
	v_bfe_u32 v2, v0, 10, 10
	s_branch .LBB96_3
.LBB96_2:
	s_mov_b64 s[0:1], -1
                                        ; implicit-def: $sgpr26_sgpr27
                                        ; implicit-def: $vgpr2
.LBB96_3:
	s_load_dwordx4 s[20:23], s[4:5], 0x30
	v_and_b32_e32 v13, 0x3ff, v0
	s_andn2_b64 vcc, exec, s[0:1]
	v_mov_b32_e32 v7, s25
	v_mov_b32_e32 v6, s25
	s_cbranch_vccnz .LBB96_11
; %bb.4:
	s_load_dword s0, s[4:5], 0x4c
	s_load_dword s3, s[4:5], 0x44
	s_load_dwordx8 s[8:15], s[4:5], 0x10
	v_mbcnt_lo_u32_b32 v2, -1, 0
	s_add_u32 s26, s4, 64
	v_mbcnt_hi_u32_b32 v2, -1, v2
	s_addc_u32 s27, s5, 0
	s_waitcnt lgkmcnt(0)
	s_and_b32 s0, s0, 0xffff
	v_lshlrev_b32_e32 v1, 5, v12
	v_lshlrev_b32_e32 v2, 2, v2
	v_mad_u32_u24 v0, v12, s0, v13
	v_and_b32_e32 v14, 0x100, v2
	v_mov_b32_e32 v2, s25
	v_add_co_u32_e32 v4, vcc, s24, v1
	v_and_b32_e32 v0, 63, v0
	v_addc_co_u32_e32 v5, vcc, 0, v2, vcc
	v_cmp_gt_u32_e64 s[0:1], 32, v0
	v_add_co_u32_e32 v0, vcc, v4, v0
	v_addc_co_u32_e32 v1, vcc, 0, v5, vcc
	v_mul_lo_u32 v8, s19, v4
	v_mul_lo_u32 v9, s18, v5
	v_mad_u64_u32 v[4:5], s[30:31], s18, v4, 0
	v_mov_b32_e32 v7, 0
	v_lshl_add_u32 v6, s6, 6, v13
	s_lshl_b32 s4, s3, 5
	v_add3_u32 v5, v5, v9, v8
	v_lshlrev_b64 v[4:5], 1, v[4:5]
	v_lshlrev_b64 v[8:9], 1, v[6:7]
	s_mul_i32 s3, s19, s4
	s_mul_hi_u32 s7, s18, s4
	s_mov_b32 s5, 0
	v_add_co_u32_e32 v4, vcc, v4, v8
	s_add_i32 s31, s7, s3
	s_mul_i32 s30, s18, s4
	v_or_b32_e32 v15, 4, v14
	v_or_b32_e32 v16, 8, v14
	;; [unrolled: 1-line block ×31, first 2 shown]
	v_lshlrev_b64 v[2:3], 2, v[0:1]
	s_lshl_b64 s[28:29], s[4:5], 2
	v_addc_co_u32_e32 v5, vcc, v5, v9, vcc
	s_lshl_b64 s[30:31], s[30:31], 1
	s_lshl_b64 s[34:35], s[18:19], 1
	v_mov_b32_e32 v6, v7
	s_branch .LBB96_7
.LBB96_5:                               ;   in Loop: Header=BB96_7 Depth=1
	s_or_b64 exec, exec, s[38:39]
.LBB96_6:                               ;   in Loop: Header=BB96_7 Depth=1
	s_or_b64 exec, exec, s[36:37]
	v_mov_b32_e32 v9, s9
	v_add_co_u32_e32 v8, vcc, s8, v4
	v_addc_co_u32_e32 v9, vcc, v9, v5, vcc
	v_mov_b32_e32 v11, s11
	v_add_co_u32_e32 v10, vcc, s10, v4
	v_addc_co_u32_e32 v11, vcc, v11, v5, vcc
	global_load_ushort v51, v[10:11], off
	global_load_ushort v49, v[8:9], off
	v_mov_b32_e32 v48, s35
	v_add_co_u32_e32 v8, vcc, s34, v8
	v_addc_co_u32_e32 v9, vcc, v9, v48, vcc
	v_add_co_u32_e32 v10, vcc, s34, v10
	v_addc_co_u32_e32 v11, vcc, v11, v48, vcc
	global_load_ushort v52, v[10:11], off
	global_load_ushort v50, v[8:9], off
	v_add_co_u32_e32 v10, vcc, s34, v10
	v_addc_co_u32_e32 v11, vcc, v11, v48, vcc
	v_add_co_u32_e32 v8, vcc, s34, v8
	global_load_ushort v53, v[10:11], off
	v_addc_co_u32_e32 v9, vcc, v9, v48, vcc
	global_load_ushort v54, v[8:9], off
	v_add_co_u32_e32 v10, vcc, s34, v10
	v_addc_co_u32_e32 v11, vcc, v11, v48, vcc
	v_add_co_u32_e32 v8, vcc, s34, v8
	global_load_ushort v55, v[10:11], off
	v_addc_co_u32_e32 v9, vcc, v9, v48, vcc
	;; [unrolled: 6-line block ×3, first 2 shown]
	global_load_ushort v60, v[8:9], off
	v_add_co_u32_e32 v10, vcc, s34, v10
	v_addc_co_u32_e32 v11, vcc, v11, v48, vcc
	global_load_ushort v61, v[10:11], off
	v_add_co_u32_e32 v8, vcc, s34, v8
	v_addc_co_u32_e32 v9, vcc, v9, v48, vcc
	v_add_co_u32_e32 v58, vcc, s34, v10
	global_load_ushort v62, v[8:9], off
	v_addc_co_u32_e32 v59, vcc, v11, v48, vcc
	v_add_co_u32_e32 v10, vcc, s34, v8
	v_addc_co_u32_e32 v11, vcc, v9, v48, vcc
	global_load_ushort v63, v[58:59], off
	global_load_ushort v64, v[10:11], off
	v_add_co_u32_e32 v8, vcc, s34, v58
	v_addc_co_u32_e32 v9, vcc, v59, v48, vcc
	v_add_co_u32_e32 v10, vcc, s34, v10
	v_addc_co_u32_e32 v11, vcc, v11, v48, vcc
	global_load_ushort v65, v[8:9], off
	global_load_ushort v66, v[10:11], off
	v_add_co_u32_e32 v8, vcc, s34, v8
	v_addc_co_u32_e32 v9, vcc, v9, v48, vcc
	v_add_co_u32_e32 v10, vcc, s34, v10
	global_load_ushort v67, v[8:9], off
	v_addc_co_u32_e32 v11, vcc, v11, v48, vcc
	global_load_ushort v68, v[10:11], off
	v_add_co_u32_e32 v8, vcc, s34, v8
	v_addc_co_u32_e32 v9, vcc, v9, v48, vcc
	v_add_co_u32_e32 v10, vcc, s34, v10
	global_load_ushort v69, v[8:9], off
	v_addc_co_u32_e32 v11, vcc, v11, v48, vcc
	global_load_ushort v70, v[10:11], off
	s_waitcnt vmcnt(21)
	ds_bpermute_b32 v58, v14, v47
	s_waitcnt vmcnt(20)
	ds_bpermute_b32 v59, v14, v46
	s_waitcnt vmcnt(19)
	v_lshlrev_b32_e32 v51, 16, v51
	s_waitcnt vmcnt(17)
	v_lshlrev_b32_e32 v52, 16, v52
	;; [unrolled: 2-line block ×3, first 2 shown]
	s_waitcnt lgkmcnt(1)
	v_sub_f32_e32 v51, v51, v58
	v_lshlrev_b32_e32 v58, 16, v49
	ds_bpermute_b32 v49, v15, v47
	v_mul_f32_e32 v51, v51, v58
	s_waitcnt lgkmcnt(1)
	v_mul_f32_e32 v59, v51, v59
	ds_bpermute_b32 v51, v15, v46
	s_waitcnt vmcnt(15)
	v_lshlrev_b32_e32 v53, 16, v53
	s_waitcnt lgkmcnt(1)
	v_sub_f32_e32 v49, v52, v49
	ds_bpermute_b32 v52, v16, v47
	v_mul_f32_e32 v49, v49, v50
	s_waitcnt lgkmcnt(1)
	v_mul_f32_e32 v51, v49, v51
	ds_bpermute_b32 v49, v16, v46
	v_add_co_u32_e32 v8, vcc, s34, v8
	s_waitcnt lgkmcnt(1)
	v_sub_f32_e32 v53, v53, v52
	s_waitcnt vmcnt(14)
	v_lshlrev_b32_e32 v52, 16, v54
	ds_bpermute_b32 v54, v17, v47
	v_mul_f32_e32 v53, v53, v52
	v_pk_add_f32 v[6:7], v[6:7], v[58:59]
	s_waitcnt lgkmcnt(1)
	v_mul_f32_e32 v53, v53, v49
	ds_bpermute_b32 v49, v17, v46
	v_addc_co_u32_e32 v9, vcc, v9, v48, vcc
	v_pk_add_f32 v[6:7], v[6:7], v[50:51]
	v_pk_add_f32 v[6:7], v[6:7], v[52:53]
	global_load_ushort v52, v[8:9], off
	s_waitcnt vmcnt(14)
	v_lshlrev_b32_e32 v55, 16, v55
	s_waitcnt lgkmcnt(1)
	v_sub_f32_e32 v55, v55, v54
	s_waitcnt vmcnt(13)
	v_lshlrev_b32_e32 v54, 16, v56
	ds_bpermute_b32 v56, v18, v47
	v_mul_f32_e32 v55, v55, v54
	s_waitcnt lgkmcnt(1)
	v_mul_f32_e32 v55, v55, v49
	ds_bpermute_b32 v49, v18, v46
	s_waitcnt vmcnt(12)
	v_lshlrev_b32_e32 v57, 16, v57
	s_waitcnt lgkmcnt(1)
	v_sub_f32_e32 v57, v57, v56
	s_waitcnt vmcnt(11)
	v_lshlrev_b32_e32 v56, 16, v60
	ds_bpermute_b32 v60, v19, v47
	v_mul_f32_e32 v57, v57, v56
	s_waitcnt lgkmcnt(1)
	v_mul_f32_e32 v57, v57, v49
	s_waitcnt vmcnt(10)
	v_lshlrev_b32_e32 v49, 16, v61
	ds_bpermute_b32 v61, v19, v46
	s_waitcnt lgkmcnt(1)
	v_sub_f32_e32 v49, v49, v60
	s_waitcnt vmcnt(9)
	v_lshlrev_b32_e32 v60, 16, v62
	ds_bpermute_b32 v62, v20, v47
	v_mul_f32_e32 v49, v49, v60
	s_waitcnt lgkmcnt(1)
	v_mul_f32_e32 v61, v49, v61
	s_waitcnt vmcnt(8)
	v_lshlrev_b32_e32 v49, 16, v63
	ds_bpermute_b32 v63, v20, v46
	;; [unrolled: 11-line block ×3, first 2 shown]
	s_waitcnt lgkmcnt(1)
	v_sub_f32_e32 v49, v49, v64
	s_waitcnt vmcnt(5)
	v_lshlrev_b32_e32 v64, 16, v66
	ds_bpermute_b32 v66, v22, v47
	v_mul_f32_e32 v49, v49, v64
	s_waitcnt lgkmcnt(1)
	v_mul_f32_e32 v65, v49, v65
	ds_bpermute_b32 v49, v22, v46
	s_waitcnt vmcnt(4)
	v_lshlrev_b32_e32 v67, 16, v67
	s_waitcnt lgkmcnt(1)
	v_sub_f32_e32 v67, v67, v66
	ds_bpermute_b32 v71, v23, v46
	s_waitcnt vmcnt(3)
	v_lshlrev_b32_e32 v66, 16, v68
	v_mul_f32_e32 v67, v67, v66
	s_waitcnt lgkmcnt(1)
	v_mul_f32_e32 v67, v67, v49
	ds_bpermute_b32 v49, v23, v47
	v_add_co_u32_e32 v10, vcc, s34, v10
	v_addc_co_u32_e32 v11, vcc, v11, v48, vcc
	s_waitcnt vmcnt(2)
	v_lshlrev_b32_e32 v68, 16, v69
	s_waitcnt lgkmcnt(0)
	v_sub_f32_e32 v49, v68, v49
	s_waitcnt vmcnt(1)
	v_lshlrev_b32_e32 v68, 16, v70
	v_mul_f32_e32 v49, v49, v68
	v_mul_f32_e32 v69, v49, v71
	v_add_co_u32_e32 v50, vcc, s34, v10
	global_load_ushort v49, v[10:11], off
	v_addc_co_u32_e32 v51, vcc, v11, v48, vcc
	v_add_co_u32_e32 v8, vcc, s34, v8
	v_addc_co_u32_e32 v9, vcc, v9, v48, vcc
	global_load_ushort v59, v[8:9], off
	global_load_ushort v58, v[50:51], off
	v_add_co_u32_e32 v10, vcc, s34, v50
	v_pk_add_f32 v[6:7], v[6:7], v[54:55]
	v_addc_co_u32_e32 v11, vcc, v51, v48, vcc
	v_pk_add_f32 v[6:7], v[6:7], v[56:57]
	v_add_co_u32_e32 v8, vcc, s34, v8
	v_pk_add_f32 v[6:7], v[6:7], v[60:61]
	v_addc_co_u32_e32 v9, vcc, v9, v48, vcc
	global_load_ushort v60, v[10:11], off
	global_load_ushort v61, v[8:9], off
	v_add_co_u32_e32 v50, vcc, s34, v10
	v_addc_co_u32_e32 v51, vcc, v11, v48, vcc
	v_add_co_u32_e32 v8, vcc, s34, v8
	v_addc_co_u32_e32 v9, vcc, v9, v48, vcc
	v_pk_add_f32 v[6:7], v[6:7], v[62:63]
	global_load_ushort v62, v[8:9], off
	global_load_ushort v63, v[50:51], off
	v_add_co_u32_e32 v10, vcc, s34, v8
	v_addc_co_u32_e32 v11, vcc, v9, v48, vcc
	v_add_co_u32_e32 v8, vcc, s34, v50
	v_pk_add_f32 v[6:7], v[6:7], v[64:65]
	v_addc_co_u32_e32 v9, vcc, v51, v48, vcc
	global_load_ushort v64, v[10:11], off
	global_load_ushort v65, v[8:9], off
	v_add_co_u32_e32 v10, vcc, s34, v10
	v_addc_co_u32_e32 v11, vcc, v11, v48, vcc
	v_add_co_u32_e32 v8, vcc, s34, v8
	v_addc_co_u32_e32 v9, vcc, v9, v48, vcc
	global_load_ushort v70, v[10:11], off
	v_add_co_u32_e32 v50, vcc, s34, v10
	global_load_ushort v71, v[8:9], off
	v_addc_co_u32_e32 v51, vcc, v11, v48, vcc
	v_add_co_u32_e32 v10, vcc, s34, v8
	v_addc_co_u32_e32 v11, vcc, v9, v48, vcc
	v_add_co_u32_e32 v8, vcc, s34, v50
	global_load_ushort v72, v[50:51], off
	v_addc_co_u32_e32 v9, vcc, v51, v48, vcc
	global_load_ushort v73, v[10:11], off
	v_add_co_u32_e32 v50, vcc, s34, v10
	v_addc_co_u32_e32 v51, vcc, v11, v48, vcc
	v_add_co_u32_e32 v10, vcc, s34, v8
	v_addc_co_u32_e32 v11, vcc, v9, v48, vcc
	global_load_ushort v74, v[8:9], off
	global_load_ushort v75, v[50:51], off
	v_add_co_u32_e32 v8, vcc, s34, v50
	v_addc_co_u32_e32 v9, vcc, v51, v48, vcc
	global_load_ushort v76, v[10:11], off
	global_load_ushort v77, v[8:9], off
	v_add_co_u32_e32 v10, vcc, s34, v10
	v_addc_co_u32_e32 v11, vcc, v11, v48, vcc
	v_add_co_u32_e32 v8, vcc, s34, v8
	global_load_ushort v78, v[10:11], off
	v_addc_co_u32_e32 v9, vcc, v9, v48, vcc
	global_load_ushort v79, v[8:9], off
	s_waitcnt vmcnt(19)
	v_lshlrev_b32_e32 v56, 16, v52
	v_add_co_u32_e32 v52, vcc, s34, v10
	v_addc_co_u32_e32 v53, vcc, v11, v48, vcc
	v_add_co_u32_e32 v54, vcc, s34, v8
	global_load_ushort v80, v[52:53], off
	v_addc_co_u32_e32 v55, vcc, v9, v48, vcc
	global_load_ushort v81, v[54:55], off
	v_pk_add_f32 v[6:7], v[6:7], v[66:67]
	v_pk_add_f32 v[50:51], v[6:7], v[68:69]
	ds_bpermute_b32 v6, v24, v47
	ds_bpermute_b32 v7, v24, v46
	;; [unrolled: 1-line block ×3, first 2 shown]
	s_waitcnt vmcnt(18)
	v_lshlrev_b32_e32 v58, 16, v58
	s_waitcnt vmcnt(17)
	v_lshlrev_b32_e32 v60, 16, v60
	s_waitcnt lgkmcnt(2)
	v_sub_f32_e32 v6, v56, v6
	v_lshlrev_b32_e32 v56, 16, v49
	v_mul_f32_e32 v6, v6, v56
	s_waitcnt lgkmcnt(1)
	v_mul_f32_e32 v57, v6, v7
	ds_bpermute_b32 v6, v25, v46
	v_lshlrev_b32_e32 v7, 16, v59
	s_waitcnt lgkmcnt(1)
	v_sub_f32_e32 v7, v7, v8
	ds_bpermute_b32 v8, v26, v47
	v_mul_f32_e32 v7, v7, v58
	s_waitcnt lgkmcnt(1)
	v_mul_f32_e32 v59, v7, v6
	ds_bpermute_b32 v6, v26, v46
	s_waitcnt vmcnt(16)
	v_lshlrev_b32_e32 v7, 16, v61
	s_waitcnt lgkmcnt(1)
	v_sub_f32_e32 v7, v7, v8
	ds_bpermute_b32 v8, v27, v47
	v_mul_f32_e32 v7, v7, v60
	s_waitcnt lgkmcnt(1)
	v_mul_f32_e32 v61, v7, v6
	ds_bpermute_b32 v6, v27, v46
	s_waitcnt vmcnt(15)
	v_lshlrev_b32_e32 v7, 16, v62
	s_waitcnt lgkmcnt(1)
	v_sub_f32_e32 v7, v7, v8
	s_waitcnt vmcnt(14)
	v_lshlrev_b32_e32 v62, 16, v63
	ds_bpermute_b32 v8, v28, v47
	v_mul_f32_e32 v7, v7, v62
	s_waitcnt lgkmcnt(1)
	v_mul_f32_e32 v63, v7, v6
	ds_bpermute_b32 v6, v28, v46
	s_waitcnt vmcnt(13)
	v_lshlrev_b32_e32 v7, 16, v64
	s_waitcnt lgkmcnt(1)
	v_sub_f32_e32 v7, v7, v8
	s_waitcnt vmcnt(12)
	v_lshlrev_b32_e32 v64, 16, v65
	;; [unrolled: 11-line block ×4, first 2 shown]
	ds_bpermute_b32 v8, v31, v47
	v_mul_f32_e32 v6, v6, v68
	s_waitcnt lgkmcnt(1)
	v_mul_f32_e32 v69, v6, v7
	ds_bpermute_b32 v7, v31, v46
	ds_bpermute_b32 v9, v32, v47
	s_waitcnt vmcnt(7)
	v_lshlrev_b32_e32 v6, 16, v74
	s_waitcnt lgkmcnt(2)
	v_sub_f32_e32 v8, v6, v8
	s_waitcnt vmcnt(6)
	v_lshlrev_b32_e32 v6, 16, v75
	ds_bpermute_b32 v10, v32, v46
	v_mul_f32_e32 v8, v8, v6
	ds_bpermute_b32 v11, v33, v47
	s_waitcnt lgkmcnt(3)
	v_mul_f32_e32 v7, v8, v7
	s_waitcnt vmcnt(5)
	v_lshlrev_b32_e32 v8, 16, v76
	s_waitcnt lgkmcnt(2)
	v_sub_f32_e32 v9, v8, v9
	s_waitcnt vmcnt(4)
	v_lshlrev_b32_e32 v8, 16, v77
	ds_bpermute_b32 v49, v33, v46
	v_mul_f32_e32 v9, v9, v8
	s_waitcnt lgkmcnt(2)
	v_mul_f32_e32 v9, v9, v10
	s_waitcnt vmcnt(3)
	v_lshlrev_b32_e32 v10, 16, v78
	s_waitcnt lgkmcnt(1)
	v_sub_f32_e32 v11, v10, v11
	s_waitcnt vmcnt(2)
	v_lshlrev_b32_e32 v10, 16, v79
	v_mul_f32_e32 v11, v11, v10
	v_add_co_u32_e32 v52, vcc, s34, v52
	s_waitcnt lgkmcnt(0)
	v_mul_f32_e32 v11, v11, v49
	v_addc_co_u32_e32 v53, vcc, v53, v48, vcc
	ds_bpermute_b32 v49, v34, v47
	v_add_co_u32_e32 v54, vcc, s34, v54
	v_addc_co_u32_e32 v55, vcc, v55, v48, vcc
	ds_bpermute_b32 v71, v34, v46
	v_pk_add_f32 v[50:51], v[50:51], v[56:57]
	v_add_co_u32_e32 v56, vcc, s34, v54
	s_waitcnt vmcnt(1)
	v_lshlrev_b32_e32 v70, 16, v80
	v_addc_co_u32_e32 v57, vcc, v55, v48, vcc
	s_waitcnt lgkmcnt(1)
	v_sub_f32_e32 v49, v70, v49
	s_waitcnt vmcnt(0)
	v_lshlrev_b32_e32 v70, 16, v81
	v_pk_add_f32 v[50:51], v[50:51], v[58:59]
	global_load_ushort v58, v[52:53], off
	v_add_co_u32_e32 v52, vcc, s34, v52
	v_mul_f32_e32 v49, v49, v70
	v_addc_co_u32_e32 v53, vcc, v53, v48, vcc
	s_waitcnt lgkmcnt(0)
	v_mul_f32_e32 v71, v49, v71
	global_load_ushort v49, v[54:55], off
	v_add_co_u32_e32 v54, vcc, s34, v56
	v_addc_co_u32_e32 v55, vcc, v57, v48, vcc
	v_pk_add_f32 v[50:51], v[50:51], v[60:61]
	global_load_ushort v59, v[56:57], off
	global_load_ushort v60, v[52:53], off
	v_add_co_u32_e32 v52, vcc, s34, v52
	v_addc_co_u32_e32 v53, vcc, v53, v48, vcc
	v_add_co_u32_e32 v56, vcc, s34, v54
	v_addc_co_u32_e32 v57, vcc, v55, v48, vcc
	v_pk_add_f32 v[50:51], v[50:51], v[62:63]
	global_load_ushort v61, v[54:55], off
	global_load_ushort v62, v[52:53], off
	v_add_co_u32_e32 v52, vcc, s34, v52
	v_addc_co_u32_e32 v53, vcc, v53, v48, vcc
	;; [unrolled: 7-line block ×3, first 2 shown]
	v_pk_add_f32 v[50:51], v[50:51], v[66:67]
	global_load_ushort v65, v[54:55], off
	global_load_ushort v66, v[52:53], off
	v_add_co_u32_e32 v54, vcc, s34, v54
	v_addc_co_u32_e32 v55, vcc, v55, v48, vcc
	v_add_co_u32_e32 v52, vcc, s34, v52
	v_addc_co_u32_e32 v53, vcc, v53, v48, vcc
	;; [unrolled: 2-line block ×3, first 2 shown]
	global_load_ushort v67, v[54:55], off
	v_add_co_u32_e32 v54, vcc, s34, v52
	v_addc_co_u32_e32 v55, vcc, v53, v48, vcc
	v_pk_add_f32 v[50:51], v[50:51], v[68:69]
	global_load_ushort v68, v[52:53], off
	v_add_co_u32_e32 v52, vcc, s34, v56
	v_addc_co_u32_e32 v53, vcc, v57, v48, vcc
	global_load_ushort v69, v[56:57], off
	v_add_co_u32_e32 v56, vcc, s34, v54
	v_addc_co_u32_e32 v57, vcc, v55, v48, vcc
	;; [unrolled: 3-line block ×8, first 2 shown]
	global_load_ushort v78, v[54:55], off
	global_load_ushort v79, v[56:57], off
	;; [unrolled: 1-line block ×3, first 2 shown]
	v_pk_add_f32 v[6:7], v[50:51], v[6:7]
	v_pk_add_f32 v[6:7], v[6:7], v[8:9]
	ds_bpermute_b32 v8, v35, v47
	ds_bpermute_b32 v9, v35, v46
	v_pk_add_f32 v[6:7], v[6:7], v[10:11]
	ds_bpermute_b32 v11, v36, v47
	s_waitcnt vmcnt(21)
	v_lshlrev_b32_e32 v10, 16, v58
	s_waitcnt lgkmcnt(2)
	v_sub_f32_e32 v10, v10, v8
	s_waitcnt vmcnt(20)
	v_lshlrev_b32_e32 v8, 16, v49
	ds_bpermute_b32 v48, v36, v46
	v_mul_f32_e32 v10, v10, v8
	ds_bpermute_b32 v49, v37, v47
	s_waitcnt lgkmcnt(3)
	v_mul_f32_e32 v9, v10, v9
	s_waitcnt vmcnt(18)
	v_lshlrev_b32_e32 v10, 16, v60
	s_waitcnt lgkmcnt(2)
	v_sub_f32_e32 v11, v10, v11
	v_lshlrev_b32_e32 v10, 16, v59
	ds_bpermute_b32 v50, v37, v46
	v_mul_f32_e32 v11, v11, v10
	ds_bpermute_b32 v51, v38, v47
	s_waitcnt lgkmcnt(3)
	v_mul_f32_e32 v11, v11, v48
	s_waitcnt vmcnt(16)
	v_lshlrev_b32_e32 v48, 16, v62
	s_waitcnt lgkmcnt(2)
	v_sub_f32_e32 v49, v48, v49
	;; [unrolled: 10-line block ×3, first 2 shown]
	s_waitcnt vmcnt(14)
	v_lshlrev_b32_e32 v50, 16, v64
	ds_bpermute_b32 v54, v39, v46
	v_mul_f32_e32 v51, v51, v50
	ds_bpermute_b32 v55, v40, v47
	s_waitcnt lgkmcnt(3)
	v_mul_f32_e32 v51, v51, v52
	s_waitcnt vmcnt(13)
	v_lshlrev_b32_e32 v52, 16, v65
	s_waitcnt lgkmcnt(2)
	v_sub_f32_e32 v53, v52, v53
	s_waitcnt vmcnt(12)
	v_lshlrev_b32_e32 v52, 16, v66
	ds_bpermute_b32 v56, v40, v46
	v_mul_f32_e32 v53, v53, v52
	ds_bpermute_b32 v57, v41, v47
	s_waitcnt lgkmcnt(3)
	v_mul_f32_e32 v53, v53, v54
	s_waitcnt vmcnt(11)
	v_lshlrev_b32_e32 v54, 16, v67
	s_waitcnt lgkmcnt(2)
	v_sub_f32_e32 v55, v54, v55
	;; [unrolled: 11-line block ×3, first 2 shown]
	s_waitcnt vmcnt(8)
	v_lshlrev_b32_e32 v56, 16, v72
	ds_bpermute_b32 v60, v42, v46
	v_mul_f32_e32 v57, v57, v56
	ds_bpermute_b32 v61, v43, v47
	v_pk_add_f32 v[6:7], v[6:7], v[70:71]
	s_waitcnt lgkmcnt(3)
	v_mul_f32_e32 v57, v57, v58
	s_waitcnt vmcnt(7)
	v_lshlrev_b32_e32 v58, 16, v73
	s_waitcnt lgkmcnt(2)
	v_sub_f32_e32 v59, v58, v59
	ds_bpermute_b32 v62, v43, v46
	s_waitcnt vmcnt(6)
	v_lshlrev_b32_e32 v58, 16, v74
	v_pk_add_f32 v[6:7], v[6:7], v[8:9]
	v_mul_f32_e32 v59, v59, v58
	ds_bpermute_b32 v63, v44, v47
	v_pk_add_f32 v[6:7], v[6:7], v[10:11]
	s_waitcnt lgkmcnt(3)
	v_mul_f32_e32 v59, v59, v60
	s_waitcnt vmcnt(5)
	v_lshlrev_b32_e32 v60, 16, v75
	v_pk_add_f32 v[6:7], v[6:7], v[48:49]
	ds_bpermute_b32 v10, v45, v47
	s_waitcnt lgkmcnt(3)
	v_sub_f32_e32 v61, v60, v61
	s_waitcnt vmcnt(4)
	v_lshlrev_b32_e32 v60, 16, v76
	ds_bpermute_b32 v64, v44, v46
	v_pk_add_f32 v[6:7], v[6:7], v[50:51]
	v_mul_f32_e32 v61, v61, v60
	v_pk_add_f32 v[6:7], v[6:7], v[52:53]
	ds_bpermute_b32 v11, v45, v46
	s_waitcnt lgkmcnt(4)
	v_mul_f32_e32 v61, v61, v62
	s_waitcnt vmcnt(3)
	v_lshlrev_b32_e32 v62, 16, v77
	v_pk_add_f32 v[6:7], v[6:7], v[54:55]
	s_waitcnt lgkmcnt(3)
	v_sub_f32_e32 v63, v62, v63
	s_waitcnt vmcnt(2)
	v_lshlrev_b32_e32 v62, 16, v78
	s_waitcnt vmcnt(0)
	v_lshlrev_b32_e32 v9, 16, v80
	v_pk_add_f32 v[6:7], v[6:7], v[56:57]
	v_mul_f32_e32 v63, v63, v62
	v_lshlrev_b32_e32 v8, 16, v79
	v_pk_add_f32 v[6:7], v[6:7], v[58:59]
	s_waitcnt lgkmcnt(2)
	v_sub_f32_e32 v9, v9, v10
	s_waitcnt lgkmcnt(1)
	v_mul_f32_e32 v63, v63, v64
	v_pk_add_f32 v[6:7], v[6:7], v[60:61]
	v_mul_f32_e32 v9, v9, v8
	v_pk_add_f32 v[6:7], v[6:7], v[62:63]
	s_waitcnt lgkmcnt(0)
	v_mul_f32_e32 v9, v9, v11
	v_pk_add_f32 v[6:7], v[6:7], v[8:9]
	v_mov_b32_e32 v8, s29
	v_add_co_u32_e32 v2, vcc, s28, v2
	v_addc_co_u32_e32 v3, vcc, v3, v8, vcc
	v_mov_b32_e32 v8, s5
	v_add_co_u32_e32 v0, vcc, s4, v0
	v_addc_co_u32_e32 v1, vcc, v1, v8, vcc
	s_add_u32 s24, s24, s4
	v_mov_b32_e32 v8, s31
	v_add_co_u32_e32 v4, vcc, s30, v4
	s_addc_u32 s25, s25, 0
	v_addc_co_u32_e32 v5, vcc, v5, v8, vcc
	v_pk_mov_b32 v[8:9], s[16:17], s[16:17] op_sel:[0,1]
	v_cmp_lt_i64_e32 vcc, s[24:25], v[8:9]
	s_cbranch_vccz .LBB96_10
.LBB96_7:                               ; =>This Inner Loop Header: Depth=1
	v_mov_b32_e32 v46, 0
	v_mov_b32_e32 v47, 0
	s_and_saveexec_b64 s[36:37], s[0:1]
	s_cbranch_execz .LBB96_6
; %bb.8:                                ;   in Loop: Header=BB96_7 Depth=1
	v_cmp_gt_i64_e32 vcc, s[16:17], v[0:1]
	v_mov_b32_e32 v47, 0
	v_mov_b32_e32 v46, 0
	s_and_saveexec_b64 s[38:39], vcc
	s_cbranch_execz .LBB96_5
; %bb.9:                                ;   in Loop: Header=BB96_7 Depth=1
	v_mov_b32_e32 v9, s15
	v_add_co_u32_e32 v8, vcc, s14, v2
	v_addc_co_u32_e32 v9, vcc, v9, v3, vcc
	v_mov_b32_e32 v11, s13
	v_add_co_u32_e32 v10, vcc, s12, v2
	v_addc_co_u32_e32 v11, vcc, v11, v3, vcc
	global_load_dword v47, v[10:11], off
	global_load_dword v46, v[8:9], off
	s_branch .LBB96_5
.LBB96_10:
	v_mov_b32_e32 v2, v12
.LBB96_11:
	s_mov_b32 s7, 0
	s_lshl_b64 s[0:1], s[6:7], 6
	v_mov_b32_e32 v1, s1
	s_load_dword s1, s[26:27], 0xc
	v_mov_b32_e32 v3, 0
	v_add_co_u32_e32 v0, vcc, s0, v13
	v_mov_b32_e32 v4, s2
	s_waitcnt lgkmcnt(0)
	s_lshr_b32 s0, s1, 16
	v_addc_co_u32_e32 v1, vcc, 0, v1, vcc
	v_mad_u64_u32 v[2:3], s[0:1], s0, v4, v[2:3]
	s_cmp_eq_u64 s[20:21], 0
	v_mul_lo_u32 v3, v3, s18
	v_mul_lo_u32 v4, v2, s19
	v_lshlrev_b64 v[0:1], 1, v[0:1]
	s_cbranch_scc1 .LBB96_13
; %bb.12:
	v_bfe_u32 v5, v7, 16, 1
	s_movk_i32 s0, 0x7fff
	v_add3_u32 v5, v7, v5, s0
	v_lshrrev_b32_e32 v5, 16, v5
	v_mov_b32_e32 v8, 0x7fc0
	v_cmp_o_f32_e32 vcc, v7, v7
	v_cndmask_b32_e32 v5, v8, v5, vcc
	v_mad_u64_u32 v[8:9], s[0:1], v2, s18, 0
	v_add3_u32 v9, v9, v4, v3
	v_lshlrev_b64 v[8:9], 1, v[8:9]
	v_mov_b32_e32 v7, s21
	v_add_co_u32_e32 v8, vcc, s20, v8
	v_addc_co_u32_e32 v7, vcc, v7, v9, vcc
	v_add_co_u32_e32 v8, vcc, v8, v0
	v_addc_co_u32_e32 v9, vcc, v7, v1, vcc
	global_store_short v[8:9], v5, off
.LBB96_13:
	s_cmp_eq_u64 s[22:23], 0
	s_cbranch_scc1 .LBB96_15
; %bb.14:
	v_bfe_u32 v5, v6, 16, 1
	s_movk_i32 s0, 0x7fff
	v_add3_u32 v5, v6, v5, s0
	v_lshrrev_b32_e32 v5, 16, v5
	v_mov_b32_e32 v7, 0x7fc0
	v_cmp_o_f32_e32 vcc, v6, v6
	v_cndmask_b32_e32 v5, v7, v5, vcc
	v_mad_u64_u32 v[6:7], s[0:1], v2, s18, 0
	v_add3_u32 v7, v7, v4, v3
	v_lshlrev_b64 v[2:3], 1, v[6:7]
	v_mov_b32_e32 v4, s23
	v_add_co_u32_e32 v2, vcc, s22, v2
	v_addc_co_u32_e32 v3, vcc, v4, v3, vcc
	v_add_co_u32_e32 v0, vcc, v2, v0
	v_addc_co_u32_e32 v1, vcc, v3, v1, vcc
	global_store_short v[0:1], v5, off
.LBB96_15:
	s_endpgm
	.section	.rodata,"a",@progbits
	.p2align	6, 0x0
	.amdhsa_kernel _ZN2at6native12_GLOBAL__N_135GammaBetaBackwardCUDAKernelTemplateIN3c108BFloat16EfLj64ELj1ELj32ELb1ELb1ELb0EEEvllPKT_S7_PKT0_SA_PS5_SB_
		.amdhsa_group_segment_fixed_size 0
		.amdhsa_private_segment_fixed_size 0
		.amdhsa_kernarg_size 320
		.amdhsa_user_sgpr_count 6
		.amdhsa_user_sgpr_private_segment_buffer 1
		.amdhsa_user_sgpr_dispatch_ptr 0
		.amdhsa_user_sgpr_queue_ptr 0
		.amdhsa_user_sgpr_kernarg_segment_ptr 1
		.amdhsa_user_sgpr_dispatch_id 0
		.amdhsa_user_sgpr_flat_scratch_init 0
		.amdhsa_user_sgpr_kernarg_preload_length 0
		.amdhsa_user_sgpr_kernarg_preload_offset 0
		.amdhsa_user_sgpr_private_segment_size 0
		.amdhsa_uses_dynamic_stack 0
		.amdhsa_system_sgpr_private_segment_wavefront_offset 0
		.amdhsa_system_sgpr_workgroup_id_x 1
		.amdhsa_system_sgpr_workgroup_id_y 1
		.amdhsa_system_sgpr_workgroup_id_z 0
		.amdhsa_system_sgpr_workgroup_info 0
		.amdhsa_system_vgpr_workitem_id 1
		.amdhsa_next_free_vgpr 82
		.amdhsa_next_free_sgpr 40
		.amdhsa_accum_offset 84
		.amdhsa_reserve_vcc 1
		.amdhsa_reserve_flat_scratch 0
		.amdhsa_float_round_mode_32 0
		.amdhsa_float_round_mode_16_64 0
		.amdhsa_float_denorm_mode_32 3
		.amdhsa_float_denorm_mode_16_64 3
		.amdhsa_dx10_clamp 1
		.amdhsa_ieee_mode 1
		.amdhsa_fp16_overflow 0
		.amdhsa_tg_split 0
		.amdhsa_exception_fp_ieee_invalid_op 0
		.amdhsa_exception_fp_denorm_src 0
		.amdhsa_exception_fp_ieee_div_zero 0
		.amdhsa_exception_fp_ieee_overflow 0
		.amdhsa_exception_fp_ieee_underflow 0
		.amdhsa_exception_fp_ieee_inexact 0
		.amdhsa_exception_int_div_zero 0
	.end_amdhsa_kernel
	.section	.text._ZN2at6native12_GLOBAL__N_135GammaBetaBackwardCUDAKernelTemplateIN3c108BFloat16EfLj64ELj1ELj32ELb1ELb1ELb0EEEvllPKT_S7_PKT0_SA_PS5_SB_,"axG",@progbits,_ZN2at6native12_GLOBAL__N_135GammaBetaBackwardCUDAKernelTemplateIN3c108BFloat16EfLj64ELj1ELj32ELb1ELb1ELb0EEEvllPKT_S7_PKT0_SA_PS5_SB_,comdat
.Lfunc_end96:
	.size	_ZN2at6native12_GLOBAL__N_135GammaBetaBackwardCUDAKernelTemplateIN3c108BFloat16EfLj64ELj1ELj32ELb1ELb1ELb0EEEvllPKT_S7_PKT0_SA_PS5_SB_, .Lfunc_end96-_ZN2at6native12_GLOBAL__N_135GammaBetaBackwardCUDAKernelTemplateIN3c108BFloat16EfLj64ELj1ELj32ELb1ELb1ELb0EEEvllPKT_S7_PKT0_SA_PS5_SB_
                                        ; -- End function
	.section	.AMDGPU.csdata,"",@progbits
; Kernel info:
; codeLenInByte = 3896
; NumSgprs: 44
; NumVgprs: 82
; NumAgprs: 0
; TotalNumVgprs: 82
; ScratchSize: 0
; MemoryBound: 0
; FloatMode: 240
; IeeeMode: 1
; LDSByteSize: 0 bytes/workgroup (compile time only)
; SGPRBlocks: 5
; VGPRBlocks: 10
; NumSGPRsForWavesPerEU: 44
; NumVGPRsForWavesPerEU: 82
; AccumOffset: 84
; Occupancy: 5
; WaveLimiterHint : 0
; COMPUTE_PGM_RSRC2:SCRATCH_EN: 0
; COMPUTE_PGM_RSRC2:USER_SGPR: 6
; COMPUTE_PGM_RSRC2:TRAP_HANDLER: 0
; COMPUTE_PGM_RSRC2:TGID_X_EN: 1
; COMPUTE_PGM_RSRC2:TGID_Y_EN: 1
; COMPUTE_PGM_RSRC2:TGID_Z_EN: 0
; COMPUTE_PGM_RSRC2:TIDIG_COMP_CNT: 1
; COMPUTE_PGM_RSRC3_GFX90A:ACCUM_OFFSET: 20
; COMPUTE_PGM_RSRC3_GFX90A:TG_SPLIT: 0
	.section	.text._ZN2at6native12_GLOBAL__N_135GammaBetaBackwardCUDAKernelTemplateIN3c108BFloat16EfLj64ELj1ELj32ELb1ELb0ELb0EEEvllPKT_S7_PKT0_SA_PS5_SB_,"axG",@progbits,_ZN2at6native12_GLOBAL__N_135GammaBetaBackwardCUDAKernelTemplateIN3c108BFloat16EfLj64ELj1ELj32ELb1ELb0ELb0EEEvllPKT_S7_PKT0_SA_PS5_SB_,comdat
	.globl	_ZN2at6native12_GLOBAL__N_135GammaBetaBackwardCUDAKernelTemplateIN3c108BFloat16EfLj64ELj1ELj32ELb1ELb0ELb0EEEvllPKT_S7_PKT0_SA_PS5_SB_ ; -- Begin function _ZN2at6native12_GLOBAL__N_135GammaBetaBackwardCUDAKernelTemplateIN3c108BFloat16EfLj64ELj1ELj32ELb1ELb0ELb0EEEvllPKT_S7_PKT0_SA_PS5_SB_
	.p2align	8
	.type	_ZN2at6native12_GLOBAL__N_135GammaBetaBackwardCUDAKernelTemplateIN3c108BFloat16EfLj64ELj1ELj32ELb1ELb0ELb0EEEvllPKT_S7_PKT0_SA_PS5_SB_,@function
_ZN2at6native12_GLOBAL__N_135GammaBetaBackwardCUDAKernelTemplateIN3c108BFloat16EfLj64ELj1ELj32ELb1ELb0ELb0EEEvllPKT_S7_PKT0_SA_PS5_SB_: ; @_ZN2at6native12_GLOBAL__N_135GammaBetaBackwardCUDAKernelTemplateIN3c108BFloat16EfLj64ELj1ELj32ELb1ELb0ELb0EEEvllPKT_S7_PKT0_SA_PS5_SB_
; %bb.0:
	s_load_dwordx8 s[12:19], s[4:5], 0x0
	s_load_dwordx4 s[20:23], s[4:5], 0x20
	s_mov_b32 s8, s7
	s_lshl_b32 s7, s6, 6
	v_mov_b32_e32 v253, v0
	s_or_b32 s24, s7, 63
	s_mov_b32 s25, 0
	s_waitcnt lgkmcnt(0)
	v_pk_mov_b32 v[0:1], s[14:15], s[14:15] op_sel:[0,1]
	v_cmp_ge_i64_e32 vcc, s[24:25], v[0:1]
	s_lshl_b32 s24, s8, 5
	v_pk_mov_b32 v[0:1], s[12:13], s[12:13] op_sel:[0,1]
	v_cmp_lt_i64_e64 s[0:1], s[24:25], v[0:1]
	v_cndmask_b32_e64 v0, 0, 1, s[0:1]
	v_cmp_ne_u32_e64 s[0:1], 1, v0
	s_cbranch_vccz .LBB97_144
; %bb.1:
	s_mov_b32 s2, s25
	s_mov_b32 s3, s25
	s_and_b64 vcc, exec, s[0:1]
	v_pk_mov_b32 v[138:139], s[2:3], s[2:3] op_sel:[0,1]
	s_cbranch_vccnz .LBB97_145
; %bb.2:
	v_bfe_u32 v0, v253, 10, 10
	v_lshlrev_b32_e32 v2, 5, v0
	v_mov_b32_e32 v1, s25
	v_add_co_u32_e32 v121, vcc, s24, v2
	v_addc_co_u32_e32 v123, vcc, 0, v1, vcc
	v_add_co_u32_e32 v1, vcc, 31, v121
	v_addc_co_u32_e32 v3, vcc, 0, v123, vcc
	v_mul_lo_u32 v6, s15, v1
	v_mul_lo_u32 v3, s14, v3
	v_mad_u64_u32 v[4:5], s[2:3], s14, v1, 0
	v_add3_u32 v5, v5, v3, v6
	v_lshlrev_b64 v[6:7], 1, v[4:5]
	v_mov_b32_e32 v125, s17
	v_add_co_u32_e32 v4, vcc, s16, v6
	v_addc_co_u32_e32 v1, vcc, v125, v7, vcc
	v_mov_b32_e32 v127, s19
	v_add_co_u32_e32 v6, vcc, s18, v6
	v_addc_co_u32_e32 v3, vcc, v127, v7, vcc
	v_add_co_u32_e32 v5, vcc, 30, v121
	v_addc_co_u32_e32 v7, vcc, 0, v123, vcc
	v_mul_lo_u32 v10, s15, v5
	v_mul_lo_u32 v7, s14, v7
	v_mad_u64_u32 v[8:9], s[2:3], s14, v5, 0
	v_add3_u32 v9, v9, v7, v10
	v_lshlrev_b64 v[10:11], 1, v[8:9]
	v_add_co_u32_e32 v8, vcc, s16, v10
	v_addc_co_u32_e32 v5, vcc, v125, v11, vcc
	v_add_co_u32_e32 v10, vcc, s18, v10
	v_addc_co_u32_e32 v7, vcc, v127, v11, vcc
	v_add_co_u32_e32 v9, vcc, 29, v121
	v_addc_co_u32_e32 v11, vcc, 0, v123, vcc
	v_mul_lo_u32 v14, s15, v9
	v_mul_lo_u32 v11, s14, v11
	v_mad_u64_u32 v[12:13], s[2:3], s14, v9, 0
	v_add3_u32 v13, v13, v11, v14
	v_lshlrev_b64 v[14:15], 1, v[12:13]
	v_add_co_u32_e32 v12, vcc, s16, v14
	v_addc_co_u32_e32 v9, vcc, v125, v15, vcc
	;; [unrolled: 11-line block ×29, first 2 shown]
	v_add_co_u32_e32 v122, vcc, s18, v128
	v_addc_co_u32_e32 v119, vcc, v127, v129, vcc
	v_pk_mov_b32 v[128:129], s[14:15], s[14:15] op_sel:[0,1]
	v_mad_u64_u32 v[128:129], s[2:3], s14, v121, v[128:129]
	v_mul_lo_u32 v123, s14, v123
	v_mul_lo_u32 v124, s15, v121
	v_add3_u32 v129, v124, v129, v123
	v_lshlrev_b64 v[128:129], 1, v[128:129]
	v_mad_u64_u32 v[130:131], s[2:3], s14, v121, 0
	s_load_dword s10, s[4:5], 0x44
	v_add3_u32 v131, v131, v123, v124
	v_add_co_u32_e32 v124, vcc, s16, v128
	v_addc_co_u32_e32 v121, vcc, v125, v129, vcc
	v_add_co_u32_e32 v126, vcc, s18, v128
	v_addc_co_u32_e32 v123, vcc, v127, v129, vcc
	v_lshlrev_b64 v[130:131], 1, v[130:131]
	s_add_u32 s26, s4, 64
	v_add_co_u32_e32 v128, vcc, s16, v130
	s_addc_u32 s27, s5, 0
	s_waitcnt lgkmcnt(0)
	s_lshl_b32 s33, s10, 5
	v_mbcnt_lo_u32_b32 v129, -1, 0
	v_addc_co_u32_e32 v125, vcc, v125, v131, vcc
	v_and_b32_e32 v202, 0x3ff, v253
	s_mul_i32 s10, s15, s33
	s_mul_hi_u32 s11, s14, s33
	v_mbcnt_hi_u32_b32 v129, -1, v129
	v_add_co_u32_e32 v130, vcc, s18, v130
	v_add_u32_e32 v132, s7, v202
	v_mov_b32_e32 v133, 0
	s_add_i32 s11, s11, s10
	s_mul_i32 s10, s14, s33
	v_lshlrev_b32_e32 v129, 2, v129
	v_addc_co_u32_e32 v127, vcc, v127, v131, vcc
	s_mov_b32 s9, 0
	v_cmp_gt_i64_e64 s[2:3], s[14:15], v[132:133]
	s_mov_b64 s[28:29], 31
	s_lshl_b64 s[30:31], s[10:11], 1
	v_and_b32_e32 v203, 0x100, v129
	v_mov_b32_e32 v138, 0
	v_mov_b32_e32 v139, v133
	s_mov_b64 s[34:35], s[24:25]
	v_mov_b32_e32 v129, v133
	v_lshlrev_b64 v[136:137], 1, v[132:133]
	s_branch .LBB97_5
.LBB97_3:                               ;   in Loop: Header=BB97_5 Depth=1
	s_or_b64 exec, exec, s[10:11]
	s_waitcnt vmcnt(1)
	ds_bpermute_b32 v135, v203, v199
	ds_bpermute_b32 v207, v203, v199 offset:4
	s_waitcnt vmcnt(0)
	ds_bpermute_b32 v165, v203, v132
	ds_bpermute_b32 v208, v203, v199 offset:8
	ds_bpermute_b32 v206, v203, v132 offset:4
	s_waitcnt lgkmcnt(4)
	v_sub_f32_e32 v135, v141, v135
	s_waitcnt lgkmcnt(3)
	v_sub_f32_e32 v141, v145, v207
	ds_bpermute_b32 v145, v203, v132 offset:8
	v_mul_f32_e32 v135, v134, v135
	s_waitcnt lgkmcnt(3)
	v_mul_f32_e32 v135, v135, v165
	ds_bpermute_b32 v165, v203, v199 offset:12
	s_waitcnt lgkmcnt(3)
	v_sub_f32_e32 v143, v143, v208
	v_mul_f32_e32 v141, v140, v141
	v_mul_f32_e32 v143, v142, v143
	s_waitcnt lgkmcnt(2)
	v_mul_f32_e32 v141, v141, v206
	s_waitcnt lgkmcnt(1)
	v_mul_f32_e32 v143, v143, v145
	ds_bpermute_b32 v145, v203, v132 offset:12
	ds_bpermute_b32 v206, v203, v199 offset:16
	s_waitcnt lgkmcnt(2)
	v_sub_f32_e32 v149, v149, v165
	ds_bpermute_b32 v165, v203, v132 offset:16
	v_mul_f32_e32 v149, v144, v149
	s_waitcnt lgkmcnt(2)
	v_mul_f32_e32 v145, v149, v145
	s_waitcnt lgkmcnt(1)
	v_sub_f32_e32 v147, v147, v206
	ds_bpermute_b32 v149, v203, v199 offset:20
	v_mul_f32_e32 v147, v146, v147
	s_waitcnt lgkmcnt(1)
	v_mul_f32_e32 v147, v147, v165
	ds_bpermute_b32 v165, v203, v132 offset:20
	ds_bpermute_b32 v206, v203, v199 offset:24
	s_waitcnt lgkmcnt(2)
	v_sub_f32_e32 v149, v153, v149
	v_mul_f32_e32 v149, v148, v149
	ds_bpermute_b32 v153, v203, v132 offset:24
	s_waitcnt lgkmcnt(2)
	v_mul_f32_e32 v149, v149, v165
	ds_bpermute_b32 v165, v203, v199 offset:28
	s_waitcnt lgkmcnt(2)
	v_sub_f32_e32 v151, v151, v206
	ds_bpermute_b32 v206, v203, v199 offset:32
	v_mul_f32_e32 v151, v150, v151
	s_waitcnt lgkmcnt(2)
	v_mul_f32_e32 v151, v151, v153
	ds_bpermute_b32 v153, v203, v132 offset:28
	s_waitcnt lgkmcnt(2)
	v_sub_f32_e32 v157, v157, v165
	ds_bpermute_b32 v165, v203, v132 offset:32
	s_waitcnt lgkmcnt(2)
	v_sub_f32_e32 v155, v155, v206
	ds_bpermute_b32 v206, v203, v199 offset:36
	v_mul_f32_e32 v157, v152, v157
	v_mul_f32_e32 v155, v156, v155
	s_waitcnt lgkmcnt(2)
	v_mul_f32_e32 v153, v157, v153
	s_waitcnt lgkmcnt(1)
	v_mul_f32_e32 v157, v155, v165
	ds_bpermute_b32 v155, v203, v132 offset:36
	ds_bpermute_b32 v165, v203, v199 offset:40
	v_pk_add_f32 v[134:135], v[138:139], v[134:135]
	ds_bpermute_b32 v138, v203, v199 offset:44
	s_waitcnt lgkmcnt(3)
	v_sub_f32_e32 v161, v161, v206
	ds_bpermute_b32 v206, v203, v132 offset:40
	ds_bpermute_b32 v139, v203, v132 offset:44
	v_mul_f32_e32 v161, v160, v161
	s_waitcnt lgkmcnt(4)
	v_mul_f32_e32 v161, v161, v155
	s_waitcnt lgkmcnt(3)
	v_sub_f32_e32 v155, v163, v165
	v_pk_add_f32 v[134:135], v[134:135], v[140:141]
	s_waitcnt lgkmcnt(2)
	v_sub_f32_e32 v138, v167, v138
	ds_bpermute_b32 v140, v203, v199 offset:48
	v_mul_f32_e32 v155, v164, v155
	v_mul_f32_e32 v138, v154, v138
	s_waitcnt lgkmcnt(2)
	v_mul_f32_e32 v165, v155, v206
	s_waitcnt lgkmcnt(1)
	v_mul_f32_e32 v155, v138, v139
	ds_bpermute_b32 v138, v203, v132 offset:48
	ds_bpermute_b32 v139, v203, v199 offset:52
	ds_bpermute_b32 v141, v203, v132 offset:52
	s_waitcnt lgkmcnt(3)
	v_sub_f32_e32 v140, v159, v140
	v_mul_f32_e32 v140, v158, v140
	s_waitcnt lgkmcnt(2)
	v_mul_f32_e32 v159, v140, v138
	s_waitcnt lgkmcnt(1)
	v_sub_f32_e32 v138, v171, v139
	ds_bpermute_b32 v139, v203, v199 offset:56
	v_mul_f32_e32 v138, v162, v138
	s_waitcnt lgkmcnt(1)
	v_mul_f32_e32 v163, v138, v141
	ds_bpermute_b32 v138, v203, v132 offset:56
	ds_bpermute_b32 v140, v203, v199 offset:60
	ds_bpermute_b32 v141, v203, v132 offset:60
	s_waitcnt lgkmcnt(3)
	v_sub_f32_e32 v139, v169, v139
	v_mul_f32_e32 v139, v166, v139
	s_waitcnt lgkmcnt(2)
	v_mul_f32_e32 v167, v139, v138
	s_waitcnt lgkmcnt(1)
	v_sub_f32_e32 v138, v175, v140
	ds_bpermute_b32 v139, v203, v199 offset:64
	;; [unrolled: 14-line block ×4, first 2 shown]
	v_mul_f32_e32 v138, v176, v138
	s_waitcnt lgkmcnt(1)
	v_mul_f32_e32 v177, v138, v141
	ds_bpermute_b32 v138, v203, v132 offset:80
	ds_bpermute_b32 v140, v203, v199 offset:84
	;; [unrolled: 1-line block ×3, first 2 shown]
	s_waitcnt lgkmcnt(3)
	v_sub_f32_e32 v139, v181, v139
	v_mul_f32_e32 v139, v180, v139
	s_waitcnt lgkmcnt(2)
	v_mul_f32_e32 v181, v139, v138
	s_waitcnt lgkmcnt(1)
	v_sub_f32_e32 v138, v189, v140
	v_mul_f32_e32 v138, v184, v138
	s_waitcnt lgkmcnt(0)
	v_mul_f32_e32 v185, v138, v141
	ds_bpermute_b32 v138, v203, v199 offset:88
	ds_bpermute_b32 v139, v203, v132 offset:88
	;; [unrolled: 1-line block ×4, first 2 shown]
	v_pk_add_f32 v[134:135], v[134:135], v[142:143]
	s_waitcnt lgkmcnt(3)
	v_sub_f32_e32 v138, v183, v138
	v_mul_f32_e32 v138, v178, v138
	s_waitcnt lgkmcnt(2)
	v_mul_f32_e32 v179, v138, v139
	s_waitcnt lgkmcnt(1)
	v_sub_f32_e32 v138, v191, v140
	ds_bpermute_b32 v139, v203, v199 offset:96
	v_mul_f32_e32 v138, v182, v138
	s_waitcnt lgkmcnt(1)
	v_mul_f32_e32 v183, v138, v141
	ds_bpermute_b32 v138, v203, v132 offset:96
	ds_bpermute_b32 v140, v203, v199 offset:100
	v_pk_add_f32 v[134:135], v[134:135], v[144:145]
	ds_bpermute_b32 v141, v203, v132 offset:100
	v_pk_add_f32 v[134:135], v[134:135], v[146:147]
	s_waitcnt lgkmcnt(3)
	v_sub_f32_e32 v139, v187, v139
	v_pk_add_f32 v[134:135], v[134:135], v[148:149]
	v_mul_f32_e32 v139, v186, v139
	v_pk_add_f32 v[134:135], v[134:135], v[150:151]
	s_waitcnt lgkmcnt(2)
	v_mul_f32_e32 v187, v139, v138
	s_waitcnt lgkmcnt(1)
	v_sub_f32_e32 v138, v195, v140
	ds_bpermute_b32 v139, v203, v199 offset:104
	v_pk_add_f32 v[134:135], v[134:135], v[152:153]
	v_mul_f32_e32 v138, v188, v138
	v_pk_add_f32 v[134:135], v[134:135], v[156:157]
	s_waitcnt lgkmcnt(1)
	v_mul_f32_e32 v189, v138, v141
	ds_bpermute_b32 v138, v203, v132 offset:104
	ds_bpermute_b32 v140, v203, v199 offset:108
	v_pk_add_f32 v[134:135], v[134:135], v[160:161]
	v_pk_add_f32 v[134:135], v[134:135], v[164:165]
	ds_bpermute_b32 v141, v203, v132 offset:108
	v_pk_add_f32 v[134:135], v[134:135], v[154:155]
	s_waitcnt lgkmcnt(3)
	v_sub_f32_e32 v139, v193, v139
	v_pk_add_f32 v[134:135], v[134:135], v[158:159]
	v_mul_f32_e32 v139, v190, v139
	v_pk_add_f32 v[134:135], v[134:135], v[162:163]
	s_waitcnt lgkmcnt(2)
	v_mul_f32_e32 v191, v139, v138
	s_waitcnt lgkmcnt(1)
	v_sub_f32_e32 v138, v201, v140
	ds_bpermute_b32 v139, v203, v199 offset:112
	v_pk_add_f32 v[134:135], v[134:135], v[166:167]
	v_mul_f32_e32 v138, v192, v138
	v_pk_add_f32 v[134:135], v[134:135], v[168:169]
	s_waitcnt lgkmcnt(1)
	v_mul_f32_e32 v193, v138, v141
	ds_bpermute_b32 v138, v203, v132 offset:112
	ds_bpermute_b32 v140, v203, v199 offset:116
	v_pk_add_f32 v[134:135], v[134:135], v[170:171]
	v_pk_add_f32 v[134:135], v[134:135], v[172:173]
	ds_bpermute_b32 v141, v203, v132 offset:116
	v_pk_add_f32 v[134:135], v[134:135], v[174:175]
	s_waitcnt lgkmcnt(3)
	v_sub_f32_e32 v139, v197, v139
	v_pk_add_f32 v[134:135], v[134:135], v[176:177]
	v_mul_f32_e32 v139, v194, v139
	v_pk_add_f32 v[134:135], v[134:135], v[180:181]
	s_waitcnt lgkmcnt(2)
	v_mul_f32_e32 v195, v139, v138
	s_waitcnt lgkmcnt(1)
	v_sub_f32_e32 v138, v205, v140
	v_pk_add_f32 v[134:135], v[134:135], v[184:185]
	v_mul_f32_e32 v138, v196, v138
	s_waitcnt lgkmcnt(0)
	v_mul_f32_e32 v197, v138, v141
	v_pk_add_f32 v[134:135], v[134:135], v[178:179]
	ds_bpermute_b32 v138, v203, v199 offset:120
	v_pk_add_f32 v[134:135], v[134:135], v[182:183]
	v_pk_add_f32 v[134:135], v[134:135], v[186:187]
	ds_bpermute_b32 v139, v203, v132 offset:120
	v_pk_add_f32 v[134:135], v[134:135], v[188:189]
	v_pk_add_f32 v[134:135], v[134:135], v[190:191]
	;; [unrolled: 1-line block ×3, first 2 shown]
	s_waitcnt lgkmcnt(1)
	v_sub_f32_e32 v138, v200, v138
	v_pk_add_f32 v[134:135], v[134:135], v[194:195]
	v_mul_f32_e32 v138, v198, v138
	v_pk_add_f32 v[134:135], v[134:135], v[196:197]
	ds_bpermute_b32 v142, v203, v199 offset:124
	s_waitcnt lgkmcnt(1)
	v_mul_f32_e32 v199, v138, v139
	ds_bpermute_b32 v132, v203, v132 offset:124
	v_pk_add_f32 v[140:141], v[134:135], v[198:199]
.LBB97_4:                               ;   in Loop: Header=BB97_5 Depth=1
	s_waitcnt lgkmcnt(0)
	v_sub_f32_e32 v134, v204, v142
	v_mul_f32_e32 v134, v131, v134
	v_mul_f32_e32 v135, v134, v132
	v_mov_b32_e32 v134, v131
	v_mov_b32_e32 v131, s9
	v_add_co_u32_e64 v2, s[10:11], s33, v2
	v_addc_co_u32_e64 v129, s[10:11], v129, v131, s[10:11]
	v_mov_b32_e32 v131, s31
	v_add_co_u32_e64 v4, s[10:11], s30, v4
	v_addc_co_u32_e64 v1, s[10:11], v1, v131, s[10:11]
	v_add_co_u32_e64 v6, s[10:11], s30, v6
	v_addc_co_u32_e64 v3, s[10:11], v3, v131, s[10:11]
	;; [unrolled: 2-line block ×62, first 2 shown]
	s_add_u32 s34, s34, s33
	v_add_co_u32_e64 v128, s[10:11], s30, v128
	v_pk_add_f32 v[138:139], v[140:141], v[134:135]
	s_addc_u32 s35, s35, 0
	v_pk_mov_b32 v[134:135], s[12:13], s[12:13] op_sel:[0,1]
	v_addc_co_u32_e64 v125, s[10:11], v125, v131, s[10:11]
	v_cmp_lt_i64_e32 vcc, s[34:35], v[134:135]
	v_add_co_u32_e64 v130, s[10:11], s30, v130
	s_add_u32 s28, s28, s33
	v_addc_co_u32_e64 v127, s[10:11], v127, v131, s[10:11]
	s_addc_u32 s29, s29, 0
	s_cbranch_vccz .LBB97_145
.LBB97_5:                               ; =>This Inner Loop Header: Depth=1
	s_add_u32 s10, s24, s28
	s_addc_u32 s11, 0, s29
	v_pk_mov_b32 v[134:135], s[12:13], s[12:13] op_sel:[0,1]
	v_cmp_ge_i64_e32 vcc, s[10:11], v[134:135]
	v_mov_b32_e32 v131, s25
	v_add_co_u32_e64 v134, s[10:11], s24, v2
	v_addc_co_u32_e64 v135, s[10:11], v131, v129, s[10:11]
	s_cbranch_vccz .LBB97_75
; %bb.6:                                ;   in Loop: Header=BB97_5 Depth=1
	s_load_dword s10, s[26:27], 0xc
	v_mov_b32_e32 v143, 0
	v_mov_b32_e32 v132, 0
	;; [unrolled: 1-line block ×3, first 2 shown]
	s_waitcnt lgkmcnt(0)
	s_and_b32 s10, s10, 0xffff
	v_mad_u32_u24 v131, v0, s10, v202
	v_and_b32_e32 v131, 63, v131
	v_cmp_gt_u32_e32 vcc, 32, v131
	s_and_saveexec_b64 s[10:11], vcc
	s_cbranch_execz .LBB97_10
; %bb.7:                                ;   in Loop: Header=BB97_5 Depth=1
	v_add_co_u32_e32 v140, vcc, v134, v131
	v_addc_co_u32_e32 v141, vcc, 0, v135, vcc
	v_cmp_gt_i64_e32 vcc, s[12:13], v[140:141]
	v_mov_b32_e32 v201, 0
	v_mov_b32_e32 v132, 0
	s_and_saveexec_b64 s[36:37], vcc
	s_cbranch_execz .LBB97_9
; %bb.8:                                ;   in Loop: Header=BB97_5 Depth=1
	v_lshlrev_b64 v[140:141], 2, v[140:141]
	v_mov_b32_e32 v131, s23
	v_add_co_u32_e32 v144, vcc, s22, v140
	v_addc_co_u32_e32 v145, vcc, v131, v141, vcc
	v_mov_b32_e32 v131, s21
	v_add_co_u32_e32 v140, vcc, s20, v140
	v_addc_co_u32_e32 v141, vcc, v131, v141, vcc
	global_load_dword v201, v[140:141], off
	global_load_dword v132, v[144:145], off
.LBB97_9:                               ;   in Loop: Header=BB97_5 Depth=1
	s_or_b64 exec, exec, s[36:37]
.LBB97_10:                              ;   in Loop: Header=BB97_5 Depth=1
	s_or_b64 exec, exec, s[10:11]
	v_cmp_gt_i64_e32 vcc, s[12:13], v[134:135]
	s_and_b64 s[36:37], s[2:3], vcc
	v_mov_b32_e32 v140, 0
	s_and_saveexec_b64 s[10:11], s[36:37]
	s_cbranch_execz .LBB97_12
; %bb.11:                               ;   in Loop: Header=BB97_5 Depth=1
	v_add_co_u32_e32 v140, vcc, v128, v136
	v_addc_co_u32_e32 v141, vcc, v125, v137, vcc
	v_add_co_u32_e32 v142, vcc, v130, v136
	v_addc_co_u32_e32 v143, vcc, v127, v137, vcc
	global_load_ushort v131, v[142:143], off
	s_nop 0
	global_load_ushort v140, v[140:141], off
	s_waitcnt vmcnt(1)
	v_lshlrev_b32_e32 v143, 16, v131
	s_waitcnt vmcnt(0)
	v_lshlrev_b32_e32 v140, 16, v140
.LBB97_12:                              ;   in Loop: Header=BB97_5 Depth=1
	s_or_b64 exec, exec, s[10:11]
	v_add_co_u32_e32 v144, vcc, 1, v134
	v_addc_co_u32_e32 v145, vcc, 0, v135, vcc
	v_cmp_gt_i64_e32 vcc, s[12:13], v[144:145]
	s_and_b64 s[36:37], s[2:3], vcc
	v_mov_b32_e32 v145, 0
	v_mov_b32_e32 v147, 0
	v_mov_b32_e32 v142, 0
	s_and_saveexec_b64 s[10:11], s[36:37]
	s_cbranch_execz .LBB97_14
; %bb.13:                               ;   in Loop: Header=BB97_5 Depth=1
	v_add_co_u32_e32 v146, vcc, v124, v136
	v_addc_co_u32_e32 v147, vcc, v121, v137, vcc
	v_add_co_u32_e32 v148, vcc, v126, v136
	v_addc_co_u32_e32 v149, vcc, v123, v137, vcc
	global_load_ushort v131, v[148:149], off
	global_load_ushort v141, v[146:147], off
	s_waitcnt vmcnt(1)
	v_lshlrev_b32_e32 v147, 16, v131
	s_waitcnt vmcnt(0)
	v_lshlrev_b32_e32 v142, 16, v141
.LBB97_14:                              ;   in Loop: Header=BB97_5 Depth=1
	s_or_b64 exec, exec, s[10:11]
	v_add_co_u32_e32 v148, vcc, 2, v134
	v_addc_co_u32_e32 v149, vcc, 0, v135, vcc
	v_cmp_gt_i64_e32 vcc, s[12:13], v[148:149]
	s_and_b64 s[36:37], s[2:3], vcc
	v_mov_b32_e32 v144, 0
	s_and_saveexec_b64 s[10:11], s[36:37]
	s_cbranch_execz .LBB97_16
; %bb.15:                               ;   in Loop: Header=BB97_5 Depth=1
	v_add_co_u32_e32 v144, vcc, v120, v136
	v_addc_co_u32_e32 v145, vcc, v117, v137, vcc
	v_add_co_u32_e32 v148, vcc, v122, v136
	v_addc_co_u32_e32 v149, vcc, v119, v137, vcc
	global_load_ushort v131, v[148:149], off
	global_load_ushort v141, v[144:145], off
	s_waitcnt vmcnt(1)
	v_lshlrev_b32_e32 v145, 16, v131
	s_waitcnt vmcnt(0)
	v_lshlrev_b32_e32 v144, 16, v141
.LBB97_16:                              ;   in Loop: Header=BB97_5 Depth=1
	s_or_b64 exec, exec, s[10:11]
	v_add_co_u32_e32 v148, vcc, 3, v134
	v_addc_co_u32_e32 v149, vcc, 0, v135, vcc
	v_cmp_gt_i64_e32 vcc, s[12:13], v[148:149]
	s_and_b64 s[36:37], s[2:3], vcc
	v_mov_b32_e32 v149, 0
	v_mov_b32_e32 v151, 0
	v_mov_b32_e32 v146, 0
	s_and_saveexec_b64 s[10:11], s[36:37]
	s_cbranch_execz .LBB97_18
; %bb.17:                               ;   in Loop: Header=BB97_5 Depth=1
	v_add_co_u32_e32 v150, vcc, v116, v136
	v_addc_co_u32_e32 v151, vcc, v113, v137, vcc
	v_add_co_u32_e32 v152, vcc, v118, v136
	v_addc_co_u32_e32 v153, vcc, v115, v137, vcc
	global_load_ushort v131, v[152:153], off
	global_load_ushort v141, v[150:151], off
	s_waitcnt vmcnt(1)
	v_lshlrev_b32_e32 v151, 16, v131
	s_waitcnt vmcnt(0)
	v_lshlrev_b32_e32 v146, 16, v141
.LBB97_18:                              ;   in Loop: Header=BB97_5 Depth=1
	s_or_b64 exec, exec, s[10:11]
	v_add_co_u32_e32 v152, vcc, 4, v134
	v_addc_co_u32_e32 v153, vcc, 0, v135, vcc
	v_cmp_gt_i64_e32 vcc, s[12:13], v[152:153]
	s_and_b64 s[36:37], s[2:3], vcc
	v_mov_b32_e32 v148, 0
	s_and_saveexec_b64 s[10:11], s[36:37]
	s_cbranch_execz .LBB97_20
; %bb.19:                               ;   in Loop: Header=BB97_5 Depth=1
	v_add_co_u32_e32 v148, vcc, v112, v136
	v_addc_co_u32_e32 v149, vcc, v109, v137, vcc
	v_add_co_u32_e32 v152, vcc, v114, v136
	v_addc_co_u32_e32 v153, vcc, v111, v137, vcc
	global_load_ushort v131, v[152:153], off
	global_load_ushort v141, v[148:149], off
	s_waitcnt vmcnt(1)
	v_lshlrev_b32_e32 v149, 16, v131
	s_waitcnt vmcnt(0)
	v_lshlrev_b32_e32 v148, 16, v141
.LBB97_20:                              ;   in Loop: Header=BB97_5 Depth=1
	;; [unrolled: 42-line block ×15, first 2 shown]
	s_or_b64 exec, exec, s[10:11]
	v_add_co_u32_e32 v208, vcc, 31, v134
	v_addc_co_u32_e32 v209, vcc, 0, v135, vcc
	v_cmp_gt_i64_e32 vcc, s[12:13], v[208:209]
	s_and_b64 s[36:37], s[2:3], vcc
	v_mov_b32_e32 v204, 0
	v_mov_b32_e32 v131, 0
	s_and_saveexec_b64 s[10:11], s[36:37]
	s_cbranch_execz .LBB97_74
; %bb.73:                               ;   in Loop: Header=BB97_5 Depth=1
	v_add_co_u32_e32 v208, vcc, v4, v136
	v_addc_co_u32_e32 v209, vcc, v1, v137, vcc
	v_add_co_u32_e32 v210, vcc, v6, v136
	v_addc_co_u32_e32 v211, vcc, v3, v137, vcc
	global_load_ushort v131, v[210:211], off
	global_load_ushort v141, v[208:209], off
	s_waitcnt vmcnt(1)
	v_lshlrev_b32_e32 v204, 16, v131
	s_waitcnt vmcnt(0)
	v_lshlrev_b32_e32 v131, 16, v141
.LBB97_74:                              ;   in Loop: Header=BB97_5 Depth=1
	s_or_b64 exec, exec, s[10:11]
	s_waitcnt vmcnt(1)
	ds_bpermute_b32 v141, v203, v201
	ds_bpermute_b32 v209, v203, v201 offset:4
	s_waitcnt vmcnt(0)
	ds_bpermute_b32 v165, v203, v132
	ds_bpermute_b32 v210, v203, v201 offset:8
	ds_bpermute_b32 v208, v203, v132 offset:4
	s_waitcnt lgkmcnt(4)
	v_sub_f32_e32 v141, v143, v141
	s_waitcnt lgkmcnt(3)
	v_sub_f32_e32 v143, v147, v209
	ds_bpermute_b32 v147, v203, v132 offset:8
	v_mul_f32_e32 v141, v140, v141
	s_waitcnt lgkmcnt(3)
	v_mul_f32_e32 v141, v141, v165
	ds_bpermute_b32 v165, v203, v201 offset:12
	s_waitcnt lgkmcnt(3)
	v_sub_f32_e32 v145, v145, v210
	v_mul_f32_e32 v143, v142, v143
	v_mul_f32_e32 v145, v144, v145
	s_waitcnt lgkmcnt(2)
	v_mul_f32_e32 v143, v143, v208
	s_waitcnt lgkmcnt(1)
	v_mul_f32_e32 v145, v145, v147
	ds_bpermute_b32 v147, v203, v132 offset:12
	ds_bpermute_b32 v208, v203, v201 offset:16
	s_waitcnt lgkmcnt(2)
	v_sub_f32_e32 v151, v151, v165
	ds_bpermute_b32 v165, v203, v132 offset:16
	v_mul_f32_e32 v151, v146, v151
	s_waitcnt lgkmcnt(2)
	v_mul_f32_e32 v147, v151, v147
	s_waitcnt lgkmcnt(1)
	v_sub_f32_e32 v149, v149, v208
	ds_bpermute_b32 v151, v203, v201 offset:20
	v_mul_f32_e32 v149, v148, v149
	s_waitcnt lgkmcnt(1)
	v_mul_f32_e32 v149, v149, v165
	ds_bpermute_b32 v165, v203, v132 offset:20
	ds_bpermute_b32 v208, v203, v201 offset:24
	s_waitcnt lgkmcnt(2)
	v_sub_f32_e32 v151, v155, v151
	ds_bpermute_b32 v155, v203, v132 offset:24
	v_mul_f32_e32 v151, v150, v151
	s_waitcnt lgkmcnt(2)
	v_mul_f32_e32 v151, v151, v165
	ds_bpermute_b32 v165, v203, v201 offset:28
	s_waitcnt lgkmcnt(2)
	v_sub_f32_e32 v153, v153, v208
	v_mul_f32_e32 v153, v152, v153
	s_waitcnt lgkmcnt(1)
	v_mul_f32_e32 v153, v153, v155
	ds_bpermute_b32 v155, v203, v132 offset:28
	ds_bpermute_b32 v208, v203, v201 offset:32
	s_waitcnt lgkmcnt(2)
	v_sub_f32_e32 v159, v159, v165
	ds_bpermute_b32 v165, v203, v132 offset:32
	v_mul_f32_e32 v159, v154, v159
	s_waitcnt lgkmcnt(2)
	v_mul_f32_e32 v155, v159, v155
	s_waitcnt lgkmcnt(1)
	v_sub_f32_e32 v157, v157, v208
	ds_bpermute_b32 v159, v203, v201 offset:36
	v_mul_f32_e32 v157, v156, v157
	v_pk_add_f32 v[140:141], v[138:139], v[140:141]
	s_waitcnt lgkmcnt(1)
	v_mul_f32_e32 v157, v157, v165
	ds_bpermute_b32 v165, v203, v132 offset:36
	ds_bpermute_b32 v208, v203, v201 offset:40
	v_pk_add_f32 v[140:141], v[140:141], v[142:143]
	ds_bpermute_b32 v142, v203, v201 offset:44
	ds_bpermute_b32 v209, v203, v132 offset:40
	;; [unrolled: 1-line block ×3, first 2 shown]
	s_waitcnt lgkmcnt(5)
	v_sub_f32_e32 v159, v161, v159
	v_mul_f32_e32 v159, v160, v159
	s_waitcnt lgkmcnt(4)
	v_mul_f32_e32 v161, v159, v165
	s_waitcnt lgkmcnt(3)
	v_sub_f32_e32 v159, v163, v208
	v_pk_add_f32 v[140:141], v[140:141], v[144:145]
	s_waitcnt lgkmcnt(2)
	v_sub_f32_e32 v142, v169, v142
	ds_bpermute_b32 v144, v203, v201 offset:48
	v_mul_f32_e32 v159, v164, v159
	v_mul_f32_e32 v142, v158, v142
	s_waitcnt lgkmcnt(2)
	v_mul_f32_e32 v165, v159, v209
	s_waitcnt lgkmcnt(1)
	v_mul_f32_e32 v159, v142, v143
	ds_bpermute_b32 v142, v203, v132 offset:48
	ds_bpermute_b32 v143, v203, v201 offset:52
	ds_bpermute_b32 v145, v203, v132 offset:52
	s_waitcnt lgkmcnt(3)
	v_sub_f32_e32 v144, v167, v144
	v_mul_f32_e32 v144, v162, v144
	s_waitcnt lgkmcnt(2)
	v_mul_f32_e32 v163, v144, v142
	s_waitcnt lgkmcnt(1)
	v_sub_f32_e32 v142, v173, v143
	ds_bpermute_b32 v143, v203, v201 offset:56
	v_mul_f32_e32 v142, v166, v142
	s_waitcnt lgkmcnt(1)
	v_mul_f32_e32 v167, v142, v145
	ds_bpermute_b32 v142, v203, v132 offset:56
	ds_bpermute_b32 v144, v203, v201 offset:60
	ds_bpermute_b32 v145, v203, v132 offset:60
	s_waitcnt lgkmcnt(3)
	v_sub_f32_e32 v143, v171, v143
	v_mul_f32_e32 v143, v168, v143
	s_waitcnt lgkmcnt(2)
	v_mul_f32_e32 v169, v143, v142
	s_waitcnt lgkmcnt(1)
	v_sub_f32_e32 v142, v177, v144
	ds_bpermute_b32 v143, v203, v201 offset:64
	;; [unrolled: 14-line block ×4, first 2 shown]
	v_mul_f32_e32 v142, v178, v142
	s_waitcnt lgkmcnt(1)
	v_mul_f32_e32 v179, v142, v145
	ds_bpermute_b32 v142, v203, v132 offset:80
	ds_bpermute_b32 v144, v203, v201 offset:84
	;; [unrolled: 1-line block ×3, first 2 shown]
	s_waitcnt lgkmcnt(3)
	v_sub_f32_e32 v143, v183, v143
	v_mul_f32_e32 v143, v182, v143
	s_waitcnt lgkmcnt(2)
	v_mul_f32_e32 v183, v143, v142
	s_waitcnt lgkmcnt(1)
	v_sub_f32_e32 v142, v187, v144
	v_mul_f32_e32 v142, v186, v142
	s_waitcnt lgkmcnt(0)
	v_mul_f32_e32 v187, v142, v145
	ds_bpermute_b32 v142, v203, v201 offset:88
	ds_bpermute_b32 v143, v203, v132 offset:88
	;; [unrolled: 1-line block ×4, first 2 shown]
	v_pk_add_f32 v[140:141], v[140:141], v[146:147]
	s_waitcnt lgkmcnt(3)
	v_sub_f32_e32 v142, v189, v142
	v_mul_f32_e32 v142, v180, v142
	s_waitcnt lgkmcnt(2)
	v_mul_f32_e32 v181, v142, v143
	s_waitcnt lgkmcnt(1)
	v_sub_f32_e32 v142, v193, v144
	ds_bpermute_b32 v143, v203, v201 offset:96
	v_mul_f32_e32 v142, v184, v142
	s_waitcnt lgkmcnt(1)
	v_mul_f32_e32 v185, v142, v145
	ds_bpermute_b32 v142, v203, v132 offset:96
	ds_bpermute_b32 v144, v203, v201 offset:100
	;; [unrolled: 1-line block ×3, first 2 shown]
	s_waitcnt lgkmcnt(3)
	v_sub_f32_e32 v143, v191, v143
	v_pk_add_f32 v[140:141], v[140:141], v[148:149]
	v_mul_f32_e32 v143, v188, v143
	v_pk_add_f32 v[140:141], v[140:141], v[150:151]
	s_waitcnt lgkmcnt(2)
	v_mul_f32_e32 v189, v143, v142
	s_waitcnt lgkmcnt(1)
	v_sub_f32_e32 v142, v197, v144
	ds_bpermute_b32 v143, v203, v201 offset:104
	v_pk_add_f32 v[140:141], v[140:141], v[152:153]
	v_mul_f32_e32 v142, v190, v142
	v_pk_add_f32 v[140:141], v[140:141], v[154:155]
	s_waitcnt lgkmcnt(1)
	v_mul_f32_e32 v191, v142, v145
	ds_bpermute_b32 v142, v203, v132 offset:104
	ds_bpermute_b32 v144, v203, v201 offset:108
	v_pk_add_f32 v[140:141], v[140:141], v[156:157]
	v_pk_add_f32 v[140:141], v[140:141], v[160:161]
	ds_bpermute_b32 v145, v203, v132 offset:108
	v_pk_add_f32 v[140:141], v[140:141], v[164:165]
	s_waitcnt lgkmcnt(3)
	v_sub_f32_e32 v143, v195, v143
	v_pk_add_f32 v[140:141], v[140:141], v[158:159]
	v_mul_f32_e32 v143, v192, v143
	v_pk_add_f32 v[140:141], v[140:141], v[162:163]
	s_waitcnt lgkmcnt(2)
	v_mul_f32_e32 v193, v143, v142
	s_waitcnt lgkmcnt(1)
	v_sub_f32_e32 v142, v205, v144
	ds_bpermute_b32 v143, v203, v201 offset:112
	v_pk_add_f32 v[140:141], v[140:141], v[166:167]
	v_mul_f32_e32 v142, v194, v142
	v_pk_add_f32 v[140:141], v[140:141], v[168:169]
	s_waitcnt lgkmcnt(1)
	v_mul_f32_e32 v195, v142, v145
	ds_bpermute_b32 v142, v203, v132 offset:112
	ds_bpermute_b32 v144, v203, v201 offset:116
	v_pk_add_f32 v[140:141], v[140:141], v[170:171]
	v_pk_add_f32 v[140:141], v[140:141], v[172:173]
	ds_bpermute_b32 v145, v203, v132 offset:116
	v_pk_add_f32 v[140:141], v[140:141], v[174:175]
	s_waitcnt lgkmcnt(3)
	v_sub_f32_e32 v143, v199, v143
	v_pk_add_f32 v[140:141], v[140:141], v[176:177]
	v_mul_f32_e32 v143, v196, v143
	v_pk_add_f32 v[140:141], v[140:141], v[178:179]
	s_waitcnt lgkmcnt(2)
	v_mul_f32_e32 v197, v143, v142
	s_waitcnt lgkmcnt(1)
	v_sub_f32_e32 v142, v207, v144
	v_pk_add_f32 v[140:141], v[140:141], v[182:183]
	v_mul_f32_e32 v142, v198, v142
	v_pk_add_f32 v[140:141], v[140:141], v[186:187]
	s_waitcnt lgkmcnt(0)
	v_mul_f32_e32 v199, v142, v145
	ds_bpermute_b32 v142, v203, v201 offset:120
	v_pk_add_f32 v[140:141], v[140:141], v[180:181]
	v_pk_add_f32 v[140:141], v[140:141], v[184:185]
	;; [unrolled: 1-line block ×3, first 2 shown]
	ds_bpermute_b32 v143, v203, v132 offset:120
	v_pk_add_f32 v[140:141], v[140:141], v[190:191]
	v_pk_add_f32 v[140:141], v[140:141], v[192:193]
	s_waitcnt lgkmcnt(1)
	v_sub_f32_e32 v144, v206, v142
	ds_bpermute_b32 v132, v203, v132 offset:124
	ds_bpermute_b32 v142, v203, v201 offset:124
	v_pk_add_f32 v[140:141], v[140:141], v[194:195]
	v_pk_add_f32 v[140:141], v[140:141], v[196:197]
	v_mul_f32_e32 v144, v200, v144
	v_pk_add_f32 v[140:141], v[140:141], v[198:199]
	s_waitcnt lgkmcnt(2)
	v_mul_f32_e32 v201, v144, v143
	v_pk_add_f32 v[140:141], v[140:141], v[200:201]
	s_branch .LBB97_4
.LBB97_75:                              ;   in Loop: Header=BB97_5 Depth=1
                                        ; implicit-def: $vgpr131
                                        ; implicit-def: $vgpr204
                                        ; implicit-def: $vgpr140_vgpr141
                                        ; implicit-def: $vgpr132
                                        ; implicit-def: $vgpr142
	s_cbranch_execz .LBB97_4
; %bb.76:                               ;   in Loop: Header=BB97_5 Depth=1
	s_load_dword s10, s[26:27], 0x0
	v_mov_b32_e32 v141, 0
	s_waitcnt lgkmcnt(0)
	v_mov_b32_e32 v132, 0
	v_mov_b32_e32 v199, 0
	s_cmp_lt_u32 s6, s10
	s_cselect_b32 s10, 12, 18
	s_add_u32 s10, s26, s10
	s_addc_u32 s11, s27, 0
	global_load_ushort v131, v133, s[10:11]
	s_waitcnt vmcnt(0)
	v_mad_u32_u24 v131, v0, v131, v202
	v_and_b32_e32 v131, 63, v131
	v_cmp_gt_u32_e32 vcc, 32, v131
	s_and_saveexec_b64 s[10:11], vcc
	s_cbranch_execz .LBB97_80
; %bb.77:                               ;   in Loop: Header=BB97_5 Depth=1
	v_add_co_u32_e32 v134, vcc, v134, v131
	v_addc_co_u32_e32 v135, vcc, 0, v135, vcc
	v_cmp_gt_i64_e32 vcc, s[12:13], v[134:135]
	v_mov_b32_e32 v199, 0
	v_mov_b32_e32 v132, 0
	s_and_saveexec_b64 s[36:37], vcc
	s_cbranch_execz .LBB97_79
; %bb.78:                               ;   in Loop: Header=BB97_5 Depth=1
	v_lshlrev_b64 v[134:135], 2, v[134:135]
	v_mov_b32_e32 v131, s23
	v_add_co_u32_e32 v142, vcc, s22, v134
	v_addc_co_u32_e32 v143, vcc, v131, v135, vcc
	v_mov_b32_e32 v131, s21
	v_add_co_u32_e32 v134, vcc, s20, v134
	v_addc_co_u32_e32 v135, vcc, v131, v135, vcc
	global_load_dword v199, v[134:135], off
	global_load_dword v132, v[142:143], off
.LBB97_79:                              ;   in Loop: Header=BB97_5 Depth=1
	s_or_b64 exec, exec, s[36:37]
.LBB97_80:                              ;   in Loop: Header=BB97_5 Depth=1
	s_or_b64 exec, exec, s[10:11]
	v_mov_b32_e32 v134, 0
	s_and_saveexec_b64 s[10:11], s[2:3]
	s_cbranch_execz .LBB97_82
; %bb.81:                               ;   in Loop: Header=BB97_5 Depth=1
	v_add_co_u32_e32 v134, vcc, v128, v136
	v_addc_co_u32_e32 v135, vcc, v125, v137, vcc
	v_add_co_u32_e32 v140, vcc, v130, v136
	v_addc_co_u32_e32 v141, vcc, v127, v137, vcc
	global_load_ushort v131, v[140:141], off
	s_nop 0
	global_load_ushort v134, v[134:135], off
	s_waitcnt vmcnt(1)
	v_lshlrev_b32_e32 v141, 16, v131
	s_waitcnt vmcnt(0)
	v_lshlrev_b32_e32 v134, 16, v134
.LBB97_82:                              ;   in Loop: Header=BB97_5 Depth=1
	s_or_b64 exec, exec, s[10:11]
	v_mov_b32_e32 v143, 0
	v_mov_b32_e32 v145, 0
	v_mov_b32_e32 v140, 0
	s_and_saveexec_b64 s[10:11], s[2:3]
	s_cbranch_execz .LBB97_84
; %bb.83:                               ;   in Loop: Header=BB97_5 Depth=1
	v_add_co_u32_e32 v144, vcc, v124, v136
	v_addc_co_u32_e32 v145, vcc, v121, v137, vcc
	v_add_co_u32_e32 v146, vcc, v126, v136
	v_addc_co_u32_e32 v147, vcc, v123, v137, vcc
	global_load_ushort v131, v[146:147], off
	global_load_ushort v135, v[144:145], off
	s_waitcnt vmcnt(1)
	v_lshlrev_b32_e32 v145, 16, v131
	s_waitcnt vmcnt(0)
	v_lshlrev_b32_e32 v140, 16, v135
.LBB97_84:                              ;   in Loop: Header=BB97_5 Depth=1
	s_or_b64 exec, exec, s[10:11]
	v_mov_b32_e32 v142, 0
	s_and_saveexec_b64 s[10:11], s[2:3]
	s_cbranch_execz .LBB97_86
; %bb.85:                               ;   in Loop: Header=BB97_5 Depth=1
	v_add_co_u32_e32 v142, vcc, v120, v136
	v_addc_co_u32_e32 v143, vcc, v117, v137, vcc
	v_add_co_u32_e32 v146, vcc, v122, v136
	v_addc_co_u32_e32 v147, vcc, v119, v137, vcc
	global_load_ushort v131, v[146:147], off
	global_load_ushort v135, v[142:143], off
	s_waitcnt vmcnt(1)
	v_lshlrev_b32_e32 v143, 16, v131
	s_waitcnt vmcnt(0)
	v_lshlrev_b32_e32 v142, 16, v135
.LBB97_86:                              ;   in Loop: Header=BB97_5 Depth=1
	s_or_b64 exec, exec, s[10:11]
	v_mov_b32_e32 v147, 0
	v_mov_b32_e32 v149, 0
	v_mov_b32_e32 v144, 0
	s_and_saveexec_b64 s[10:11], s[2:3]
	s_cbranch_execz .LBB97_88
; %bb.87:                               ;   in Loop: Header=BB97_5 Depth=1
	v_add_co_u32_e32 v148, vcc, v116, v136
	v_addc_co_u32_e32 v149, vcc, v113, v137, vcc
	v_add_co_u32_e32 v150, vcc, v118, v136
	v_addc_co_u32_e32 v151, vcc, v115, v137, vcc
	global_load_ushort v131, v[150:151], off
	global_load_ushort v135, v[148:149], off
	s_waitcnt vmcnt(1)
	v_lshlrev_b32_e32 v149, 16, v131
	s_waitcnt vmcnt(0)
	v_lshlrev_b32_e32 v144, 16, v135
.LBB97_88:                              ;   in Loop: Header=BB97_5 Depth=1
	s_or_b64 exec, exec, s[10:11]
	v_mov_b32_e32 v146, 0
	s_and_saveexec_b64 s[10:11], s[2:3]
	s_cbranch_execz .LBB97_90
; %bb.89:                               ;   in Loop: Header=BB97_5 Depth=1
	v_add_co_u32_e32 v146, vcc, v112, v136
	v_addc_co_u32_e32 v147, vcc, v109, v137, vcc
	v_add_co_u32_e32 v150, vcc, v114, v136
	v_addc_co_u32_e32 v151, vcc, v111, v137, vcc
	global_load_ushort v131, v[150:151], off
	global_load_ushort v135, v[146:147], off
	s_waitcnt vmcnt(1)
	v_lshlrev_b32_e32 v147, 16, v131
	s_waitcnt vmcnt(0)
	v_lshlrev_b32_e32 v146, 16, v135
.LBB97_90:                              ;   in Loop: Header=BB97_5 Depth=1
	;; [unrolled: 34-line block ×4, first 2 shown]
	s_or_b64 exec, exec, s[10:11]
	v_mov_b32_e32 v163, 0
	v_mov_b32_e32 v161, 0
	;; [unrolled: 1-line block ×3, first 2 shown]
	s_and_saveexec_b64 s[10:11], s[2:3]
	s_cbranch_execz .LBB97_100
; %bb.99:                               ;   in Loop: Header=BB97_5 Depth=1
	v_add_co_u32_e32 v158, vcc, v92, v136
	v_addc_co_u32_e32 v159, vcc, v89, v137, vcc
	v_add_co_u32_e32 v160, vcc, v94, v136
	v_addc_co_u32_e32 v161, vcc, v91, v137, vcc
	global_load_ushort v131, v[160:161], off
	global_load_ushort v135, v[158:159], off
	s_waitcnt vmcnt(1)
	v_lshlrev_b32_e32 v161, 16, v131
	s_waitcnt vmcnt(0)
	v_lshlrev_b32_e32 v160, 16, v135
.LBB97_100:                             ;   in Loop: Header=BB97_5 Depth=1
	s_or_b64 exec, exec, s[10:11]
	v_mov_b32_e32 v164, 0
	s_and_saveexec_b64 s[10:11], s[2:3]
	s_cbranch_execz .LBB97_102
; %bb.101:                              ;   in Loop: Header=BB97_5 Depth=1
	v_add_co_u32_e32 v158, vcc, v88, v136
	v_addc_co_u32_e32 v159, vcc, v85, v137, vcc
	v_add_co_u32_e32 v162, vcc, v90, v136
	v_addc_co_u32_e32 v163, vcc, v87, v137, vcc
	global_load_ushort v131, v[162:163], off
	global_load_ushort v135, v[158:159], off
	s_waitcnt vmcnt(1)
	v_lshlrev_b32_e32 v163, 16, v131
	s_waitcnt vmcnt(0)
	v_lshlrev_b32_e32 v164, 16, v135
.LBB97_102:                             ;   in Loop: Header=BB97_5 Depth=1
	s_or_b64 exec, exec, s[10:11]
	v_mov_b32_e32 v159, 0
	v_mov_b32_e32 v167, 0
	v_mov_b32_e32 v154, 0
	s_and_saveexec_b64 s[10:11], s[2:3]
	s_cbranch_execz .LBB97_104
; %bb.103:                              ;   in Loop: Header=BB97_5 Depth=1
	v_add_co_u32_e32 v166, vcc, v84, v136
	v_addc_co_u32_e32 v167, vcc, v81, v137, vcc
	v_add_co_u32_e32 v168, vcc, v86, v136
	v_addc_co_u32_e32 v169, vcc, v83, v137, vcc
	global_load_ushort v131, v[168:169], off
	global_load_ushort v135, v[166:167], off
	s_waitcnt vmcnt(1)
	v_lshlrev_b32_e32 v167, 16, v131
	s_waitcnt vmcnt(0)
	v_lshlrev_b32_e32 v154, 16, v135
.LBB97_104:                             ;   in Loop: Header=BB97_5 Depth=1
	s_or_b64 exec, exec, s[10:11]
	v_mov_b32_e32 v158, 0
	s_and_saveexec_b64 s[10:11], s[2:3]
	s_cbranch_execz .LBB97_106
; %bb.105:                              ;   in Loop: Header=BB97_5 Depth=1
	v_add_co_u32_e32 v158, vcc, v80, v136
	v_addc_co_u32_e32 v159, vcc, v77, v137, vcc
	v_add_co_u32_e32 v168, vcc, v82, v136
	v_addc_co_u32_e32 v169, vcc, v79, v137, vcc
	global_load_ushort v131, v[168:169], off
	global_load_ushort v135, v[158:159], off
	s_waitcnt vmcnt(1)
	v_lshlrev_b32_e32 v159, 16, v131
	s_waitcnt vmcnt(0)
	v_lshlrev_b32_e32 v158, 16, v135
.LBB97_106:                             ;   in Loop: Header=BB97_5 Depth=1
	s_or_b64 exec, exec, s[10:11]
	v_mov_b32_e32 v169, 0
	v_mov_b32_e32 v171, 0
	v_mov_b32_e32 v162, 0
	s_and_saveexec_b64 s[10:11], s[2:3]
	s_cbranch_execz .LBB97_108
; %bb.107:                              ;   in Loop: Header=BB97_5 Depth=1
	v_add_co_u32_e32 v170, vcc, v76, v136
	v_addc_co_u32_e32 v171, vcc, v73, v137, vcc
	v_add_co_u32_e32 v172, vcc, v78, v136
	v_addc_co_u32_e32 v173, vcc, v75, v137, vcc
	global_load_ushort v131, v[172:173], off
	global_load_ushort v135, v[170:171], off
	s_waitcnt vmcnt(1)
	v_lshlrev_b32_e32 v171, 16, v131
	s_waitcnt vmcnt(0)
	v_lshlrev_b32_e32 v162, 16, v135
.LBB97_108:                             ;   in Loop: Header=BB97_5 Depth=1
	;; [unrolled: 34-line block ×10, first 2 shown]
	s_or_b64 exec, exec, s[10:11]
	v_mov_b32_e32 v198, 0
	s_and_saveexec_b64 s[10:11], s[2:3]
	s_cbranch_execz .LBB97_142
; %bb.141:                              ;   in Loop: Header=BB97_5 Depth=1
	v_add_co_u32_e32 v206, vcc, v8, v136
	v_addc_co_u32_e32 v207, vcc, v5, v137, vcc
	v_add_co_u32_e32 v208, vcc, v10, v136
	v_addc_co_u32_e32 v209, vcc, v7, v137, vcc
	global_load_ushort v131, v[208:209], off
	global_load_ushort v135, v[206:207], off
	s_waitcnt vmcnt(1)
	v_lshlrev_b32_e32 v200, 16, v131
	s_waitcnt vmcnt(0)
	v_lshlrev_b32_e32 v198, 16, v135
.LBB97_142:                             ;   in Loop: Header=BB97_5 Depth=1
	s_or_b64 exec, exec, s[10:11]
	v_mov_b32_e32 v204, 0
	v_mov_b32_e32 v131, 0
	s_and_saveexec_b64 s[10:11], s[2:3]
	s_cbranch_execz .LBB97_3
; %bb.143:                              ;   in Loop: Header=BB97_5 Depth=1
	v_add_co_u32_e32 v206, vcc, v4, v136
	v_addc_co_u32_e32 v207, vcc, v1, v137, vcc
	v_add_co_u32_e32 v208, vcc, v6, v136
	v_addc_co_u32_e32 v209, vcc, v3, v137, vcc
	global_load_ushort v131, v[208:209], off
	global_load_ushort v135, v[206:207], off
	s_waitcnt vmcnt(1)
	v_lshlrev_b32_e32 v204, 16, v131
	s_waitcnt vmcnt(0)
	v_lshlrev_b32_e32 v131, 16, v135
	s_branch .LBB97_3
.LBB97_144:
                                        ; implicit-def: $vgpr138_vgpr139
	s_branch .LBB97_146
.LBB97_145:
	s_cbranch_execnz .LBB97_226
.LBB97_146:
	s_mov_b32 s3, 0
	s_mov_b32 s2, s3
	s_and_b64 vcc, exec, s[0:1]
	v_pk_mov_b32 v[138:139], s[2:3], s[2:3] op_sel:[0,1]
	s_cbranch_vccnz .LBB97_226
; %bb.147:
	v_bfe_u32 v205, v253, 10, 10
	s_add_u32 s10, s4, 64
	s_addc_u32 s11, s5, 0
	v_lshlrev_b32_e32 v0, 6, v205
	s_lshl_b64 s[0:1], s[24:25], 1
	v_mov_b32_e32 v1, s1
	v_add_co_u32_e32 v0, vcc, s0, v0
	v_addc_co_u32_e32 v1, vcc, 0, v1, vcc
	v_add_co_u32_e32 v22, vcc, 2, v0
	v_addc_co_u32_e32 v4, vcc, 0, v1, vcc
	;; [unrolled: 2-line block ×10, first 2 shown]
	v_add_co_u32_e32 v50, vcc, 20, v0
	v_pk_mov_b32 v[122:123], s[16:17], s[16:17] op_sel:[0,1]
	v_addc_co_u32_e32 v23, vcc, 0, v1, vcc
	v_pk_mov_b32 v[124:125], s[18:19], s[18:19] op_sel:[0,1]
	v_mad_u64_u32 v[2:3], s[0:1], s14, v22, v[122:123]
	v_mul_lo_u32 v24, s14, v4
	v_mul_lo_u32 v25, s15, v22
	;; [unrolled: 1-line block ×3, first 2 shown]
	v_mad_u64_u32 v[22:23], s[0:1], s14, v22, v[124:125]
	v_add3_u32 v3, v25, v3, v24
	v_mad_u64_u32 v[4:5], s[0:1], s14, v26, v[122:123]
	v_mul_lo_u32 v27, s14, v6
	v_mul_lo_u32 v28, s15, v26
	v_add3_u32 v23, v25, v23, v24
	v_mad_u64_u32 v[24:25], s[0:1], s14, v26, v[124:125]
	v_add3_u32 v5, v28, v5, v27
	v_mad_u64_u32 v[6:7], s[0:1], s14, v29, v[122:123]
	v_mul_lo_u32 v30, s14, v8
	v_mul_lo_u32 v31, s15, v29
	v_add3_u32 v25, v28, v25, v27
	v_mad_u64_u32 v[26:27], s[0:1], s14, v29, v[124:125]
	v_add3_u32 v7, v31, v7, v30
	v_mad_u64_u32 v[8:9], s[0:1], s14, v32, v[122:123]
	v_mul_lo_u32 v33, s14, v10
	v_mul_lo_u32 v34, s15, v32
	v_add_co_u32_e32 v53, vcc, 22, v0
	v_add3_u32 v27, v31, v27, v30
	v_mad_u64_u32 v[30:31], s[0:1], s14, v32, v[124:125]
	v_add3_u32 v9, v34, v9, v33
	v_mad_u64_u32 v[10:11], s[0:1], s14, v35, v[122:123]
	v_mul_lo_u32 v36, s14, v12
	v_mul_lo_u32 v37, s15, v35
	v_mad_u64_u32 v[12:13], s[0:1], s14, v38, v[122:123]
	v_mul_lo_u32 v39, s14, v14
	v_mul_lo_u32 v40, s15, v38
	v_addc_co_u32_e32 v54, vcc, 0, v1, vcc
	v_add3_u32 v31, v34, v31, v33
	v_mad_u64_u32 v[32:33], s[0:1], s14, v35, v[124:125]
	v_mad_u64_u32 v[34:35], s[0:1], s14, v38, v[124:125]
	v_add3_u32 v13, v40, v13, v39
	v_mul_lo_u32 v42, s14, v16
	v_mad_u64_u32 v[16:17], s[0:1], s14, v44, v[122:123]
	v_mul_lo_u32 v45, s14, v18
	v_mul_lo_u32 v46, s15, v44
	v_add3_u32 v35, v40, v35, v39
	v_add_co_u32_e32 v56, vcc, 24, v0
	v_mad_u64_u32 v[38:39], s[0:1], s14, v44, v[124:125]
	v_add3_u32 v17, v46, v17, v45
	v_mul_lo_u32 v48, s14, v20
	v_mad_u64_u32 v[20:21], s[0:1], s14, v50, v[122:123]
	v_mul_lo_u32 v52, s15, v50
	v_addc_co_u32_e32 v57, vcc, 0, v1, vcc
	v_add3_u32 v39, v46, v39, v45
	v_mad_u64_u32 v[44:45], s[0:1], s14, v50, v[124:125]
	v_add3_u32 v11, v37, v11, v36
	v_mad_u64_u32 v[14:15], s[0:1], s14, v41, v[122:123]
	v_mul_lo_u32 v43, s15, v41
	v_add3_u32 v21, v52, v21, v51
	v_add3_u32 v33, v37, v33, v36
	v_mad_u64_u32 v[36:37], s[0:1], s14, v41, v[124:125]
	v_add3_u32 v45, v52, v45, v51
	v_add_co_u32_e32 v52, vcc, 26, v0
	v_add3_u32 v15, v43, v15, v42
	v_mad_u64_u32 v[18:19], s[0:1], s14, v47, v[122:123]
	v_mul_lo_u32 v49, s15, v47
	v_mad_u64_u32 v[28:29], s[0:1], s14, v53, v[122:123]
	v_mul_lo_u32 v54, s14, v54
	v_mul_lo_u32 v55, s15, v53
	v_add3_u32 v37, v43, v37, v42
	v_mad_u64_u32 v[42:43], s[0:1], s14, v47, v[124:125]
	v_mad_u64_u32 v[46:47], s[0:1], s14, v53, v[124:125]
	v_addc_co_u32_e32 v53, vcc, 0, v1, vcc
	v_add3_u32 v19, v49, v19, v48
	v_add3_u32 v29, v55, v29, v54
	v_mad_u64_u32 v[40:41], s[0:1], s14, v56, v[122:123]
	v_add3_u32 v43, v49, v43, v48
	v_mul_lo_u32 v58, s15, v56
	v_add3_u32 v47, v55, v47, v54
	v_mad_u64_u32 v[48:49], s[0:1], s14, v56, v[124:125]
	v_mad_u64_u32 v[50:51], s[0:1], s14, v52, v[122:123]
	v_mul_lo_u32 v54, s14, v53
	v_mul_lo_u32 v55, s15, v52
	v_mad_u64_u32 v[52:53], s[0:1], s14, v52, v[124:125]
	v_add_co_u32_e32 v56, vcc, 28, v0
	v_mul_lo_u32 v57, s14, v57
	v_add3_u32 v51, v55, v51, v54
	v_add3_u32 v53, v55, v53, v54
	v_addc_co_u32_e32 v54, vcc, 0, v1, vcc
	v_add3_u32 v41, v58, v41, v57
	v_add3_u32 v49, v58, v49, v57
	v_mul_lo_u32 v58, s14, v54
	v_mul_lo_u32 v59, s15, v56
	v_mad_u64_u32 v[54:55], s[0:1], s14, v56, v[122:123]
	v_mad_u64_u32 v[56:57], s[0:1], s14, v56, v[124:125]
	v_add_co_u32_e32 v60, vcc, 30, v0
	v_add3_u32 v55, v59, v55, v58
	v_add3_u32 v57, v59, v57, v58
	v_addc_co_u32_e32 v58, vcc, 0, v1, vcc
	v_mul_lo_u32 v62, s14, v58
	v_mul_lo_u32 v63, s15, v60
	v_mad_u64_u32 v[58:59], s[0:1], s14, v60, v[122:123]
	v_mad_u64_u32 v[60:61], s[0:1], s14, v60, v[124:125]
	v_add_co_u32_e32 v64, vcc, 32, v0
	v_add3_u32 v59, v63, v59, v62
	v_add3_u32 v61, v63, v61, v62
	v_addc_co_u32_e32 v62, vcc, 0, v1, vcc
	;; [unrolled: 8-line block ×16, first 2 shown]
	v_add_co_u32_e32 v0, vcc, 62, v0
	v_mul_lo_u32 v126, s14, v118
	v_mul_lo_u32 v127, s15, v120
	v_mad_u64_u32 v[118:119], s[0:1], s14, v120, v[122:123]
	v_mad_u64_u32 v[120:121], s[0:1], s14, v120, v[124:125]
	v_addc_co_u32_e32 v1, vcc, 0, v1, vcc
	v_add3_u32 v119, v127, v119, v126
	v_add3_u32 v121, v127, v121, v126
	v_mad_u64_u32 v[122:123], s[0:1], s14, v0, v[122:123]
	v_mul_lo_u32 v1, s14, v1
	v_mad_u64_u32 v[124:125], s[0:1], s14, v0, v[124:125]
	v_mul_lo_u32 v0, s15, v0
	v_lshlrev_b32_e32 v126, 5, v205
	v_add3_u32 v123, v0, v123, v1
	v_add3_u32 v125, v0, v125, v1
	v_mov_b32_e32 v1, s25
	v_add_co_u32_e32 v0, vcc, s24, v126
	v_addc_co_u32_e32 v1, vcc, 0, v1, vcc
	v_add_co_u32_e32 v127, vcc, 31, v0
	v_addc_co_u32_e32 v128, vcc, 0, v1, vcc
	v_mul_lo_u32 v128, s14, v128
	v_mul_lo_u32 v129, s15, v127
	v_mad_u64_u32 v[132:133], s[0:1], s14, v127, 0
	v_add_co_u32_e32 v127, vcc, 30, v0
	v_add3_u32 v133, v133, v128, v129
	v_addc_co_u32_e32 v128, vcc, 0, v1, vcc
	v_mul_lo_u32 v128, s14, v128
	v_mul_lo_u32 v129, s15, v127
	v_mad_u64_u32 v[134:135], s[0:1], s14, v127, 0
	v_add_co_u32_e32 v127, vcc, 29, v0
	v_add3_u32 v135, v135, v128, v129
	;; [unrolled: 6-line block ×29, first 2 shown]
	v_addc_co_u32_e32 v128, vcc, 0, v1, vcc
	v_mul_lo_u32 v128, s14, v128
	v_mul_lo_u32 v129, s15, v127
	v_mad_u64_u32 v[190:191], s[0:1], s14, v127, 0
	v_add3_u32 v191, v191, v128, v129
	v_pk_mov_b32 v[128:129], s[14:15], s[14:15] op_sel:[0,1]
	v_mul_lo_u32 v127, s14, v1
	v_mad_u64_u32 v[192:193], s[0:1], s14, v0, v[128:129]
	v_mul_lo_u32 v128, s15, v0
	v_mad_u64_u32 v[0:1], s[0:1], s14, v0, 0
	v_add3_u32 v1, v1, v127, v128
	v_lshlrev_b64 v[130:131], 1, v[0:1]
	v_add3_u32 v193, v128, v193, v127
	v_mov_b32_e32 v0, s17
	v_add_co_u32_e32 v128, vcc, s16, v130
	v_addc_co_u32_e32 v1, vcc, v0, v131, vcc
	v_mov_b32_e32 v129, s19
	v_add_co_u32_e32 v130, vcc, s18, v130
	v_addc_co_u32_e32 v127, vcc, v129, v131, vcc
	v_lshlrev_b64 v[132:133], 1, v[132:133]
	v_add_co_u32_e32 v210, vcc, s16, v132
	v_addc_co_u32_e32 v131, vcc, v0, v133, vcc
	v_add_co_u32_e32 v132, vcc, s18, v132
	v_accvgpr_write_b32 a1, v131
	v_accvgpr_write_b32 a4, v132
	v_addc_co_u32_e32 v131, vcc, v129, v133, vcc
	v_lshlrev_b64 v[132:133], 1, v[134:135]
	v_add_co_u32_e32 v134, vcc, s16, v132
	v_accvgpr_write_b32 a3, v131
	v_addc_co_u32_e32 v131, vcc, v0, v133, vcc
	v_add_co_u32_e32 v132, vcc, s18, v132
	v_accvgpr_write_b32 a5, v131
	v_accvgpr_write_b32 a8, v132
	v_addc_co_u32_e32 v131, vcc, v129, v133, vcc
	v_lshlrev_b64 v[132:133], 1, v[136:137]
	v_accvgpr_write_b32 a6, v134
	v_add_co_u32_e32 v134, vcc, s16, v132
	v_accvgpr_write_b32 a7, v131
	v_addc_co_u32_e32 v131, vcc, v0, v133, vcc
	v_add_co_u32_e32 v132, vcc, s18, v132
	v_accvgpr_write_b32 a9, v131
	v_accvgpr_write_b32 a12, v132
	v_addc_co_u32_e32 v131, vcc, v129, v133, vcc
	v_lshlrev_b64 v[132:133], 1, v[138:139]
	v_accvgpr_write_b32 a10, v134
	;; [unrolled: 9-line block ×18, first 2 shown]
	v_add_co_u32_e32 v134, vcc, s16, v132
	v_accvgpr_write_b32 a75, v131
	v_addc_co_u32_e32 v131, vcc, v0, v133, vcc
	v_add_co_u32_e32 v132, vcc, s18, v132
	v_accvgpr_write_b32 a77, v131
	v_accvgpr_write_b32 a80, v132
	v_addc_co_u32_e32 v131, vcc, v129, v133, vcc
	v_lshlrev_b64 v[132:133], 1, v[172:173]
	v_add_co_u32_e32 v212, vcc, s16, v132
	v_accvgpr_write_b32 a79, v131
	v_addc_co_u32_e32 v131, vcc, v0, v133, vcc
	v_add_co_u32_e32 v214, vcc, s18, v132
	v_accvgpr_write_b32 a81, v131
	v_addc_co_u32_e32 v131, vcc, v129, v133, vcc
	v_lshlrev_b64 v[132:133], 1, v[174:175]
	v_add_co_u32_e32 v216, vcc, s16, v132
	v_addc_co_u32_e32 v213, vcc, v0, v133, vcc
	v_add_co_u32_e32 v218, vcc, s18, v132
	v_addc_co_u32_e32 v215, vcc, v129, v133, vcc
	v_lshlrev_b64 v[132:133], 1, v[176:177]
	v_add_co_u32_e32 v220, vcc, s16, v132
	v_addc_co_u32_e32 v217, vcc, v0, v133, vcc
	v_add_co_u32_e32 v222, vcc, s18, v132
	;; [unrolled: 5-line block ×8, first 2 shown]
	v_addc_co_u32_e32 v243, vcc, v129, v133, vcc
	v_lshlrev_b64 v[132:133], 1, v[190:191]
	v_add_co_u32_e32 v248, vcc, s16, v132
	s_load_dword s0, s[4:5], 0x44
	v_addc_co_u32_e32 v245, vcc, v0, v133, vcc
	v_add_co_u32_e32 v250, vcc, s18, v132
	v_addc_co_u32_e32 v247, vcc, v129, v133, vcc
	v_lshlrev_b64 v[132:133], 1, v[192:193]
	v_add_co_u32_e32 v252, vcc, s16, v132
	v_addc_co_u32_e32 v249, vcc, v0, v133, vcc
	s_waitcnt lgkmcnt(0)
	s_lshl_b32 s2, s0, 5
	v_mbcnt_lo_u32_b32 v0, -1, 0
	v_add_co_u32_e32 v254, vcc, s18, v132
	v_and_b32_e32 v207, 0x3ff, v253
	s_mul_i32 s0, s15, s2
	s_mul_hi_u32 s1, s14, s2
	v_mbcnt_hi_u32_b32 v0, -1, v0
	v_addc_co_u32_e32 v251, vcc, v129, v133, vcc
	v_add_u32_e32 v132, s7, v207
	v_mov_b32_e32 v133, 0
	s_add_i32 s1, s1, s0
	s_mul_i32 s0, s14, s2
	v_lshlrev_b32_e32 v0, 2, v0
	v_accvgpr_write_b32 a78, v134
	v_accvgpr_write_b32 a83, v131
	;; [unrolled: 1-line block ×3, first 2 shown]
	s_lshl_b64 s[16:17], s[0:1], 1
	s_mov_b64 s[18:19], 31
	v_and_b32_e32 v0, 0x100, v0
	v_mov_b32_e32 v134, 0
	v_mov_b32_e32 v135, v133
	s_mov_b64 s[26:27], s[24:25]
	v_mov_b32_e32 v253, v133
	v_accvgpr_write_b32 a85, v133
	v_lshlrev_b64 v[132:133], 1, v[132:133]
	s_branch .LBB97_151
.LBB97_148:                             ;   in Loop: Header=BB97_151 Depth=1
	s_or_b64 exec, exec, s[28:29]
.LBB97_149:                             ;   in Loop: Header=BB97_151 Depth=1
	s_or_b64 exec, exec, s[0:1]
	v_add_co_u32_e32 v136, vcc, v128, v132
	v_addc_co_u32_e32 v137, vcc, v1, v133, vcc
	global_load_ushort v131, v[136:137], off
	v_add_co_u32_e32 v136, vcc, v130, v132
	v_addc_co_u32_e32 v137, vcc, v127, v133, vcc
	s_waitcnt vmcnt(0)
	v_lshlrev_b32_e32 v174, 16, v131
	global_load_ushort v131, v[136:137], off
	v_add_co_u32_e32 v136, vcc, v2, v132
	v_addc_co_u32_e32 v137, vcc, v3, v133, vcc
	s_waitcnt vmcnt(0)
	v_lshlrev_b32_e32 v175, 16, v131
	;; [unrolled: 5-line block ×35, first 2 shown]
	global_load_ushort v131, v[136:137], off
	v_add_co_u32_e32 v136, vcc, v70, v132
	v_addc_co_u32_e32 v137, vcc, v71, v133, vcc
	global_load_ushort v136, v[136:137], off
	s_waitcnt vmcnt(1)
	v_lshlrev_b32_e32 v131, 16, v131
	s_waitcnt vmcnt(0)
	v_lshlrev_b32_e32 v170, 16, v136
	v_add_co_u32_e32 v136, vcc, v72, v132
	v_addc_co_u32_e32 v137, vcc, v73, v133, vcc
	global_load_ushort v136, v[136:137], off
	s_waitcnt vmcnt(0)
	v_lshlrev_b32_e32 v171, 16, v136
	v_add_co_u32_e32 v136, vcc, v74, v132
	v_addc_co_u32_e32 v137, vcc, v75, v133, vcc
	global_load_ushort v136, v[136:137], off
	;; [unrolled: 5-line block ×7, first 2 shown]
	s_waitcnt vmcnt(0)
	v_lshlrev_b32_e32 v183, 16, v136
	v_add_co_u32_e32 v136, vcc, v86, v132
	v_addc_co_u32_e32 v137, vcc, v87, v133, vcc
	v_add_co_u32_e32 v138, vcc, v88, v132
	v_addc_co_u32_e32 v139, vcc, v89, v133, vcc
	global_load_ushort v136, v[136:137], off
	s_waitcnt vmcnt(0)
	v_lshlrev_b32_e32 v136, 16, v136
	global_load_ushort v137, v[138:139], off
	v_add_co_u32_e32 v138, vcc, v90, v132
	v_addc_co_u32_e32 v139, vcc, v91, v133, vcc
	v_add_co_u32_e32 v140, vcc, v92, v132
	v_addc_co_u32_e32 v141, vcc, v93, v133, vcc
	global_load_ushort v138, v[138:139], off
	s_waitcnt vmcnt(1)
	v_lshlrev_b32_e32 v137, 16, v137
	global_load_ushort v139, v[140:141], off
	;; [unrolled: 8-line block ×5, first 2 shown]
	v_add_co_u32_e32 v148, vcc, v106, v132
	v_addc_co_u32_e32 v149, vcc, v107, v133, vcc
	v_add_co_u32_e32 v152, vcc, v108, v132
	v_addc_co_u32_e32 v153, vcc, v109, v133, vcc
	global_load_ushort v148, v[148:149], off
	v_lshlrev_b32_e32 v140, 16, v140
	global_load_ushort v149, v[152:153], off
	v_add_co_u32_e32 v152, vcc, v110, v132
	v_addc_co_u32_e32 v153, vcc, v111, v133, vcc
	v_add_co_u32_e32 v158, vcc, v112, v132
	v_addc_co_u32_e32 v159, vcc, v113, v133, vcc
	global_load_ushort v152, v[152:153], off
	s_waitcnt vmcnt(6)
	v_lshlrev_b32_e32 v142, 16, v142
	global_load_ushort v153, v[158:159], off
	v_add_co_u32_e32 v158, vcc, v114, v132
	v_addc_co_u32_e32 v159, vcc, v115, v133, vcc
	global_load_ushort v156, v[158:159], off
	v_add_co_u32_e32 v162, vcc, v116, v132
	v_addc_co_u32_e32 v163, vcc, v117, v133, vcc
	s_waitcnt vmcnt(7)
	v_lshlrev_b32_e32 v143, 16, v143
	s_waitcnt vmcnt(6)
	v_lshlrev_b32_e32 v144, 16, v144
	;; [unrolled: 2-line block ×8, first 2 shown]
	global_load_ushort v156, v[162:163], off
	v_add_co_u32_e32 v162, vcc, v118, v132
	v_addc_co_u32_e32 v163, vcc, v119, v133, vcc
	v_add_co_u32_e32 v200, vcc, v120, v132
	v_addc_co_u32_e32 v201, vcc, v121, v133, vcc
	s_waitcnt vmcnt(0)
	v_lshlrev_b32_e32 v159, 16, v156
	global_load_ushort v156, v[162:163], off
	s_waitcnt vmcnt(0)
	v_lshlrev_b32_e32 v162, 16, v156
	global_load_ushort v156, v[200:201], off
	v_add_co_u32_e32 v200, vcc, v122, v132
	v_addc_co_u32_e32 v201, vcc, v123, v133, vcc
	s_waitcnt vmcnt(0)
	v_lshlrev_b32_e32 v163, 16, v156
	global_load_ushort v156, v[200:201], off
	v_add_co_u32_e32 v200, vcc, v124, v132
	v_addc_co_u32_e32 v201, vcc, v125, v133, vcc
	global_load_ushort v199, v[200:201], off
	ds_bpermute_b32 v201, v0, v129
	s_waitcnt lgkmcnt(0)
	v_sub_f32_e32 v175, v175, v201
	ds_bpermute_b32 v201, v0, v129 offset:4
	v_mul_f32_e32 v175, v175, v174
	s_waitcnt lgkmcnt(0)
	v_sub_f32_e32 v179, v179, v201
	ds_bpermute_b32 v201, v0, v129 offset:8
	v_mul_f32_e32 v179, v179, v178
	;; [unrolled: 4-line block ×10, first 2 shown]
	s_waitcnt lgkmcnt(0)
	v_sub_f32_e32 v169, v169, v201
	v_mul_f32_e32 v169, v169, v198
	s_waitcnt vmcnt(1)
	v_lshlrev_b32_e32 v156, 16, v156
	s_waitcnt vmcnt(0)
	v_lshlrev_b32_e32 v200, 16, v199
	ds_bpermute_b32 v199, v0, v157
	s_waitcnt lgkmcnt(0)
	v_mul_f32_e32 v175, v175, v199
	ds_bpermute_b32 v199, v0, v157 offset:4
	v_pk_add_f32 v[134:135], v[134:135], v[174:175]
	ds_bpermute_b32 v174, v0, v129 offset:44
	s_waitcnt lgkmcnt(1)
	v_mul_f32_e32 v179, v179, v199
	ds_bpermute_b32 v199, v0, v157 offset:8
	s_waitcnt lgkmcnt(1)
	v_sub_f32_e32 v147, v147, v174
	ds_bpermute_b32 v174, v0, v129 offset:48
	v_mul_f32_e32 v147, v147, v146
	v_pk_add_f32 v[134:135], v[134:135], v[178:179]
	s_waitcnt lgkmcnt(1)
	v_mul_f32_e32 v181, v181, v199
	ds_bpermute_b32 v199, v0, v157 offset:12
	s_waitcnt lgkmcnt(1)
	v_sub_f32_e32 v151, v151, v174
	ds_bpermute_b32 v174, v0, v129 offset:52
	v_mul_f32_e32 v151, v151, v150
	v_pk_add_f32 v[134:135], v[134:135], v[180:181]
	s_waitcnt lgkmcnt(1)
	v_mul_f32_e32 v185, v185, v199
	ds_bpermute_b32 v199, v0, v157 offset:16
	s_waitcnt lgkmcnt(1)
	v_sub_f32_e32 v155, v155, v174
	ds_bpermute_b32 v174, v0, v129 offset:56
	v_mul_f32_e32 v155, v155, v154
	v_pk_add_f32 v[134:135], v[134:135], v[184:185]
	s_waitcnt lgkmcnt(1)
	v_mul_f32_e32 v187, v187, v199
	ds_bpermute_b32 v199, v0, v157 offset:20
	s_waitcnt lgkmcnt(1)
	v_sub_f32_e32 v161, v161, v174
	ds_bpermute_b32 v174, v0, v129 offset:60
	v_mul_f32_e32 v161, v161, v160
	v_pk_add_f32 v[134:135], v[134:135], v[186:187]
	s_waitcnt lgkmcnt(1)
	v_mul_f32_e32 v189, v189, v199
	ds_bpermute_b32 v199, v0, v157 offset:24
	s_waitcnt lgkmcnt(1)
	v_sub_f32_e32 v165, v165, v174
	ds_bpermute_b32 v174, v0, v129 offset:64
	v_mul_f32_e32 v165, v165, v164
	v_pk_add_f32 v[134:135], v[134:135], v[188:189]
	s_waitcnt lgkmcnt(1)
	v_mul_f32_e32 v191, v191, v199
	ds_bpermute_b32 v199, v0, v157 offset:28
	s_waitcnt lgkmcnt(1)
	v_sub_f32_e32 v167, v167, v174
	ds_bpermute_b32 v174, v0, v129 offset:68
	v_mul_f32_e32 v167, v167, v166
	v_pk_add_f32 v[134:135], v[134:135], v[190:191]
	s_waitcnt lgkmcnt(1)
	v_mul_f32_e32 v193, v193, v199
	ds_bpermute_b32 v199, v0, v157 offset:32
	s_waitcnt lgkmcnt(1)
	v_sub_f32_e32 v131, v131, v174
	ds_bpermute_b32 v174, v0, v129 offset:72
	v_mul_f32_e32 v131, v131, v168
	v_pk_add_f32 v[134:135], v[134:135], v[192:193]
	s_waitcnt lgkmcnt(1)
	v_mul_f32_e32 v195, v195, v199
	ds_bpermute_b32 v199, v0, v157 offset:36
	s_waitcnt lgkmcnt(1)
	v_sub_f32_e32 v171, v171, v174
	ds_bpermute_b32 v174, v0, v129 offset:76
	v_mul_f32_e32 v171, v171, v170
	v_pk_add_f32 v[134:135], v[134:135], v[194:195]
	s_waitcnt lgkmcnt(1)
	v_mul_f32_e32 v197, v197, v199
	ds_bpermute_b32 v199, v0, v157 offset:40
	s_waitcnt lgkmcnt(1)
	v_sub_f32_e32 v173, v173, v174
	ds_bpermute_b32 v174, v0, v129 offset:80
	v_mul_f32_e32 v173, v173, v172
	v_pk_add_f32 v[134:135], v[134:135], v[196:197]
	s_waitcnt lgkmcnt(1)
	v_mul_f32_e32 v199, v169, v199
	ds_bpermute_b32 v169, v0, v157 offset:44
	s_waitcnt lgkmcnt(1)
	v_sub_f32_e32 v174, v177, v174
	v_mul_f32_e32 v174, v174, v176
	v_pk_add_f32 v[134:135], v[134:135], v[198:199]
	s_waitcnt lgkmcnt(0)
	v_mul_f32_e32 v147, v147, v169
	ds_bpermute_b32 v169, v0, v157 offset:48
	v_pk_add_f32 v[134:135], v[134:135], v[146:147]
	ds_bpermute_b32 v146, v0, v129 offset:88
	s_waitcnt lgkmcnt(1)
	v_mul_f32_e32 v151, v151, v169
	ds_bpermute_b32 v169, v0, v157 offset:52
	s_waitcnt lgkmcnt(1)
	v_sub_f32_e32 v137, v137, v146
	ds_bpermute_b32 v146, v0, v129 offset:92
	v_mul_f32_e32 v137, v137, v136
	v_pk_add_f32 v[134:135], v[134:135], v[150:151]
	s_waitcnt lgkmcnt(1)
	v_mul_f32_e32 v155, v155, v169
	ds_bpermute_b32 v169, v0, v157 offset:56
	s_waitcnt lgkmcnt(1)
	v_sub_f32_e32 v139, v139, v146
	ds_bpermute_b32 v146, v0, v129 offset:96
	v_mul_f32_e32 v139, v139, v138
	v_pk_add_f32 v[134:135], v[134:135], v[154:155]
	;; [unrolled: 8-line block ×5, first 2 shown]
	s_waitcnt lgkmcnt(1)
	v_mul_f32_e32 v169, v131, v169
	ds_bpermute_b32 v131, v0, v157 offset:72
	s_waitcnt lgkmcnt(1)
	v_sub_f32_e32 v146, v149, v146
	v_mul_f32_e32 v146, v146, v148
	v_pk_add_f32 v[134:135], v[134:135], v[168:169]
	s_waitcnt lgkmcnt(0)
	v_mul_f32_e32 v171, v171, v131
	ds_bpermute_b32 v131, v0, v157 offset:76
	v_pk_add_f32 v[134:135], v[134:135], v[170:171]
	s_waitcnt lgkmcnt(0)
	v_mul_f32_e32 v173, v173, v131
	ds_bpermute_b32 v131, v0, v157 offset:80
	;; [unrolled: 4-line block ×3, first 2 shown]
	ds_bpermute_b32 v131, v0, v157 offset:84
	v_pk_add_f32 v[134:135], v[134:135], v[176:177]
	s_waitcnt lgkmcnt(1)
	v_sub_f32_e32 v174, v183, v174
	v_mul_f32_e32 v174, v174, v182
	s_waitcnt lgkmcnt(0)
	v_mul_f32_e32 v183, v174, v131
	ds_bpermute_b32 v131, v0, v157 offset:88
	v_pk_add_f32 v[134:135], v[134:135], v[182:183]
	s_waitcnt lgkmcnt(0)
	v_mul_f32_e32 v137, v137, v131
	ds_bpermute_b32 v131, v0, v157 offset:92
	v_pk_add_f32 v[134:135], v[134:135], v[136:137]
	;; [unrolled: 4-line block ×6, first 2 shown]
	s_waitcnt lgkmcnt(0)
	v_mul_f32_e32 v149, v146, v131
	ds_bpermute_b32 v146, v0, v129 offset:112
	ds_bpermute_b32 v131, v0, v157 offset:112
	v_pk_add_f32 v[134:135], v[134:135], v[148:149]
	s_waitcnt lgkmcnt(1)
	v_sub_f32_e32 v146, v153, v146
	v_mul_f32_e32 v146, v146, v152
	s_waitcnt lgkmcnt(0)
	v_mul_f32_e32 v153, v146, v131
	ds_bpermute_b32 v146, v0, v129 offset:116
	ds_bpermute_b32 v131, v0, v157 offset:116
	v_pk_add_f32 v[134:135], v[134:135], v[152:153]
	s_waitcnt lgkmcnt(1)
	v_sub_f32_e32 v146, v159, v146
	v_mul_f32_e32 v146, v146, v158
	s_waitcnt lgkmcnt(0)
	v_mul_f32_e32 v159, v146, v131
	ds_bpermute_b32 v146, v0, v129 offset:120
	ds_bpermute_b32 v131, v0, v157 offset:120
	;; [unrolled: 1-line block ×3, first 2 shown]
	v_pk_add_f32 v[134:135], v[134:135], v[158:159]
	s_waitcnt lgkmcnt(2)
	v_sub_f32_e32 v146, v163, v146
	v_mul_f32_e32 v146, v146, v162
	s_waitcnt lgkmcnt(1)
	v_mul_f32_e32 v163, v146, v131
	ds_bpermute_b32 v131, v0, v157 offset:124
	s_waitcnt lgkmcnt(1)
	v_sub_f32_e32 v129, v200, v129
	v_mul_f32_e32 v129, v129, v156
	v_pk_add_f32 v[134:135], v[134:135], v[162:163]
	s_waitcnt lgkmcnt(0)
	v_mul_f32_e32 v157, v129, v131
	v_pk_add_f32 v[138:139], v[134:135], v[156:157]
.LBB97_150:                             ;   in Loop: Header=BB97_151 Depth=1
	v_add_co_u32_e32 v126, vcc, s2, v126
	v_mov_b32_e32 v129, s3
	v_addc_co_u32_e32 v253, vcc, v253, v129, vcc
	v_add_co_u32_e32 v2, vcc, s16, v2
	v_mov_b32_e32 v129, s17
	v_addc_co_u32_e32 v3, vcc, v3, v129, vcc
	v_add_co_u32_e32 v4, vcc, s16, v4
	v_addc_co_u32_e32 v5, vcc, v5, v129, vcc
	v_add_co_u32_e32 v6, vcc, s16, v6
	v_addc_co_u32_e32 v7, vcc, v7, v129, vcc
	v_add_co_u32_e32 v8, vcc, s16, v8
	v_addc_co_u32_e32 v9, vcc, v9, v129, vcc
	v_add_co_u32_e32 v10, vcc, s16, v10
	v_addc_co_u32_e32 v11, vcc, v11, v129, vcc
	v_add_co_u32_e32 v12, vcc, s16, v12
	v_addc_co_u32_e32 v13, vcc, v13, v129, vcc
	v_add_co_u32_e32 v14, vcc, s16, v14
	v_addc_co_u32_e32 v15, vcc, v15, v129, vcc
	v_add_co_u32_e32 v16, vcc, s16, v16
	v_addc_co_u32_e32 v17, vcc, v17, v129, vcc
	v_add_co_u32_e32 v18, vcc, s16, v18
	v_addc_co_u32_e32 v19, vcc, v19, v129, vcc
	v_add_co_u32_e32 v20, vcc, s16, v20
	v_addc_co_u32_e32 v21, vcc, v21, v129, vcc
	v_add_co_u32_e32 v28, vcc, s16, v28
	v_addc_co_u32_e32 v29, vcc, v29, v129, vcc
	v_add_co_u32_e32 v40, vcc, s16, v40
	v_addc_co_u32_e32 v41, vcc, v41, v129, vcc
	v_add_co_u32_e32 v50, vcc, s16, v50
	v_addc_co_u32_e32 v51, vcc, v51, v129, vcc
	v_add_co_u32_e32 v54, vcc, s16, v54
	v_addc_co_u32_e32 v55, vcc, v55, v129, vcc
	v_add_co_u32_e32 v58, vcc, s16, v58
	v_addc_co_u32_e32 v59, vcc, v59, v129, vcc
	v_add_co_u32_e32 v62, vcc, s16, v62
	v_addc_co_u32_e32 v63, vcc, v63, v129, vcc
	v_add_co_u32_e32 v66, vcc, s16, v66
	v_addc_co_u32_e32 v67, vcc, v67, v129, vcc
	v_add_co_u32_e32 v70, vcc, s16, v70
	v_addc_co_u32_e32 v71, vcc, v71, v129, vcc
	v_add_co_u32_e32 v74, vcc, s16, v74
	v_addc_co_u32_e32 v75, vcc, v75, v129, vcc
	v_add_co_u32_e32 v78, vcc, s16, v78
	v_addc_co_u32_e32 v79, vcc, v79, v129, vcc
	v_add_co_u32_e32 v82, vcc, s16, v82
	v_addc_co_u32_e32 v83, vcc, v83, v129, vcc
	v_add_co_u32_e32 v86, vcc, s16, v86
	v_addc_co_u32_e32 v87, vcc, v87, v129, vcc
	v_add_co_u32_e32 v90, vcc, s16, v90
	v_addc_co_u32_e32 v91, vcc, v91, v129, vcc
	v_add_co_u32_e32 v94, vcc, s16, v94
	v_addc_co_u32_e32 v95, vcc, v95, v129, vcc
	v_add_co_u32_e32 v98, vcc, s16, v98
	v_addc_co_u32_e32 v99, vcc, v99, v129, vcc
	v_add_co_u32_e32 v102, vcc, s16, v102
	v_addc_co_u32_e32 v103, vcc, v103, v129, vcc
	v_add_co_u32_e32 v106, vcc, s16, v106
	v_addc_co_u32_e32 v107, vcc, v107, v129, vcc
	v_add_co_u32_e32 v110, vcc, s16, v110
	v_addc_co_u32_e32 v111, vcc, v111, v129, vcc
	v_add_co_u32_e32 v114, vcc, s16, v114
	v_addc_co_u32_e32 v115, vcc, v115, v129, vcc
	v_add_co_u32_e32 v118, vcc, s16, v118
	v_addc_co_u32_e32 v119, vcc, v119, v129, vcc
	v_add_co_u32_e32 v122, vcc, s16, v122
	v_addc_co_u32_e32 v123, vcc, v123, v129, vcc
	v_add_co_u32_e32 v128, vcc, s16, v128
	v_addc_co_u32_e32 v1, vcc, v1, v129, vcc
	v_add_co_u32_e32 v22, vcc, s16, v22
	v_addc_co_u32_e32 v23, vcc, v23, v129, vcc
	v_add_co_u32_e32 v24, vcc, s16, v24
	v_addc_co_u32_e32 v25, vcc, v25, v129, vcc
	v_add_co_u32_e32 v26, vcc, s16, v26
	v_addc_co_u32_e32 v27, vcc, v27, v129, vcc
	v_add_co_u32_e32 v30, vcc, s16, v30
	v_addc_co_u32_e32 v31, vcc, v31, v129, vcc
	v_add_co_u32_e32 v32, vcc, s16, v32
	v_addc_co_u32_e32 v33, vcc, v33, v129, vcc
	v_add_co_u32_e32 v34, vcc, s16, v34
	v_addc_co_u32_e32 v35, vcc, v35, v129, vcc
	v_add_co_u32_e32 v36, vcc, s16, v36
	v_addc_co_u32_e32 v37, vcc, v37, v129, vcc
	v_add_co_u32_e32 v38, vcc, s16, v38
	v_addc_co_u32_e32 v39, vcc, v39, v129, vcc
	v_add_co_u32_e32 v42, vcc, s16, v42
	v_addc_co_u32_e32 v43, vcc, v43, v129, vcc
	v_add_co_u32_e32 v44, vcc, s16, v44
	v_addc_co_u32_e32 v45, vcc, v45, v129, vcc
	v_add_co_u32_e32 v46, vcc, s16, v46
	v_addc_co_u32_e32 v47, vcc, v47, v129, vcc
	v_add_co_u32_e32 v48, vcc, s16, v48
	v_addc_co_u32_e32 v49, vcc, v49, v129, vcc
	v_add_co_u32_e32 v52, vcc, s16, v52
	v_addc_co_u32_e32 v53, vcc, v53, v129, vcc
	v_add_co_u32_e32 v56, vcc, s16, v56
	v_addc_co_u32_e32 v57, vcc, v57, v129, vcc
	v_add_co_u32_e32 v60, vcc, s16, v60
	v_addc_co_u32_e32 v61, vcc, v61, v129, vcc
	v_add_co_u32_e32 v64, vcc, s16, v64
	v_addc_co_u32_e32 v65, vcc, v65, v129, vcc
	v_add_co_u32_e32 v68, vcc, s16, v68
	v_addc_co_u32_e32 v69, vcc, v69, v129, vcc
	v_add_co_u32_e32 v72, vcc, s16, v72
	v_addc_co_u32_e32 v73, vcc, v73, v129, vcc
	v_add_co_u32_e32 v76, vcc, s16, v76
	v_addc_co_u32_e32 v77, vcc, v77, v129, vcc
	v_add_co_u32_e32 v80, vcc, s16, v80
	v_addc_co_u32_e32 v81, vcc, v81, v129, vcc
	v_add_co_u32_e32 v84, vcc, s16, v84
	v_addc_co_u32_e32 v85, vcc, v85, v129, vcc
	v_add_co_u32_e32 v88, vcc, s16, v88
	v_addc_co_u32_e32 v89, vcc, v89, v129, vcc
	v_add_co_u32_e32 v92, vcc, s16, v92
	v_addc_co_u32_e32 v93, vcc, v93, v129, vcc
	v_add_co_u32_e32 v96, vcc, s16, v96
	v_addc_co_u32_e32 v97, vcc, v97, v129, vcc
	v_add_co_u32_e32 v100, vcc, s16, v100
	v_addc_co_u32_e32 v101, vcc, v101, v129, vcc
	v_add_co_u32_e32 v104, vcc, s16, v104
	v_addc_co_u32_e32 v105, vcc, v105, v129, vcc
	v_add_co_u32_e32 v108, vcc, s16, v108
	v_addc_co_u32_e32 v109, vcc, v109, v129, vcc
	v_add_co_u32_e32 v112, vcc, s16, v112
	v_addc_co_u32_e32 v113, vcc, v113, v129, vcc
	v_add_co_u32_e32 v116, vcc, s16, v116
	v_addc_co_u32_e32 v117, vcc, v117, v129, vcc
	v_add_co_u32_e32 v120, vcc, s16, v120
	v_addc_co_u32_e32 v121, vcc, v121, v129, vcc
	v_add_co_u32_e32 v124, vcc, s16, v124
	v_addc_co_u32_e32 v125, vcc, v125, v129, vcc
	v_add_co_u32_e32 v130, vcc, s16, v130
	v_addc_co_u32_e32 v127, vcc, v127, v129, vcc
	v_add_co_u32_e32 v210, vcc, s16, v210
	v_accvgpr_read_b32 v131, a1
	v_addc_co_u32_e32 v131, vcc, v131, v129, vcc
	v_accvgpr_read_b32 v134, a4
	v_accvgpr_write_b32 a1, v131
	v_add_co_u32_e32 v134, vcc, s16, v134
	v_accvgpr_read_b32 v131, a3
	v_accvgpr_write_b32 a4, v134
	v_addc_co_u32_e32 v131, vcc, v131, v129, vcc
	v_accvgpr_read_b32 v134, a6
	v_accvgpr_write_b32 a3, v131
	v_add_co_u32_e32 v134, vcc, s16, v134
	v_accvgpr_read_b32 v131, a5
	v_accvgpr_write_b32 a6, v134
	;; [unrolled: 6-line block ×38, first 2 shown]
	v_addc_co_u32_e32 v131, vcc, v131, v129, vcc
	v_accvgpr_read_b32 v134, a80
	v_accvgpr_write_b32 a77, v131
	v_add_co_u32_e32 v134, vcc, s16, v134
	v_accvgpr_read_b32 v131, a79
	v_addc_co_u32_e32 v131, vcc, v131, v129, vcc
	v_accvgpr_write_b32 a79, v131
	v_add_co_u32_e32 v212, vcc, s16, v212
	v_accvgpr_read_b32 v131, a81
	v_addc_co_u32_e32 v131, vcc, v131, v129, vcc
	v_accvgpr_write_b32 a81, v131
	v_add_co_u32_e32 v214, vcc, s16, v214
	v_accvgpr_read_b32 v131, a83
	v_addc_co_u32_e32 v131, vcc, v131, v129, vcc
	v_add_co_u32_e32 v216, vcc, s16, v216
	v_addc_co_u32_e32 v213, vcc, v213, v129, vcc
	v_add_co_u32_e32 v218, vcc, s16, v218
	v_addc_co_u32_e32 v215, vcc, v215, v129, vcc
	v_add_co_u32_e32 v220, vcc, s16, v220
	v_addc_co_u32_e32 v217, vcc, v217, v129, vcc
	v_add_co_u32_e32 v222, vcc, s16, v222
	v_addc_co_u32_e32 v219, vcc, v219, v129, vcc
	v_add_co_u32_e32 v224, vcc, s16, v224
	v_addc_co_u32_e32 v221, vcc, v221, v129, vcc
	v_add_co_u32_e32 v226, vcc, s16, v226
	v_addc_co_u32_e32 v223, vcc, v223, v129, vcc
	v_add_co_u32_e32 v228, vcc, s16, v228
	v_addc_co_u32_e32 v225, vcc, v225, v129, vcc
	v_add_co_u32_e32 v230, vcc, s16, v230
	v_addc_co_u32_e32 v227, vcc, v227, v129, vcc
	v_add_co_u32_e32 v232, vcc, s16, v232
	v_addc_co_u32_e32 v229, vcc, v229, v129, vcc
	v_add_co_u32_e32 v234, vcc, s16, v234
	v_addc_co_u32_e32 v231, vcc, v231, v129, vcc
	v_add_co_u32_e32 v236, vcc, s16, v236
	v_addc_co_u32_e32 v233, vcc, v233, v129, vcc
	v_add_co_u32_e32 v238, vcc, s16, v238
	v_addc_co_u32_e32 v235, vcc, v235, v129, vcc
	v_add_co_u32_e32 v240, vcc, s16, v240
	v_addc_co_u32_e32 v237, vcc, v237, v129, vcc
	v_add_co_u32_e32 v242, vcc, s16, v242
	v_addc_co_u32_e32 v239, vcc, v239, v129, vcc
	v_add_co_u32_e32 v244, vcc, s16, v244
	v_addc_co_u32_e32 v241, vcc, v241, v129, vcc
	v_add_co_u32_e32 v246, vcc, s16, v246
	v_addc_co_u32_e32 v243, vcc, v243, v129, vcc
	v_add_co_u32_e32 v248, vcc, s16, v248
	v_addc_co_u32_e32 v245, vcc, v245, v129, vcc
	v_add_co_u32_e32 v250, vcc, s16, v250
	v_addc_co_u32_e32 v247, vcc, v247, v129, vcc
	v_add_co_u32_e32 v252, vcc, s16, v252
	v_addc_co_u32_e32 v249, vcc, v249, v129, vcc
	s_add_u32 s26, s26, s2
	v_add_co_u32_e32 v254, vcc, s16, v254
	s_addc_u32 s27, s27, 0
	v_accvgpr_write_b32 a80, v134
	v_addc_co_u32_e32 v251, vcc, v251, v129, vcc
	v_pk_mov_b32 v[134:135], s[12:13], s[12:13] op_sel:[0,1]
	s_add_u32 s18, s18, s2
	v_cmp_ge_i64_e32 vcc, s[26:27], v[134:135]
	v_accvgpr_write_b32 a83, v131
	s_addc_u32 s19, s19, 0
	v_mov_b32_e32 v134, v138
	v_mov_b32_e32 v135, v139
	s_cbranch_vccnz .LBB97_225
.LBB97_151:                             ; =>This Inner Loop Header: Depth=1
	s_add_u32 s0, s24, s18
	s_addc_u32 s1, 0, s19
	v_pk_mov_b32 v[136:137], s[12:13], s[12:13] op_sel:[0,1]
	v_cmp_ge_i64_e32 vcc, s[0:1], v[136:137]
	v_mov_b32_e32 v129, s25
	v_add_co_u32_e64 v136, s[0:1], s24, v126
	v_addc_co_u32_e64 v137, s[0:1], v129, v253, s[0:1]
	s_cbranch_vccz .LBB97_221
; %bb.152:                              ;   in Loop: Header=BB97_151 Depth=1
	s_load_dword s0, s[10:11], 0xc
	v_mov_b32_e32 v141, 0
	v_mov_b32_e32 v129, 0
	;; [unrolled: 1-line block ×3, first 2 shown]
	s_waitcnt lgkmcnt(0)
	s_and_b32 s0, s0, 0xffff
	v_mad_u32_u24 v131, v205, s0, v207
	v_and_b32_e32 v131, 63, v131
	v_cmp_gt_u32_e32 vcc, 32, v131
	s_and_saveexec_b64 s[0:1], vcc
	s_cbranch_execz .LBB97_156
; %bb.153:                              ;   in Loop: Header=BB97_151 Depth=1
	v_add_co_u32_e32 v138, vcc, v136, v131
	v_addc_co_u32_e32 v139, vcc, 0, v137, vcc
	v_cmp_gt_i64_e32 vcc, s[12:13], v[138:139]
	v_mov_b32_e32 v199, 0
	v_mov_b32_e32 v129, 0
	s_and_saveexec_b64 s[28:29], vcc
	s_cbranch_execz .LBB97_155
; %bb.154:                              ;   in Loop: Header=BB97_151 Depth=1
	v_lshlrev_b64 v[138:139], 2, v[138:139]
	v_mov_b32_e32 v129, s23
	v_add_co_u32_e32 v142, vcc, s22, v138
	v_addc_co_u32_e32 v143, vcc, v129, v139, vcc
	v_mov_b32_e32 v129, s21
	v_add_co_u32_e32 v138, vcc, s20, v138
	v_addc_co_u32_e32 v139, vcc, v129, v139, vcc
	global_load_dword v199, v[138:139], off
	global_load_dword v129, v[142:143], off
.LBB97_155:                             ;   in Loop: Header=BB97_151 Depth=1
	s_or_b64 exec, exec, s[28:29]
.LBB97_156:                             ;   in Loop: Header=BB97_151 Depth=1
	s_or_b64 exec, exec, s[0:1]
	v_cmp_gt_i64_e32 vcc, s[12:13], v[136:137]
	v_mov_b32_e32 v138, 0
	s_and_saveexec_b64 s[0:1], vcc
	s_cbranch_execz .LBB97_158
; %bb.157:                              ;   in Loop: Header=BB97_151 Depth=1
	v_add_co_u32_e32 v138, vcc, v128, v132
	v_addc_co_u32_e32 v139, vcc, v1, v133, vcc
	v_add_co_u32_e32 v140, vcc, v130, v132
	v_addc_co_u32_e32 v141, vcc, v127, v133, vcc
	global_load_ushort v131, v[140:141], off
	s_nop 0
	global_load_ushort v138, v[138:139], off
	s_waitcnt vmcnt(1)
	v_lshlrev_b32_e32 v141, 16, v131
	s_waitcnt vmcnt(0)
	v_lshlrev_b32_e32 v138, 16, v138
.LBB97_158:                             ;   in Loop: Header=BB97_151 Depth=1
	s_or_b64 exec, exec, s[0:1]
	v_add_co_u32_e32 v142, vcc, 1, v136
	v_addc_co_u32_e32 v143, vcc, 0, v137, vcc
	v_cmp_gt_i64_e32 vcc, s[12:13], v[142:143]
	v_mov_b32_e32 v143, 0
	v_mov_b32_e32 v145, 0
	v_mov_b32_e32 v140, 0
	s_and_saveexec_b64 s[0:1], vcc
	s_cbranch_execz .LBB97_160
; %bb.159:                              ;   in Loop: Header=BB97_151 Depth=1
	v_add_co_u32_e32 v144, vcc, v252, v132
	v_addc_co_u32_e32 v145, vcc, v249, v133, vcc
	v_add_co_u32_e32 v146, vcc, v254, v132
	v_addc_co_u32_e32 v147, vcc, v251, v133, vcc
	global_load_ushort v131, v[146:147], off
	global_load_ushort v139, v[144:145], off
	s_waitcnt vmcnt(1)
	v_lshlrev_b32_e32 v145, 16, v131
	s_waitcnt vmcnt(0)
	v_lshlrev_b32_e32 v140, 16, v139
.LBB97_160:                             ;   in Loop: Header=BB97_151 Depth=1
	s_or_b64 exec, exec, s[0:1]
	v_add_co_u32_e32 v146, vcc, 2, v136
	v_addc_co_u32_e32 v147, vcc, 0, v137, vcc
	v_cmp_gt_i64_e32 vcc, s[12:13], v[146:147]
	v_mov_b32_e32 v144, 0
	s_and_saveexec_b64 s[0:1], vcc
	s_cbranch_execz .LBB97_162
; %bb.161:                              ;   in Loop: Header=BB97_151 Depth=1
	v_add_co_u32_e32 v142, vcc, v248, v132
	v_addc_co_u32_e32 v143, vcc, v245, v133, vcc
	v_add_co_u32_e32 v146, vcc, v250, v132
	v_addc_co_u32_e32 v147, vcc, v247, v133, vcc
	global_load_ushort v131, v[146:147], off
	global_load_ushort v139, v[142:143], off
	s_waitcnt vmcnt(1)
	v_lshlrev_b32_e32 v143, 16, v131
	s_waitcnt vmcnt(0)
	v_lshlrev_b32_e32 v144, 16, v139
.LBB97_162:                             ;   in Loop: Header=BB97_151 Depth=1
	s_or_b64 exec, exec, s[0:1]
	v_add_co_u32_e32 v146, vcc, 3, v136
	v_addc_co_u32_e32 v147, vcc, 0, v137, vcc
	v_cmp_gt_i64_e32 vcc, s[12:13], v[146:147]
	v_mov_b32_e32 v147, 0
	v_mov_b32_e32 v149, 0
	v_mov_b32_e32 v148, 0
	s_and_saveexec_b64 s[0:1], vcc
	s_cbranch_execz .LBB97_164
; %bb.163:                              ;   in Loop: Header=BB97_151 Depth=1
	v_add_co_u32_e32 v148, vcc, v244, v132
	v_addc_co_u32_e32 v149, vcc, v241, v133, vcc
	v_add_co_u32_e32 v150, vcc, v246, v132
	v_addc_co_u32_e32 v151, vcc, v243, v133, vcc
	global_load_ushort v131, v[150:151], off
	global_load_ushort v139, v[148:149], off
	s_waitcnt vmcnt(1)
	v_lshlrev_b32_e32 v149, 16, v131
	s_waitcnt vmcnt(0)
	v_lshlrev_b32_e32 v148, 16, v139
.LBB97_164:                             ;   in Loop: Header=BB97_151 Depth=1
	s_or_b64 exec, exec, s[0:1]
	v_add_co_u32_e32 v150, vcc, 4, v136
	v_addc_co_u32_e32 v151, vcc, 0, v137, vcc
	v_cmp_gt_i64_e32 vcc, s[12:13], v[150:151]
	v_mov_b32_e32 v152, 0
	s_and_saveexec_b64 s[0:1], vcc
	s_cbranch_execz .LBB97_166
; %bb.165:                              ;   in Loop: Header=BB97_151 Depth=1
	v_add_co_u32_e32 v146, vcc, v240, v132
	v_addc_co_u32_e32 v147, vcc, v237, v133, vcc
	v_add_co_u32_e32 v150, vcc, v242, v132
	v_addc_co_u32_e32 v151, vcc, v239, v133, vcc
	global_load_ushort v131, v[150:151], off
	global_load_ushort v139, v[146:147], off
	s_waitcnt vmcnt(1)
	v_lshlrev_b32_e32 v147, 16, v131
	s_waitcnt vmcnt(0)
	v_lshlrev_b32_e32 v152, 16, v139
.LBB97_166:                             ;   in Loop: Header=BB97_151 Depth=1
	;; [unrolled: 40-line block ×5, first 2 shown]
	s_or_b64 exec, exec, s[0:1]
	v_add_co_u32_e32 v156, vcc, 11, v136
	v_addc_co_u32_e32 v157, vcc, 0, v137, vcc
	v_cmp_gt_i64_e32 vcc, s[12:13], v[156:157]
	v_mov_b32_e32 v157, 0
	v_mov_b32_e32 v167, 0
	;; [unrolled: 1-line block ×3, first 2 shown]
	s_and_saveexec_b64 s[0:1], vcc
	s_cbranch_execz .LBB97_180
; %bb.179:                              ;   in Loop: Header=BB97_151 Depth=1
	v_add_co_u32_e32 v162, vcc, v212, v132
	v_accvgpr_read_b32 v131, a81
	v_addc_co_u32_e32 v163, vcc, v131, v133, vcc
	v_add_co_u32_e32 v166, vcc, v214, v132
	v_accvgpr_read_b32 v131, a83
	v_addc_co_u32_e32 v167, vcc, v131, v133, vcc
	global_load_ushort v131, v[166:167], off
	global_load_ushort v139, v[162:163], off
	s_waitcnt vmcnt(1)
	v_lshlrev_b32_e32 v167, 16, v131
	s_waitcnt vmcnt(0)
	v_lshlrev_b32_e32 v142, 16, v139
.LBB97_180:                             ;   in Loop: Header=BB97_151 Depth=1
	s_or_b64 exec, exec, s[0:1]
	v_add_co_u32_e32 v162, vcc, 12, v136
	v_addc_co_u32_e32 v163, vcc, 0, v137, vcc
	v_cmp_gt_i64_e32 vcc, s[12:13], v[162:163]
	v_mov_b32_e32 v146, 0
	s_and_saveexec_b64 s[0:1], vcc
	s_cbranch_execz .LBB97_182
; %bb.181:                              ;   in Loop: Header=BB97_151 Depth=1
	v_accvgpr_read_b32 v146, a78
	v_add_co_u32_e32 v156, vcc, v146, v132
	v_accvgpr_read_b32 v131, a77
	v_addc_co_u32_e32 v157, vcc, v131, v133, vcc
	v_accvgpr_read_b32 v146, a80
	v_add_co_u32_e32 v162, vcc, v146, v132
	v_accvgpr_read_b32 v131, a79
	v_addc_co_u32_e32 v163, vcc, v131, v133, vcc
	global_load_ushort v131, v[162:163], off
	global_load_ushort v139, v[156:157], off
	s_waitcnt vmcnt(1)
	v_lshlrev_b32_e32 v157, 16, v131
	s_waitcnt vmcnt(0)
	v_lshlrev_b32_e32 v146, 16, v139
.LBB97_182:                             ;   in Loop: Header=BB97_151 Depth=1
	s_or_b64 exec, exec, s[0:1]
	v_add_co_u32_e32 v162, vcc, 13, v136
	v_addc_co_u32_e32 v163, vcc, 0, v137, vcc
	v_cmp_gt_i64_e32 vcc, s[12:13], v[162:163]
	v_mov_b32_e32 v163, 0
	v_mov_b32_e32 v175, 0
	v_mov_b32_e32 v150, 0
	s_and_saveexec_b64 s[0:1], vcc
	s_cbranch_execz .LBB97_184
; %bb.183:                              ;   in Loop: Header=BB97_151 Depth=1
	v_accvgpr_read_b32 v150, a74
	v_add_co_u32_e32 v168, vcc, v150, v132
	v_accvgpr_read_b32 v131, a73
	v_addc_co_u32_e32 v169, vcc, v131, v133, vcc
	v_accvgpr_read_b32 v150, a76
	v_add_co_u32_e32 v172, vcc, v150, v132
	v_accvgpr_read_b32 v131, a75
	v_addc_co_u32_e32 v173, vcc, v131, v133, vcc
	global_load_ushort v131, v[172:173], off
	global_load_ushort v139, v[168:169], off
	s_waitcnt vmcnt(1)
	v_lshlrev_b32_e32 v175, 16, v131
	s_waitcnt vmcnt(0)
	v_lshlrev_b32_e32 v150, 16, v139
.LBB97_184:                             ;   in Loop: Header=BB97_151 Depth=1
	s_or_b64 exec, exec, s[0:1]
	v_add_co_u32_e32 v168, vcc, 14, v136
	v_addc_co_u32_e32 v169, vcc, 0, v137, vcc
	v_cmp_gt_i64_e32 vcc, s[12:13], v[168:169]
	v_mov_b32_e32 v156, 0
	s_and_saveexec_b64 s[0:1], vcc
	s_cbranch_execz .LBB97_186
; %bb.185:                              ;   in Loop: Header=BB97_151 Depth=1
	v_accvgpr_read_b32 v154, a70
	v_add_co_u32_e32 v162, vcc, v154, v132
	v_accvgpr_read_b32 v131, a69
	v_addc_co_u32_e32 v163, vcc, v131, v133, vcc
	v_accvgpr_read_b32 v154, a72
	v_add_co_u32_e32 v168, vcc, v154, v132
	v_accvgpr_read_b32 v131, a71
	v_addc_co_u32_e32 v169, vcc, v131, v133, vcc
	global_load_ushort v131, v[168:169], off
	global_load_ushort v139, v[162:163], off
	s_waitcnt vmcnt(1)
	v_lshlrev_b32_e32 v163, 16, v131
	s_waitcnt vmcnt(0)
	v_lshlrev_b32_e32 v156, 16, v139
.LBB97_186:                             ;   in Loop: Header=BB97_151 Depth=1
	s_or_b64 exec, exec, s[0:1]
	v_add_co_u32_e32 v168, vcc, 15, v136
	v_addc_co_u32_e32 v169, vcc, 0, v137, vcc
	v_cmp_gt_i64_e32 vcc, s[12:13], v[168:169]
	v_mov_b32_e32 v169, 0
	v_mov_b32_e32 v185, 0
	v_mov_b32_e32 v162, 0
	s_and_saveexec_b64 s[0:1], vcc
	s_cbranch_execz .LBB97_188
; %bb.187:                              ;   in Loop: Header=BB97_151 Depth=1
	v_accvgpr_read_b32 v154, a66
	v_add_co_u32_e32 v172, vcc, v154, v132
	v_accvgpr_read_b32 v131, a65
	v_addc_co_u32_e32 v173, vcc, v131, v133, vcc
	v_accvgpr_read_b32 v154, a68
	v_add_co_u32_e32 v178, vcc, v154, v132
	v_accvgpr_read_b32 v131, a67
	v_addc_co_u32_e32 v179, vcc, v131, v133, vcc
	global_load_ushort v131, v[178:179], off
	global_load_ushort v139, v[172:173], off
	s_waitcnt vmcnt(1)
	v_lshlrev_b32_e32 v185, 16, v131
	s_waitcnt vmcnt(0)
	v_lshlrev_b32_e32 v162, 16, v139
.LBB97_188:                             ;   in Loop: Header=BB97_151 Depth=1
	;; [unrolled: 48-line block ×6, first 2 shown]
	s_or_b64 exec, exec, s[0:1]
	v_add_co_u32_e32 v190, vcc, 24, v136
	v_addc_co_u32_e32 v191, vcc, 0, v137, vcc
	v_cmp_gt_i64_e32 vcc, s[12:13], v[190:191]
	v_mov_b32_e32 v166, 0
	s_and_saveexec_b64 s[0:1], vcc
	s_cbranch_execz .LBB97_206
; %bb.205:                              ;   in Loop: Header=BB97_151 Depth=1
	v_accvgpr_read_b32 v166, a30
	v_add_co_u32_e32 v178, vcc, v166, v132
	v_accvgpr_read_b32 v131, a29
	v_addc_co_u32_e32 v179, vcc, v131, v133, vcc
	v_accvgpr_read_b32 v166, a32
	v_add_co_u32_e32 v190, vcc, v166, v132
	v_accvgpr_read_b32 v131, a31
	v_addc_co_u32_e32 v191, vcc, v131, v133, vcc
	global_load_ushort v131, v[190:191], off
	global_load_ushort v139, v[178:179], off
	s_waitcnt vmcnt(1)
	v_lshlrev_b32_e32 v179, 16, v131
	s_waitcnt vmcnt(0)
	v_lshlrev_b32_e32 v166, 16, v139
.LBB97_206:                             ;   in Loop: Header=BB97_151 Depth=1
	s_or_b64 exec, exec, s[0:1]
	v_add_co_u32_e32 v190, vcc, 25, v136
	v_addc_co_u32_e32 v191, vcc, 0, v137, vcc
	v_cmp_gt_i64_e32 vcc, s[12:13], v[190:191]
	v_mov_b32_e32 v191, 0
	v_mov_b32_e32 v204, 0
	;; [unrolled: 1-line block ×3, first 2 shown]
	s_and_saveexec_b64 s[0:1], vcc
	s_cbranch_execz .LBB97_208
; %bb.207:                              ;   in Loop: Header=BB97_151 Depth=1
	v_accvgpr_read_b32 v172, a26
	v_add_co_u32_e32 v194, vcc, v172, v132
	v_accvgpr_read_b32 v131, a25
	v_addc_co_u32_e32 v195, vcc, v131, v133, vcc
	v_accvgpr_read_b32 v172, a28
	v_add_co_u32_e32 v204, vcc, v172, v132
	v_accvgpr_read_b32 v131, a27
	v_mov_b32_e32 v139, v205
	v_addc_co_u32_e32 v205, vcc, v131, v133, vcc
	global_load_ushort v131, v[204:205], off
	v_mov_b32_e32 v205, v139
	global_load_ushort v139, v[194:195], off
	s_waitcnt vmcnt(1)
	v_lshlrev_b32_e32 v204, 16, v131
	s_waitcnt vmcnt(0)
	v_lshlrev_b32_e32 v172, 16, v139
.LBB97_208:                             ;   in Loop: Header=BB97_151 Depth=1
	s_or_b64 exec, exec, s[0:1]
	v_add_co_u32_e32 v194, vcc, 26, v136
	v_addc_co_u32_e32 v195, vcc, 0, v137, vcc
	v_cmp_gt_i64_e32 vcc, s[12:13], v[194:195]
	v_mov_b32_e32 v178, 0
	s_and_saveexec_b64 s[0:1], vcc
	s_cbranch_execz .LBB97_210
; %bb.209:                              ;   in Loop: Header=BB97_151 Depth=1
	v_accvgpr_read_b32 v178, a22
	v_add_co_u32_e32 v190, vcc, v178, v132
	v_accvgpr_read_b32 v131, a21
	v_addc_co_u32_e32 v191, vcc, v131, v133, vcc
	v_accvgpr_read_b32 v178, a24
	v_add_co_u32_e32 v194, vcc, v178, v132
	v_accvgpr_read_b32 v131, a23
	v_addc_co_u32_e32 v195, vcc, v131, v133, vcc
	global_load_ushort v131, v[194:195], off
	global_load_ushort v139, v[190:191], off
	s_waitcnt vmcnt(1)
	v_lshlrev_b32_e32 v191, 16, v131
	s_waitcnt vmcnt(0)
	v_lshlrev_b32_e32 v178, 16, v139
.LBB97_210:                             ;   in Loop: Header=BB97_151 Depth=1
	s_or_b64 exec, exec, s[0:1]
	v_add_co_u32_e32 v194, vcc, 27, v136
	v_addc_co_u32_e32 v195, vcc, 0, v137, vcc
	v_cmp_gt_i64_e32 vcc, s[12:13], v[194:195]
	v_mov_b32_e32 v195, 0
	v_mov_b32_e32 v206, 0
	;; [unrolled: 1-line block ×3, first 2 shown]
	s_and_saveexec_b64 s[0:1], vcc
	s_cbranch_execz .LBB97_212
; %bb.211:                              ;   in Loop: Header=BB97_151 Depth=1
	v_accvgpr_read_b32 v184, a18
	v_add_co_u32_e32 v206, vcc, v184, v132
	v_accvgpr_read_b32 v131, a17
	v_mov_b32_e32 v153, v207
	v_addc_co_u32_e32 v207, vcc, v131, v133, vcc
	v_accvgpr_read_b32 v184, a20
	v_add_co_u32_e32 v208, vcc, v184, v132
	v_accvgpr_read_b32 v131, a19
	v_addc_co_u32_e32 v209, vcc, v131, v133, vcc
	global_load_ushort v131, v[208:209], off
	global_load_ushort v139, v[206:207], off
	v_mov_b32_e32 v207, v153
	s_waitcnt vmcnt(1)
	v_lshlrev_b32_e32 v206, 16, v131
	s_waitcnt vmcnt(0)
	v_lshlrev_b32_e32 v184, 16, v139
.LBB97_212:                             ;   in Loop: Header=BB97_151 Depth=1
	s_or_b64 exec, exec, s[0:1]
	v_add_co_u32_e32 v208, vcc, 28, v136
	v_addc_co_u32_e32 v209, vcc, 0, v137, vcc
	v_cmp_gt_i64_e32 vcc, s[12:13], v[208:209]
	v_mov_b32_e32 v190, 0
	s_and_saveexec_b64 s[0:1], vcc
	s_cbranch_execz .LBB97_214
; %bb.213:                              ;   in Loop: Header=BB97_151 Depth=1
	v_accvgpr_read_b32 v190, a14
	v_add_co_u32_e32 v194, vcc, v190, v132
	v_accvgpr_read_b32 v131, a13
	v_addc_co_u32_e32 v195, vcc, v131, v133, vcc
	v_accvgpr_read_b32 v190, a16
	v_add_co_u32_e32 v208, vcc, v190, v132
	v_accvgpr_read_b32 v131, a15
	v_addc_co_u32_e32 v209, vcc, v131, v133, vcc
	global_load_ushort v131, v[208:209], off
	global_load_ushort v139, v[194:195], off
	s_waitcnt vmcnt(1)
	v_lshlrev_b32_e32 v195, 16, v131
	s_waitcnt vmcnt(0)
	v_lshlrev_b32_e32 v190, 16, v139
.LBB97_214:                             ;   in Loop: Header=BB97_151 Depth=1
	s_or_b64 exec, exec, s[0:1]
	v_add_co_u32_e32 v208, vcc, 29, v136
	v_addc_co_u32_e32 v209, vcc, 0, v137, vcc
	v_mov_b32_e32 v131, 0
	v_mov_b32_e32 v203, 0
	;; [unrolled: 1-line block ×3, first 2 shown]
	v_cmp_gt_i64_e32 vcc, s[12:13], v[208:209]
	s_mov_b64 s[0:1], exec
	s_and_b64 s[28:29], s[0:1], vcc
	v_accvgpr_write_b32 a2, v210
	s_mov_b64 exec, s[28:29]
	s_cbranch_execz .LBB97_216
; %bb.215:                              ;   in Loop: Header=BB97_151 Depth=1
	v_accvgpr_read_b32 v194, a10
	v_add_co_u32_e32 v208, vcc, v194, v132
	v_accvgpr_read_b32 v139, a9
	v_addc_co_u32_e32 v209, vcc, v139, v133, vcc
	v_accvgpr_read_b32 v194, a12
	v_add_co_u32_e32 v210, vcc, v194, v132
	v_accvgpr_read_b32 v139, a11
	v_addc_co_u32_e32 v211, vcc, v139, v133, vcc
	global_load_ushort v139, v[210:211], off
	global_load_ushort v153, v[208:209], off
	v_accvgpr_read_b32 v210, a2
	s_waitcnt vmcnt(1)
	v_lshlrev_b32_e32 v203, 16, v139
	s_waitcnt vmcnt(0)
	v_lshlrev_b32_e32 v194, 16, v153
.LBB97_216:                             ;   in Loop: Header=BB97_151 Depth=1
	s_or_b64 exec, exec, s[0:1]
	v_add_co_u32_e32 v208, vcc, 30, v136
	v_addc_co_u32_e32 v209, vcc, 0, v137, vcc
	v_cmp_gt_i64_e32 vcc, s[12:13], v[208:209]
	v_mov_b32_e32 v200, 0
	s_and_saveexec_b64 s[0:1], vcc
	s_cbranch_execz .LBB97_218
; %bb.217:                              ;   in Loop: Header=BB97_151 Depth=1
	v_accvgpr_read_b32 v198, a6
	v_add_co_u32_e32 v208, vcc, v198, v132
	v_accvgpr_read_b32 v131, a5
	v_addc_co_u32_e32 v209, vcc, v131, v133, vcc
	v_accvgpr_read_b32 v198, a8
	v_add_co_u32_e32 v210, vcc, v198, v132
	v_accvgpr_read_b32 v131, a7
	v_addc_co_u32_e32 v211, vcc, v131, v133, vcc
	global_load_ushort v131, v[210:211], off
	global_load_ushort v139, v[208:209], off
	v_accvgpr_read_b32 v210, a2
	s_waitcnt vmcnt(1)
	v_lshlrev_b32_e32 v131, 16, v131
	s_waitcnt vmcnt(0)
	v_lshlrev_b32_e32 v200, 16, v139
.LBB97_218:                             ;   in Loop: Header=BB97_151 Depth=1
	s_or_b64 exec, exec, s[0:1]
	v_add_co_u32_e32 v208, vcc, 31, v136
	v_addc_co_u32_e32 v209, vcc, 0, v137, vcc
	v_cmp_gt_i64_e32 vcc, s[12:13], v[208:209]
	v_mov_b32_e32 v255, 0
	v_mov_b32_e32 v198, 0
	s_and_saveexec_b64 s[0:1], vcc
	s_cbranch_execz .LBB97_220
; %bb.219:                              ;   in Loop: Header=BB97_151 Depth=1
	v_add_co_u32_e32 v208, vcc, v210, v132
	v_accvgpr_read_b32 v139, a1
	v_addc_co_u32_e32 v209, vcc, v139, v133, vcc
	v_accvgpr_read_b32 v198, a4
	v_add_co_u32_e32 v210, vcc, v198, v132
	v_accvgpr_read_b32 v139, a3
	v_addc_co_u32_e32 v211, vcc, v139, v133, vcc
	global_load_ushort v139, v[210:211], off
	global_load_ushort v153, v[208:209], off
	v_accvgpr_read_b32 v210, a2
	s_waitcnt vmcnt(1)
	v_lshlrev_b32_e32 v255, 16, v139
	s_waitcnt vmcnt(0)
	v_lshlrev_b32_e32 v198, 16, v153
.LBB97_220:                             ;   in Loop: Header=BB97_151 Depth=1
	s_or_b64 exec, exec, s[0:1]
	s_waitcnt vmcnt(1)
	ds_bpermute_b32 v153, v0, v199
	s_waitcnt vmcnt(0)
	ds_bpermute_b32 v139, v0, v129
	s_waitcnt lgkmcnt(1)
	v_sub_f32_e32 v141, v141, v153
	ds_bpermute_b32 v153, v0, v199 offset:4
	v_mul_f32_e32 v141, v138, v141
	s_waitcnt lgkmcnt(1)
	v_mul_f32_e32 v139, v141, v139
	ds_bpermute_b32 v141, v0, v129 offset:4
	v_pk_add_f32 v[138:139], v[134:135], v[138:139]
	s_waitcnt lgkmcnt(1)
	v_sub_f32_e32 v145, v145, v153
	ds_bpermute_b32 v153, v0, v199 offset:8
	v_mul_f32_e32 v145, v140, v145
	s_waitcnt lgkmcnt(1)
	v_mul_f32_e32 v141, v145, v141
	ds_bpermute_b32 v145, v0, v129 offset:8
	v_pk_add_f32 v[138:139], v[138:139], v[140:141]
	s_waitcnt lgkmcnt(1)
	v_sub_f32_e32 v143, v143, v153
	ds_bpermute_b32 v153, v0, v199 offset:12
	v_mul_f32_e32 v143, v144, v143
	s_waitcnt lgkmcnt(1)
	v_mul_f32_e32 v145, v143, v145
	ds_bpermute_b32 v143, v0, v129 offset:12
	ds_bpermute_b32 v141, v0, v199 offset:44
	s_waitcnt lgkmcnt(2)
	v_sub_f32_e32 v149, v149, v153
	ds_bpermute_b32 v153, v0, v199 offset:16
	v_mul_f32_e32 v149, v148, v149
	s_waitcnt lgkmcnt(2)
	v_mul_f32_e32 v149, v149, v143
	ds_bpermute_b32 v143, v0, v129 offset:16
	ds_bpermute_b32 v140, v0, v129 offset:44
	s_waitcnt lgkmcnt(2)
	v_sub_f32_e32 v147, v147, v153
	v_mul_f32_e32 v147, v152, v147
	v_sub_f32_e32 v141, v167, v141
	s_waitcnt lgkmcnt(1)
	v_mul_f32_e32 v153, v147, v143
	ds_bpermute_b32 v147, v0, v199 offset:20
	ds_bpermute_b32 v143, v0, v129 offset:20
	v_mul_f32_e32 v141, v142, v141
	v_pk_add_f32 v[138:139], v[138:139], v[144:145]
	v_pk_add_f32 v[138:139], v[138:139], v[148:149]
	s_waitcnt lgkmcnt(1)
	v_sub_f32_e32 v147, v159, v147
	v_mul_f32_e32 v147, v158, v147
	s_waitcnt lgkmcnt(0)
	v_mul_f32_e32 v159, v147, v143
	ds_bpermute_b32 v147, v0, v199 offset:24
	ds_bpermute_b32 v143, v0, v129 offset:24
	v_pk_add_f32 v[138:139], v[138:139], v[152:153]
	v_pk_add_f32 v[138:139], v[138:139], v[158:159]
	s_waitcnt lgkmcnt(1)
	v_sub_f32_e32 v147, v151, v147
	v_mul_f32_e32 v147, v164, v147
	s_waitcnt lgkmcnt(0)
	v_mul_f32_e32 v165, v147, v143
	ds_bpermute_b32 v147, v0, v199 offset:28
	ds_bpermute_b32 v143, v0, v129 offset:28
	v_pk_add_f32 v[138:139], v[138:139], v[164:165]
	s_waitcnt lgkmcnt(1)
	v_sub_f32_e32 v147, v171, v147
	v_mul_f32_e32 v147, v170, v147
	s_waitcnt lgkmcnt(0)
	v_mul_f32_e32 v171, v147, v143
	ds_bpermute_b32 v147, v0, v199 offset:32
	ds_bpermute_b32 v143, v0, v129 offset:32
	;; [unrolled: 8-line block ×4, first 2 shown]
	v_pk_add_f32 v[138:139], v[138:139], v[182:183]
	s_waitcnt lgkmcnt(1)
	v_sub_f32_e32 v147, v161, v147
	v_mul_f32_e32 v147, v188, v147
	s_waitcnt lgkmcnt(0)
	v_mul_f32_e32 v189, v147, v143
	v_mul_f32_e32 v143, v141, v140
	ds_bpermute_b32 v141, v0, v199 offset:48
	ds_bpermute_b32 v140, v0, v129 offset:48
	v_pk_add_f32 v[138:139], v[138:139], v[188:189]
	v_pk_add_f32 v[138:139], v[138:139], v[142:143]
	s_waitcnt lgkmcnt(1)
	v_sub_f32_e32 v141, v157, v141
	v_mul_f32_e32 v141, v146, v141
	s_waitcnt lgkmcnt(0)
	v_mul_f32_e32 v147, v141, v140
	ds_bpermute_b32 v141, v0, v199 offset:52
	ds_bpermute_b32 v140, v0, v129 offset:52
	v_pk_add_f32 v[138:139], v[138:139], v[146:147]
	s_waitcnt lgkmcnt(1)
	v_sub_f32_e32 v141, v175, v141
	v_mul_f32_e32 v141, v150, v141
	s_waitcnt lgkmcnt(0)
	v_mul_f32_e32 v151, v141, v140
	ds_bpermute_b32 v141, v0, v199 offset:56
	ds_bpermute_b32 v140, v0, v129 offset:56
	v_pk_add_f32 v[138:139], v[138:139], v[150:151]
	s_waitcnt lgkmcnt(1)
	v_sub_f32_e32 v141, v163, v141
	v_mul_f32_e32 v141, v156, v141
	s_waitcnt lgkmcnt(0)
	v_mul_f32_e32 v157, v141, v140
	ds_bpermute_b32 v141, v0, v199 offset:60
	ds_bpermute_b32 v140, v0, v129 offset:60
	v_pk_add_f32 v[138:139], v[138:139], v[156:157]
	s_waitcnt lgkmcnt(1)
	v_sub_f32_e32 v141, v185, v141
	v_mul_f32_e32 v141, v162, v141
	s_waitcnt lgkmcnt(0)
	v_mul_f32_e32 v163, v141, v140
	ds_bpermute_b32 v141, v0, v199 offset:64
	ds_bpermute_b32 v140, v0, v129 offset:64
	v_pk_add_f32 v[138:139], v[138:139], v[162:163]
	s_waitcnt lgkmcnt(1)
	v_sub_f32_e32 v141, v169, v141
	v_mul_f32_e32 v141, v168, v141
	s_waitcnt lgkmcnt(0)
	v_mul_f32_e32 v169, v141, v140
	ds_bpermute_b32 v141, v0, v199 offset:68
	ds_bpermute_b32 v140, v0, v129 offset:68
	v_pk_add_f32 v[138:139], v[138:139], v[168:169]
	s_waitcnt lgkmcnt(1)
	v_sub_f32_e32 v141, v187, v141
	v_mul_f32_e32 v141, v174, v141
	s_waitcnt lgkmcnt(0)
	v_mul_f32_e32 v175, v141, v140
	ds_bpermute_b32 v141, v0, v199 offset:72
	ds_bpermute_b32 v140, v0, v129 offset:72
	v_pk_add_f32 v[138:139], v[138:139], v[174:175]
	s_waitcnt lgkmcnt(1)
	v_sub_f32_e32 v141, v181, v141
	v_mul_f32_e32 v141, v180, v141
	s_waitcnt lgkmcnt(0)
	v_mul_f32_e32 v181, v141, v140
	ds_bpermute_b32 v141, v0, v199 offset:76
	ds_bpermute_b32 v140, v0, v129 offset:76
	v_pk_add_f32 v[138:139], v[138:139], v[180:181]
	s_waitcnt lgkmcnt(1)
	v_sub_f32_e32 v141, v197, v141
	v_mul_f32_e32 v141, v186, v141
	s_waitcnt lgkmcnt(0)
	v_mul_f32_e32 v187, v141, v140
	ds_bpermute_b32 v141, v0, v199 offset:80
	ds_bpermute_b32 v140, v0, v129 offset:80
	v_pk_add_f32 v[138:139], v[138:139], v[186:187]
	s_waitcnt lgkmcnt(1)
	v_sub_f32_e32 v141, v193, v141
	v_mul_f32_e32 v141, v192, v141
	s_waitcnt lgkmcnt(0)
	v_mul_f32_e32 v193, v141, v140
	ds_bpermute_b32 v141, v0, v199 offset:84
	ds_bpermute_b32 v140, v0, v129 offset:84
	v_pk_add_f32 v[138:139], v[138:139], v[192:193]
	s_waitcnt lgkmcnt(1)
	v_sub_f32_e32 v141, v202, v141
	v_mul_f32_e32 v141, v196, v141
	s_waitcnt lgkmcnt(0)
	v_mul_f32_e32 v197, v141, v140
	ds_bpermute_b32 v141, v0, v199 offset:88
	ds_bpermute_b32 v140, v0, v129 offset:88
	v_pk_add_f32 v[138:139], v[138:139], v[196:197]
	s_waitcnt lgkmcnt(1)
	v_sub_f32_e32 v141, v173, v141
	v_mul_f32_e32 v141, v154, v141
	s_waitcnt lgkmcnt(0)
	v_mul_f32_e32 v155, v141, v140
	ds_bpermute_b32 v141, v0, v199 offset:92
	ds_bpermute_b32 v140, v0, v129 offset:92
	v_pk_add_f32 v[138:139], v[138:139], v[154:155]
	s_waitcnt lgkmcnt(1)
	v_sub_f32_e32 v141, v201, v141
	v_mul_f32_e32 v141, v160, v141
	s_waitcnt lgkmcnt(0)
	v_mul_f32_e32 v161, v141, v140
	ds_bpermute_b32 v141, v0, v199 offset:96
	ds_bpermute_b32 v140, v0, v129 offset:96
	v_pk_add_f32 v[138:139], v[138:139], v[160:161]
	s_waitcnt lgkmcnt(1)
	v_sub_f32_e32 v141, v179, v141
	v_mul_f32_e32 v141, v166, v141
	s_waitcnt lgkmcnt(0)
	v_mul_f32_e32 v167, v141, v140
	ds_bpermute_b32 v141, v0, v199 offset:100
	ds_bpermute_b32 v140, v0, v129 offset:100
	v_pk_add_f32 v[138:139], v[138:139], v[166:167]
	s_waitcnt lgkmcnt(1)
	v_sub_f32_e32 v141, v204, v141
	v_mul_f32_e32 v141, v172, v141
	s_waitcnt lgkmcnt(0)
	v_mul_f32_e32 v173, v141, v140
	ds_bpermute_b32 v141, v0, v199 offset:104
	ds_bpermute_b32 v140, v0, v129 offset:104
	v_pk_add_f32 v[138:139], v[138:139], v[172:173]
	s_waitcnt lgkmcnt(1)
	v_sub_f32_e32 v141, v191, v141
	v_mul_f32_e32 v141, v178, v141
	s_waitcnt lgkmcnt(0)
	v_mul_f32_e32 v179, v141, v140
	ds_bpermute_b32 v141, v0, v199 offset:108
	ds_bpermute_b32 v140, v0, v129 offset:108
	v_pk_add_f32 v[138:139], v[138:139], v[178:179]
	s_waitcnt lgkmcnt(1)
	v_sub_f32_e32 v141, v206, v141
	v_mul_f32_e32 v141, v184, v141
	s_waitcnt lgkmcnt(0)
	v_mul_f32_e32 v185, v141, v140
	ds_bpermute_b32 v141, v0, v199 offset:112
	ds_bpermute_b32 v140, v0, v129 offset:112
	v_pk_add_f32 v[138:139], v[138:139], v[184:185]
	s_waitcnt lgkmcnt(1)
	v_sub_f32_e32 v141, v195, v141
	v_mul_f32_e32 v141, v190, v141
	s_waitcnt lgkmcnt(0)
	v_mul_f32_e32 v191, v141, v140
	ds_bpermute_b32 v141, v0, v199 offset:116
	ds_bpermute_b32 v140, v0, v129 offset:116
	v_pk_add_f32 v[138:139], v[138:139], v[190:191]
	s_waitcnt lgkmcnt(1)
	v_sub_f32_e32 v141, v203, v141
	v_mul_f32_e32 v141, v194, v141
	s_waitcnt lgkmcnt(0)
	v_mul_f32_e32 v195, v141, v140
	ds_bpermute_b32 v141, v0, v199 offset:120
	ds_bpermute_b32 v140, v0, v129 offset:120
	ds_bpermute_b32 v129, v0, v129 offset:124
	v_pk_add_f32 v[138:139], v[138:139], v[194:195]
	s_waitcnt lgkmcnt(2)
	v_sub_f32_e32 v131, v131, v141
	v_mul_f32_e32 v131, v200, v131
	s_waitcnt lgkmcnt(1)
	v_mul_f32_e32 v201, v131, v140
	ds_bpermute_b32 v131, v0, v199 offset:124
	v_pk_add_f32 v[138:139], v[138:139], v[200:201]
	s_waitcnt lgkmcnt(0)
	v_sub_f32_e32 v131, v255, v131
	v_mul_f32_e32 v131, v198, v131
	v_mul_f32_e32 v199, v131, v129
	v_pk_add_f32 v[138:139], v[138:139], v[198:199]
	s_branch .LBB97_150
.LBB97_221:                             ;   in Loop: Header=BB97_151 Depth=1
                                        ; implicit-def: $vgpr138_vgpr139
	s_cbranch_execz .LBB97_150
; %bb.222:                              ;   in Loop: Header=BB97_151 Depth=1
	s_load_dword s0, s[10:11], 0x0
	v_accvgpr_read_b32 v129, a85
	v_mov_b32_e32 v157, 0
	s_waitcnt lgkmcnt(0)
	s_cmp_lt_u32 s6, s0
	s_cselect_b32 s0, 12, 18
	s_add_u32 s0, s10, s0
	s_addc_u32 s1, s11, 0
	global_load_ushort v129, v129, s[0:1]
	s_waitcnt vmcnt(0)
	v_mad_u32_u24 v129, v205, v129, v207
	v_and_b32_e32 v131, 63, v129
	v_cmp_gt_u32_e32 vcc, 32, v131
	v_mov_b32_e32 v129, 0
	s_and_saveexec_b64 s[0:1], vcc
	s_cbranch_execz .LBB97_149
; %bb.223:                              ;   in Loop: Header=BB97_151 Depth=1
	v_add_co_u32_e32 v136, vcc, v136, v131
	v_addc_co_u32_e32 v137, vcc, 0, v137, vcc
	v_cmp_gt_i64_e32 vcc, s[12:13], v[136:137]
	v_mov_b32_e32 v129, 0
	v_mov_b32_e32 v157, 0
	s_and_saveexec_b64 s[28:29], vcc
	s_cbranch_execz .LBB97_148
; %bb.224:                              ;   in Loop: Header=BB97_151 Depth=1
	v_lshlrev_b64 v[136:137], 2, v[136:137]
	v_mov_b32_e32 v129, s23
	v_add_co_u32_e32 v138, vcc, s22, v136
	v_addc_co_u32_e32 v139, vcc, v129, v137, vcc
	v_mov_b32_e32 v129, s21
	v_add_co_u32_e32 v136, vcc, s20, v136
	v_addc_co_u32_e32 v137, vcc, v129, v137, vcc
	global_load_dword v129, v[136:137], off
	global_load_dword v157, v[138:139], off
	s_branch .LBB97_148
.LBB97_225:
	v_accvgpr_read_b32 v253, a0
.LBB97_226:
	s_mov_b32 s7, 0
	s_lshl_b64 s[0:1], s[6:7], 6
	v_and_b32_e32 v0, 0x3ff, v253
	v_or_b32_e32 v4, s0, v0
	v_mov_b32_e32 v5, s1
	v_cmp_gt_i64_e32 vcc, s[14:15], v[4:5]
	s_and_saveexec_b64 s[0:1], vcc
	s_cbranch_execz .LBB97_231
; %bb.227:
	s_load_dword s6, s[4:5], 0x4c
	s_load_dwordx4 s[0:3], s[4:5], 0x30
	v_bfe_u32 v0, v253, 10, 10
	v_mov_b32_e32 v1, 0
	v_mov_b32_e32 v2, s8
	s_waitcnt lgkmcnt(0)
	s_lshr_b32 s4, s6, 16
	v_mad_u64_u32 v[2:3], s[4:5], s4, v2, v[0:1]
	s_cmp_eq_u64 s[0:1], 0
	v_mul_lo_u32 v3, v3, s14
	v_mul_lo_u32 v6, v2, s15
	v_lshlrev_b64 v[0:1], 1, v[4:5]
	s_cbranch_scc1 .LBB97_229
; %bb.228:
	v_bfe_u32 v4, v139, 16, 1
	s_movk_i32 s4, 0x7fff
	v_add3_u32 v4, v139, v4, s4
	v_lshrrev_b32_e32 v4, 16, v4
	v_mov_b32_e32 v5, 0x7fc0
	v_cmp_o_f32_e32 vcc, v139, v139
	v_cndmask_b32_e32 v7, v5, v4, vcc
	v_mad_u64_u32 v[4:5], s[4:5], v2, s14, 0
	v_add3_u32 v5, v5, v6, v3
	v_lshlrev_b64 v[4:5], 1, v[4:5]
	v_mov_b32_e32 v8, s1
	v_add_co_u32_e32 v4, vcc, s0, v4
	v_addc_co_u32_e32 v5, vcc, v8, v5, vcc
	v_add_co_u32_e32 v4, vcc, v4, v0
	v_addc_co_u32_e32 v5, vcc, v5, v1, vcc
	global_store_short v[4:5], v7, off
.LBB97_229:
	s_cmp_eq_u64 s[2:3], 0
	s_cbranch_scc1 .LBB97_231
; %bb.230:
	v_bfe_u32 v4, v138, 16, 1
	s_movk_i32 s0, 0x7fff
	v_add3_u32 v4, v138, v4, s0
	v_lshrrev_b32_e32 v4, 16, v4
	v_mov_b32_e32 v5, 0x7fc0
	v_cmp_o_f32_e32 vcc, v138, v138
	v_cndmask_b32_e32 v7, v5, v4, vcc
	v_mad_u64_u32 v[4:5], s[0:1], v2, s14, 0
	v_add3_u32 v5, v5, v6, v3
	v_lshlrev_b64 v[2:3], 1, v[4:5]
	v_mov_b32_e32 v4, s3
	v_add_co_u32_e32 v2, vcc, s2, v2
	v_addc_co_u32_e32 v3, vcc, v4, v3, vcc
	v_add_co_u32_e32 v0, vcc, v2, v0
	v_addc_co_u32_e32 v1, vcc, v3, v1, vcc
	global_store_short v[0:1], v7, off
.LBB97_231:
	s_endpgm
	.section	.rodata,"a",@progbits
	.p2align	6, 0x0
	.amdhsa_kernel _ZN2at6native12_GLOBAL__N_135GammaBetaBackwardCUDAKernelTemplateIN3c108BFloat16EfLj64ELj1ELj32ELb1ELb0ELb0EEEvllPKT_S7_PKT0_SA_PS5_SB_
		.amdhsa_group_segment_fixed_size 0
		.amdhsa_private_segment_fixed_size 0
		.amdhsa_kernarg_size 320
		.amdhsa_user_sgpr_count 6
		.amdhsa_user_sgpr_private_segment_buffer 1
		.amdhsa_user_sgpr_dispatch_ptr 0
		.amdhsa_user_sgpr_queue_ptr 0
		.amdhsa_user_sgpr_kernarg_segment_ptr 1
		.amdhsa_user_sgpr_dispatch_id 0
		.amdhsa_user_sgpr_flat_scratch_init 0
		.amdhsa_user_sgpr_kernarg_preload_length 0
		.amdhsa_user_sgpr_kernarg_preload_offset 0
		.amdhsa_user_sgpr_private_segment_size 0
		.amdhsa_uses_dynamic_stack 0
		.amdhsa_system_sgpr_private_segment_wavefront_offset 0
		.amdhsa_system_sgpr_workgroup_id_x 1
		.amdhsa_system_sgpr_workgroup_id_y 1
		.amdhsa_system_sgpr_workgroup_id_z 0
		.amdhsa_system_sgpr_workgroup_info 0
		.amdhsa_system_vgpr_workitem_id 1
		.amdhsa_next_free_vgpr 342
		.amdhsa_next_free_sgpr 38
		.amdhsa_accum_offset 256
		.amdhsa_reserve_vcc 1
		.amdhsa_reserve_flat_scratch 0
		.amdhsa_float_round_mode_32 0
		.amdhsa_float_round_mode_16_64 0
		.amdhsa_float_denorm_mode_32 3
		.amdhsa_float_denorm_mode_16_64 3
		.amdhsa_dx10_clamp 1
		.amdhsa_ieee_mode 1
		.amdhsa_fp16_overflow 0
		.amdhsa_tg_split 0
		.amdhsa_exception_fp_ieee_invalid_op 0
		.amdhsa_exception_fp_denorm_src 0
		.amdhsa_exception_fp_ieee_div_zero 0
		.amdhsa_exception_fp_ieee_overflow 0
		.amdhsa_exception_fp_ieee_underflow 0
		.amdhsa_exception_fp_ieee_inexact 0
		.amdhsa_exception_int_div_zero 0
	.end_amdhsa_kernel
	.section	.text._ZN2at6native12_GLOBAL__N_135GammaBetaBackwardCUDAKernelTemplateIN3c108BFloat16EfLj64ELj1ELj32ELb1ELb0ELb0EEEvllPKT_S7_PKT0_SA_PS5_SB_,"axG",@progbits,_ZN2at6native12_GLOBAL__N_135GammaBetaBackwardCUDAKernelTemplateIN3c108BFloat16EfLj64ELj1ELj32ELb1ELb0ELb0EEEvllPKT_S7_PKT0_SA_PS5_SB_,comdat
.Lfunc_end97:
	.size	_ZN2at6native12_GLOBAL__N_135GammaBetaBackwardCUDAKernelTemplateIN3c108BFloat16EfLj64ELj1ELj32ELb1ELb0ELb0EEEvllPKT_S7_PKT0_SA_PS5_SB_, .Lfunc_end97-_ZN2at6native12_GLOBAL__N_135GammaBetaBackwardCUDAKernelTemplateIN3c108BFloat16EfLj64ELj1ELj32ELb1ELb0ELb0EEEvllPKT_S7_PKT0_SA_PS5_SB_
                                        ; -- End function
	.section	.AMDGPU.csdata,"",@progbits
; Kernel info:
; codeLenInByte = 26684
; NumSgprs: 42
; NumVgprs: 256
; NumAgprs: 86
; TotalNumVgprs: 342
; ScratchSize: 0
; MemoryBound: 0
; FloatMode: 240
; IeeeMode: 1
; LDSByteSize: 0 bytes/workgroup (compile time only)
; SGPRBlocks: 5
; VGPRBlocks: 42
; NumSGPRsForWavesPerEU: 42
; NumVGPRsForWavesPerEU: 342
; AccumOffset: 256
; Occupancy: 1
; WaveLimiterHint : 0
; COMPUTE_PGM_RSRC2:SCRATCH_EN: 0
; COMPUTE_PGM_RSRC2:USER_SGPR: 6
; COMPUTE_PGM_RSRC2:TRAP_HANDLER: 0
; COMPUTE_PGM_RSRC2:TGID_X_EN: 1
; COMPUTE_PGM_RSRC2:TGID_Y_EN: 1
; COMPUTE_PGM_RSRC2:TGID_Z_EN: 0
; COMPUTE_PGM_RSRC2:TIDIG_COMP_CNT: 1
; COMPUTE_PGM_RSRC3_GFX90A:ACCUM_OFFSET: 63
; COMPUTE_PGM_RSRC3_GFX90A:TG_SPLIT: 0
	.section	.text._ZN2at6native12_GLOBAL__N_135GammaBetaBackwardCUDAKernelTemplateIN3c108BFloat16EfLj64ELj1ELj8ELb1ELb1ELb0EEEvllPKT_S7_PKT0_SA_PS5_SB_,"axG",@progbits,_ZN2at6native12_GLOBAL__N_135GammaBetaBackwardCUDAKernelTemplateIN3c108BFloat16EfLj64ELj1ELj8ELb1ELb1ELb0EEEvllPKT_S7_PKT0_SA_PS5_SB_,comdat
	.globl	_ZN2at6native12_GLOBAL__N_135GammaBetaBackwardCUDAKernelTemplateIN3c108BFloat16EfLj64ELj1ELj8ELb1ELb1ELb0EEEvllPKT_S7_PKT0_SA_PS5_SB_ ; -- Begin function _ZN2at6native12_GLOBAL__N_135GammaBetaBackwardCUDAKernelTemplateIN3c108BFloat16EfLj64ELj1ELj8ELb1ELb1ELb0EEEvllPKT_S7_PKT0_SA_PS5_SB_
	.p2align	8
	.type	_ZN2at6native12_GLOBAL__N_135GammaBetaBackwardCUDAKernelTemplateIN3c108BFloat16EfLj64ELj1ELj8ELb1ELb1ELb0EEEvllPKT_S7_PKT0_SA_PS5_SB_,@function
_ZN2at6native12_GLOBAL__N_135GammaBetaBackwardCUDAKernelTemplateIN3c108BFloat16EfLj64ELj1ELj8ELb1ELb1ELb0EEEvllPKT_S7_PKT0_SA_PS5_SB_: ; @_ZN2at6native12_GLOBAL__N_135GammaBetaBackwardCUDAKernelTemplateIN3c108BFloat16EfLj64ELj1ELj8ELb1ELb1ELb0EEEvllPKT_S7_PKT0_SA_PS5_SB_
; %bb.0:
	s_load_dwordx4 s[16:19], s[4:5], 0x0
	s_lshl_b32 s24, s7, 3
	s_mov_b32 s25, 0
	s_mov_b32 s2, s7
	v_bfe_u32 v10, v0, 10, 10
	s_waitcnt lgkmcnt(0)
	v_pk_mov_b32 v[2:3], s[16:17], s[16:17] op_sel:[0,1]
	v_cmp_lt_i64_e32 vcc, s[24:25], v[2:3]
	s_cbranch_vccnz .LBB98_2
; %bb.1:
	s_add_u32 s26, s4, 64
	s_addc_u32 s27, s5, 0
	s_mov_b64 s[0:1], 0
	v_bfe_u32 v2, v0, 10, 10
	s_branch .LBB98_3
.LBB98_2:
	s_mov_b64 s[0:1], -1
                                        ; implicit-def: $sgpr26_sgpr27
                                        ; implicit-def: $vgpr2
.LBB98_3:
	s_load_dwordx4 s[20:23], s[4:5], 0x30
	v_and_b32_e32 v11, 0x3ff, v0
	s_andn2_b64 vcc, exec, s[0:1]
	v_mov_b32_e32 v1, s25
	v_mov_b32_e32 v0, s25
	s_cbranch_vccnz .LBB98_11
; %bb.4:
	s_load_dword s0, s[4:5], 0x4c
	s_load_dword s3, s[4:5], 0x44
	s_load_dwordx8 s[8:15], s[4:5], 0x10
	v_mbcnt_lo_u32_b32 v4, -1, 0
	s_add_u32 s26, s4, 64
	v_mbcnt_hi_u32_b32 v4, -1, v4
	s_addc_u32 s27, s5, 0
	s_waitcnt lgkmcnt(0)
	s_and_b32 s0, s0, 0xffff
	v_lshlrev_b32_e32 v3, 3, v10
	v_lshlrev_b32_e32 v4, 2, v4
	v_mad_u32_u24 v0, v10, s0, v11
	v_and_b32_e32 v12, 0x100, v4
	v_mov_b32_e32 v4, s25
	v_add_co_u32_e32 v6, vcc, s24, v3
	v_and_b32_e32 v2, 63, v0
	v_addc_co_u32_e32 v7, vcc, 0, v4, vcc
	v_cmp_gt_u32_e64 s[0:1], 8, v2
	v_add_co_u32_e32 v2, vcc, v6, v2
	s_lshl_b32 s4, s3, 3
	v_addc_co_u32_e32 v3, vcc, 0, v7, vcc
	v_mul_lo_u32 v8, s19, v6
	v_mul_lo_u32 v9, s18, v7
	v_mad_u64_u32 v[6:7], s[30:31], s18, v6, 0
	v_mov_b32_e32 v1, 0
	v_lshl_add_u32 v0, s6, 6, v11
	v_add3_u32 v7, v7, v9, v8
	s_mul_i32 s3, s19, s4
	s_mul_hi_u32 s7, s18, s4
	s_mov_b32 s5, 0
	v_lshlrev_b64 v[6:7], 1, v[6:7]
	v_lshlrev_b64 v[8:9], 1, v[0:1]
	s_add_i32 s31, s7, s3
	s_mul_i32 s30, s18, s4
	s_lshl_b64 s[28:29], s[4:5], 2
	v_add_co_u32_e32 v6, vcc, v6, v8
	s_lshl_b64 s[30:31], s[30:31], 1
	s_lshl_b64 s[34:35], s[18:19], 1
	v_or_b32_e32 v13, 4, v12
	v_or_b32_e32 v14, 8, v12
	;; [unrolled: 1-line block ×7, first 2 shown]
	v_lshlrev_b64 v[4:5], 2, v[2:3]
	v_addc_co_u32_e32 v7, vcc, v7, v9, vcc
	v_mov_b32_e32 v20, s9
	v_mov_b32_e32 v21, s11
	;; [unrolled: 1-line block ×6, first 2 shown]
	v_pk_mov_b32 v[8:9], s[16:17], s[16:17] op_sel:[0,1]
	v_mov_b32_e32 v0, v1
	s_branch .LBB98_7
.LBB98_5:                               ;   in Loop: Header=BB98_7 Depth=1
	s_or_b64 exec, exec, s[38:39]
.LBB98_6:                               ;   in Loop: Header=BB98_7 Depth=1
	s_or_b64 exec, exec, s[36:37]
	v_add_co_u32_e32 v28, vcc, s8, v6
	v_addc_co_u32_e32 v29, vcc, v20, v7, vcc
	v_add_co_u32_e32 v30, vcc, s10, v6
	v_addc_co_u32_e32 v31, vcc, v21, v7, vcc
	global_load_ushort v32, v[28:29], off
	v_add_co_u32_e32 v28, vcc, s34, v28
	v_addc_co_u32_e32 v29, vcc, v29, v22, vcc
	global_load_ushort v33, v[30:31], off
	;; [unrolled: 3-line block ×14, first 2 shown]
	global_load_ushort v46, v[28:29], off
	v_add_co_u32_e32 v28, vcc, s34, v30
	v_addc_co_u32_e32 v29, vcc, v31, v22, vcc
	global_load_ushort v29, v[28:29], off
	v_add_co_u32_e32 v4, vcc, s28, v4
	v_addc_co_u32_e32 v5, vcc, v5, v23, vcc
	v_add_co_u32_e32 v2, vcc, s4, v2
	v_addc_co_u32_e32 v3, vcc, v3, v24, vcc
	s_waitcnt vmcnt(15)
	v_lshlrev_b32_e32 v28, 16, v32
	s_add_u32 s24, s24, s4
	v_add_co_u32_e32 v6, vcc, s30, v6
	s_addc_u32 s25, s25, 0
	s_waitcnt vmcnt(14)
	v_lshlrev_b32_e32 v31, 16, v33
	v_addc_co_u32_e32 v7, vcc, v7, v25, vcc
	v_cmp_lt_i64_e32 vcc, s[24:25], v[8:9]
	s_and_b64 vcc, exec, vcc
	s_waitcnt vmcnt(13)
	v_lshlrev_b32_e32 v30, 16, v34
	s_waitcnt vmcnt(12)
	v_lshlrev_b32_e32 v33, 16, v35
	s_waitcnt vmcnt(11)
	v_lshlrev_b32_e32 v32, 16, v36
	s_waitcnt vmcnt(10)
	v_lshlrev_b32_e32 v35, 16, v37
	s_waitcnt vmcnt(9)
	v_lshlrev_b32_e32 v34, 16, v38
	s_waitcnt vmcnt(8)
	v_lshlrev_b32_e32 v37, 16, v39
	s_waitcnt vmcnt(7)
	v_lshlrev_b32_e32 v36, 16, v40
	s_waitcnt vmcnt(6)
	v_lshlrev_b32_e32 v39, 16, v41
	s_waitcnt vmcnt(5)
	v_lshlrev_b32_e32 v38, 16, v42
	s_waitcnt vmcnt(4)
	v_lshlrev_b32_e32 v41, 16, v43
	ds_bpermute_b32 v43, v12, v27
	s_waitcnt vmcnt(3)
	v_lshlrev_b32_e32 v40, 16, v44
	s_waitcnt vmcnt(2)
	v_lshlrev_b32_e32 v44, 16, v45
	ds_bpermute_b32 v45, v12, v26
	s_waitcnt vmcnt(1)
	v_lshlrev_b32_e32 v42, 16, v46
	s_waitcnt vmcnt(0)
	v_lshlrev_b32_e32 v46, 16, v29
	s_waitcnt lgkmcnt(1)
	v_sub_f32_e32 v29, v31, v43
	ds_bpermute_b32 v31, v13, v27
	v_mul_f32_e32 v29, v29, v28
	s_waitcnt lgkmcnt(1)
	v_mul_f32_e32 v29, v29, v45
	ds_bpermute_b32 v43, v13, v26
	ds_bpermute_b32 v45, v14, v27
	s_waitcnt lgkmcnt(2)
	v_sub_f32_e32 v31, v33, v31
	ds_bpermute_b32 v33, v14, v26
	v_mul_f32_e32 v31, v31, v30
	s_waitcnt lgkmcnt(2)
	v_mul_f32_e32 v31, v31, v43
	s_waitcnt lgkmcnt(1)
	v_sub_f32_e32 v35, v35, v45
	ds_bpermute_b32 v43, v15, v27
	v_mul_f32_e32 v35, v35, v32
	s_waitcnt lgkmcnt(1)
	v_mul_f32_e32 v33, v35, v33
	ds_bpermute_b32 v35, v15, v26
	ds_bpermute_b32 v45, v16, v27
	s_waitcnt lgkmcnt(2)
	v_sub_f32_e32 v37, v37, v43
	ds_bpermute_b32 v43, v16, v26
	v_mul_f32_e32 v37, v37, v34
	s_waitcnt lgkmcnt(2)
	v_mul_f32_e32 v35, v37, v35
	s_waitcnt lgkmcnt(1)
	v_sub_f32_e32 v37, v39, v45
	ds_bpermute_b32 v39, v17, v27
	v_mul_f32_e32 v37, v37, v36
	s_waitcnt lgkmcnt(1)
	v_mul_f32_e32 v37, v37, v43
	ds_bpermute_b32 v43, v17, v26
	ds_bpermute_b32 v45, v18, v27
	;; [unrolled: 1-line block ×3, first 2 shown]
	s_waitcnt lgkmcnt(3)
	v_sub_f32_e32 v39, v41, v39
	ds_bpermute_b32 v41, v18, v26
	v_pk_add_f32 v[0:1], v[0:1], v[28:29]
	v_pk_add_f32 v[0:1], v[0:1], v[30:31]
	ds_bpermute_b32 v26, v19, v26
	v_mul_f32_e32 v39, v39, v38
	v_pk_add_f32 v[0:1], v[0:1], v[32:33]
	s_waitcnt lgkmcnt(4)
	v_mul_f32_e32 v39, v39, v43
	s_waitcnt lgkmcnt(3)
	v_sub_f32_e32 v43, v44, v45
	v_pk_add_f32 v[0:1], v[0:1], v[34:35]
	v_mul_f32_e32 v43, v43, v40
	v_pk_add_f32 v[0:1], v[0:1], v[36:37]
	s_waitcnt lgkmcnt(2)
	v_sub_f32_e32 v27, v46, v27
	s_waitcnt lgkmcnt(1)
	v_mul_f32_e32 v41, v43, v41
	v_pk_add_f32 v[0:1], v[0:1], v[38:39]
	v_mul_f32_e32 v27, v27, v42
	v_pk_add_f32 v[0:1], v[0:1], v[40:41]
	s_waitcnt lgkmcnt(0)
	v_mul_f32_e32 v43, v27, v26
	v_pk_add_f32 v[0:1], v[0:1], v[42:43]
	s_cbranch_vccz .LBB98_10
.LBB98_7:                               ; =>This Inner Loop Header: Depth=1
	v_mov_b32_e32 v26, 0
	v_mov_b32_e32 v27, 0
	s_and_saveexec_b64 s[36:37], s[0:1]
	s_cbranch_execz .LBB98_6
; %bb.8:                                ;   in Loop: Header=BB98_7 Depth=1
	v_cmp_gt_i64_e32 vcc, s[16:17], v[2:3]
	v_mov_b32_e32 v27, 0
	v_mov_b32_e32 v26, 0
	s_and_saveexec_b64 s[38:39], vcc
	s_cbranch_execz .LBB98_5
; %bb.9:                                ;   in Loop: Header=BB98_7 Depth=1
	v_mov_b32_e32 v26, s15
	v_add_co_u32_e32 v28, vcc, s14, v4
	v_addc_co_u32_e32 v29, vcc, v26, v5, vcc
	v_mov_b32_e32 v26, s13
	v_add_co_u32_e32 v30, vcc, s12, v4
	v_addc_co_u32_e32 v31, vcc, v26, v5, vcc
	global_load_dword v27, v[30:31], off
	global_load_dword v26, v[28:29], off
	s_branch .LBB98_5
.LBB98_10:
	v_mov_b32_e32 v2, v10
.LBB98_11:
	s_mov_b32 s7, 0
	s_lshl_b64 s[0:1], s[6:7], 6
	v_mov_b32_e32 v4, s1
	s_load_dword s1, s[26:27], 0xc
	v_add_co_u32_e32 v8, vcc, s0, v11
	v_mov_b32_e32 v3, 0
	v_addc_co_u32_e32 v9, vcc, 0, v4, vcc
	s_waitcnt lgkmcnt(0)
	s_lshr_b32 s0, s1, 16
	v_mov_b32_e32 v4, s2
	v_mad_u64_u32 v[4:5], s[0:1], s0, v4, v[2:3]
	s_cmp_eq_u64 s[20:21], 0
	v_mul_lo_u32 v5, v5, s18
	v_mul_lo_u32 v6, v4, s19
	v_lshlrev_b64 v[2:3], 1, v[8:9]
	s_cbranch_scc1 .LBB98_13
; %bb.12:
	v_bfe_u32 v7, v1, 16, 1
	s_movk_i32 s0, 0x7fff
	v_add3_u32 v7, v1, v7, s0
	v_lshrrev_b32_e32 v7, 16, v7
	v_mov_b32_e32 v8, 0x7fc0
	v_cmp_o_f32_e32 vcc, v1, v1
	v_cndmask_b32_e32 v1, v8, v7, vcc
	v_mad_u64_u32 v[8:9], s[0:1], v4, s18, 0
	v_add3_u32 v9, v9, v6, v5
	v_lshlrev_b64 v[8:9], 1, v[8:9]
	v_mov_b32_e32 v7, s21
	v_add_co_u32_e32 v8, vcc, s20, v8
	v_addc_co_u32_e32 v7, vcc, v7, v9, vcc
	v_add_co_u32_e32 v8, vcc, v8, v2
	v_addc_co_u32_e32 v9, vcc, v7, v3, vcc
	global_store_short v[8:9], v1, off
.LBB98_13:
	s_cmp_eq_u64 s[22:23], 0
	s_cbranch_scc1 .LBB98_15
; %bb.14:
	v_bfe_u32 v1, v0, 16, 1
	s_movk_i32 s0, 0x7fff
	v_add3_u32 v1, v0, v1, s0
	v_lshrrev_b32_e32 v1, 16, v1
	v_mov_b32_e32 v7, 0x7fc0
	v_cmp_o_f32_e32 vcc, v0, v0
	v_cndmask_b32_e32 v7, v7, v1, vcc
	v_mad_u64_u32 v[0:1], s[0:1], v4, s18, 0
	v_add3_u32 v1, v1, v6, v5
	v_lshlrev_b64 v[0:1], 1, v[0:1]
	v_mov_b32_e32 v4, s23
	v_add_co_u32_e32 v0, vcc, s22, v0
	v_addc_co_u32_e32 v1, vcc, v4, v1, vcc
	v_add_co_u32_e32 v0, vcc, v0, v2
	v_addc_co_u32_e32 v1, vcc, v1, v3, vcc
	global_store_short v[0:1], v7, off
.LBB98_15:
	s_endpgm
	.section	.rodata,"a",@progbits
	.p2align	6, 0x0
	.amdhsa_kernel _ZN2at6native12_GLOBAL__N_135GammaBetaBackwardCUDAKernelTemplateIN3c108BFloat16EfLj64ELj1ELj8ELb1ELb1ELb0EEEvllPKT_S7_PKT0_SA_PS5_SB_
		.amdhsa_group_segment_fixed_size 0
		.amdhsa_private_segment_fixed_size 0
		.amdhsa_kernarg_size 320
		.amdhsa_user_sgpr_count 6
		.amdhsa_user_sgpr_private_segment_buffer 1
		.amdhsa_user_sgpr_dispatch_ptr 0
		.amdhsa_user_sgpr_queue_ptr 0
		.amdhsa_user_sgpr_kernarg_segment_ptr 1
		.amdhsa_user_sgpr_dispatch_id 0
		.amdhsa_user_sgpr_flat_scratch_init 0
		.amdhsa_user_sgpr_kernarg_preload_length 0
		.amdhsa_user_sgpr_kernarg_preload_offset 0
		.amdhsa_user_sgpr_private_segment_size 0
		.amdhsa_uses_dynamic_stack 0
		.amdhsa_system_sgpr_private_segment_wavefront_offset 0
		.amdhsa_system_sgpr_workgroup_id_x 1
		.amdhsa_system_sgpr_workgroup_id_y 1
		.amdhsa_system_sgpr_workgroup_id_z 0
		.amdhsa_system_sgpr_workgroup_info 0
		.amdhsa_system_vgpr_workitem_id 1
		.amdhsa_next_free_vgpr 47
		.amdhsa_next_free_sgpr 40
		.amdhsa_accum_offset 48
		.amdhsa_reserve_vcc 1
		.amdhsa_reserve_flat_scratch 0
		.amdhsa_float_round_mode_32 0
		.amdhsa_float_round_mode_16_64 0
		.amdhsa_float_denorm_mode_32 3
		.amdhsa_float_denorm_mode_16_64 3
		.amdhsa_dx10_clamp 1
		.amdhsa_ieee_mode 1
		.amdhsa_fp16_overflow 0
		.amdhsa_tg_split 0
		.amdhsa_exception_fp_ieee_invalid_op 0
		.amdhsa_exception_fp_denorm_src 0
		.amdhsa_exception_fp_ieee_div_zero 0
		.amdhsa_exception_fp_ieee_overflow 0
		.amdhsa_exception_fp_ieee_underflow 0
		.amdhsa_exception_fp_ieee_inexact 0
		.amdhsa_exception_int_div_zero 0
	.end_amdhsa_kernel
	.section	.text._ZN2at6native12_GLOBAL__N_135GammaBetaBackwardCUDAKernelTemplateIN3c108BFloat16EfLj64ELj1ELj8ELb1ELb1ELb0EEEvllPKT_S7_PKT0_SA_PS5_SB_,"axG",@progbits,_ZN2at6native12_GLOBAL__N_135GammaBetaBackwardCUDAKernelTemplateIN3c108BFloat16EfLj64ELj1ELj8ELb1ELb1ELb0EEEvllPKT_S7_PKT0_SA_PS5_SB_,comdat
.Lfunc_end98:
	.size	_ZN2at6native12_GLOBAL__N_135GammaBetaBackwardCUDAKernelTemplateIN3c108BFloat16EfLj64ELj1ELj8ELb1ELb1ELb0EEEvllPKT_S7_PKT0_SA_PS5_SB_, .Lfunc_end98-_ZN2at6native12_GLOBAL__N_135GammaBetaBackwardCUDAKernelTemplateIN3c108BFloat16EfLj64ELj1ELj8ELb1ELb1ELb0EEEvllPKT_S7_PKT0_SA_PS5_SB_
                                        ; -- End function
	.section	.AMDGPU.csdata,"",@progbits
; Kernel info:
; codeLenInByte = 1556
; NumSgprs: 44
; NumVgprs: 47
; NumAgprs: 0
; TotalNumVgprs: 47
; ScratchSize: 0
; MemoryBound: 0
; FloatMode: 240
; IeeeMode: 1
; LDSByteSize: 0 bytes/workgroup (compile time only)
; SGPRBlocks: 5
; VGPRBlocks: 5
; NumSGPRsForWavesPerEU: 44
; NumVGPRsForWavesPerEU: 47
; AccumOffset: 48
; Occupancy: 8
; WaveLimiterHint : 0
; COMPUTE_PGM_RSRC2:SCRATCH_EN: 0
; COMPUTE_PGM_RSRC2:USER_SGPR: 6
; COMPUTE_PGM_RSRC2:TRAP_HANDLER: 0
; COMPUTE_PGM_RSRC2:TGID_X_EN: 1
; COMPUTE_PGM_RSRC2:TGID_Y_EN: 1
; COMPUTE_PGM_RSRC2:TGID_Z_EN: 0
; COMPUTE_PGM_RSRC2:TIDIG_COMP_CNT: 1
; COMPUTE_PGM_RSRC3_GFX90A:ACCUM_OFFSET: 11
; COMPUTE_PGM_RSRC3_GFX90A:TG_SPLIT: 0
	.section	.text._ZN2at6native12_GLOBAL__N_135GammaBetaBackwardCUDAKernelTemplateIN3c108BFloat16EfLj64ELj1ELj8ELb1ELb0ELb0EEEvllPKT_S7_PKT0_SA_PS5_SB_,"axG",@progbits,_ZN2at6native12_GLOBAL__N_135GammaBetaBackwardCUDAKernelTemplateIN3c108BFloat16EfLj64ELj1ELj8ELb1ELb0ELb0EEEvllPKT_S7_PKT0_SA_PS5_SB_,comdat
	.globl	_ZN2at6native12_GLOBAL__N_135GammaBetaBackwardCUDAKernelTemplateIN3c108BFloat16EfLj64ELj1ELj8ELb1ELb0ELb0EEEvllPKT_S7_PKT0_SA_PS5_SB_ ; -- Begin function _ZN2at6native12_GLOBAL__N_135GammaBetaBackwardCUDAKernelTemplateIN3c108BFloat16EfLj64ELj1ELj8ELb1ELb0ELb0EEEvllPKT_S7_PKT0_SA_PS5_SB_
	.p2align	8
	.type	_ZN2at6native12_GLOBAL__N_135GammaBetaBackwardCUDAKernelTemplateIN3c108BFloat16EfLj64ELj1ELj8ELb1ELb0ELb0EEEvllPKT_S7_PKT0_SA_PS5_SB_,@function
_ZN2at6native12_GLOBAL__N_135GammaBetaBackwardCUDAKernelTemplateIN3c108BFloat16EfLj64ELj1ELj8ELb1ELb0ELb0EEEvllPKT_S7_PKT0_SA_PS5_SB_: ; @_ZN2at6native12_GLOBAL__N_135GammaBetaBackwardCUDAKernelTemplateIN3c108BFloat16EfLj64ELj1ELj8ELb1ELb0ELb0EEEvllPKT_S7_PKT0_SA_PS5_SB_
; %bb.0:
	s_load_dwordx8 s[12:19], s[4:5], 0x0
	s_load_dwordx4 s[28:31], s[4:5], 0x20
	s_mov_b32 s8, s7
	s_lshl_b32 s7, s6, 6
	s_mov_b32 s20, 0
	s_or_b32 s0, s7, 63
	s_mov_b32 s1, s20
	s_waitcnt lgkmcnt(0)
	v_pk_mov_b32 v[2:3], s[14:15], s[14:15] op_sel:[0,1]
	v_cmp_ge_i64_e32 vcc, s[0:1], v[2:3]
	s_lshl_b32 s34, s8, 3
	s_mov_b32 s35, s20
	v_pk_mov_b32 v[2:3], s[12:13], s[12:13] op_sel:[0,1]
	v_cmp_lt_i64_e64 s[0:1], s[34:35], v[2:3]
	v_cndmask_b32_e64 v1, 0, 1, s[0:1]
	v_cmp_ne_u32_e64 s[0:1], 1, v1
	s_cbranch_vccz .LBB99_48
; %bb.1:
	v_mov_b32_e32 v27, 0
	s_and_b64 vcc, exec, s[0:1]
	v_mov_b32_e32 v26, v27
	s_cbranch_vccnz .LBB99_49
; %bb.2:
	v_and_b32_e32 v63, 0x3ff, v0
	v_bfe_u32 v66, v0, 10, 10
	v_add_u32_e32 v2, s7, v63
	v_mov_b32_e32 v3, 0
	v_lshlrev_b32_e32 v28, 3, v66
	v_cmp_gt_i64_e64 s[2:3], s[14:15], v[2:3]
	v_lshlrev_b64 v[30:31], 1, v[2:3]
	v_mov_b32_e32 v2, s35
	v_add_co_u32_e32 v6, vcc, s34, v28
	v_addc_co_u32_e32 v2, vcc, 0, v2, vcc
	v_add_co_u32_e32 v4, vcc, 7, v6
	v_addc_co_u32_e32 v5, vcc, 0, v2, vcc
	v_mul_lo_u32 v7, s15, v4
	v_mul_lo_u32 v8, s14, v5
	v_mad_u64_u32 v[4:5], s[10:11], s14, v4, 0
	s_load_dword s9, s[4:5], 0x44
	v_add3_u32 v5, v5, v8, v7
	v_lshlrev_b64 v[4:5], 1, v[4:5]
	v_mov_b32_e32 v7, s17
	v_add_co_u32_e32 v32, vcc, s16, v4
	v_addc_co_u32_e32 v29, vcc, v7, v5, vcc
	s_add_u32 s36, s4, 64
	v_mov_b32_e32 v8, s19
	v_add_co_u32_e32 v34, vcc, s18, v4
	s_addc_u32 s37, s5, 0
	s_waitcnt lgkmcnt(0)
	s_lshl_b32 s9, s9, 3
	v_addc_co_u32_e32 v33, vcc, v8, v5, vcc
	s_mul_i32 s10, s15, s9
	s_mul_hi_u32 s11, s14, s9
	v_add_co_u32_e32 v4, vcc, 6, v6
	s_add_i32 s11, s11, s10
	s_mul_i32 s10, s14, s9
	v_addc_co_u32_e32 v5, vcc, 0, v2, vcc
	s_lshl_b64 s[40:41], s[10:11], 1
	v_mul_lo_u32 v9, s15, v4
	v_mul_lo_u32 v10, s14, v5
	v_mad_u64_u32 v[4:5], s[10:11], s14, v4, 0
	v_add3_u32 v5, v5, v10, v9
	v_lshlrev_b64 v[4:5], 1, v[4:5]
	v_add_co_u32_e32 v36, vcc, s16, v4
	v_addc_co_u32_e32 v35, vcc, v7, v5, vcc
	v_add_co_u32_e32 v38, vcc, s18, v4
	v_addc_co_u32_e32 v37, vcc, v8, v5, vcc
	v_add_co_u32_e32 v4, vcc, 5, v6
	v_addc_co_u32_e32 v5, vcc, 0, v2, vcc
	v_mul_lo_u32 v9, s15, v4
	v_mul_lo_u32 v10, s14, v5
	v_mad_u64_u32 v[4:5], s[10:11], s14, v4, 0
	v_add3_u32 v5, v5, v10, v9
	v_lshlrev_b64 v[4:5], 1, v[4:5]
	v_add_co_u32_e32 v40, vcc, s16, v4
	v_addc_co_u32_e32 v39, vcc, v7, v5, vcc
	v_add_co_u32_e32 v42, vcc, s18, v4
	v_addc_co_u32_e32 v41, vcc, v8, v5, vcc
	v_add_co_u32_e32 v4, vcc, 4, v6
	v_addc_co_u32_e32 v5, vcc, 0, v2, vcc
	;; [unrolled: 11-line block ×4, first 2 shown]
	v_mul_lo_u32 v9, s15, v4
	v_mul_lo_u32 v10, s14, v5
	v_mad_u64_u32 v[4:5], s[10:11], s14, v4, 0
	v_add3_u32 v5, v5, v10, v9
	v_lshlrev_b64 v[4:5], 1, v[4:5]
	v_add_co_u32_e32 v52, vcc, s16, v4
	v_addc_co_u32_e32 v51, vcc, v7, v5, vcc
	v_add_co_u32_e32 v54, vcc, s18, v4
	v_addc_co_u32_e32 v53, vcc, v8, v5, vcc
	v_pk_mov_b32 v[4:5], s[14:15], s[14:15] op_sel:[0,1]
	v_mad_u64_u32 v[4:5], s[10:11], s14, v6, v[4:5]
	v_mul_lo_u32 v2, s14, v2
	v_mul_lo_u32 v9, s15, v6
	v_add3_u32 v5, v9, v5, v2
	v_lshlrev_b64 v[4:5], 1, v[4:5]
	v_add_co_u32_e32 v56, vcc, s16, v4
	v_addc_co_u32_e32 v55, vcc, v7, v5, vcc
	v_add_co_u32_e32 v58, vcc, s18, v4
	v_addc_co_u32_e32 v57, vcc, v8, v5, vcc
	v_mad_u64_u32 v[4:5], s[10:11], s14, v6, 0
	v_add3_u32 v5, v5, v2, v9
	v_lshlrev_b64 v[4:5], 1, v[4:5]
	v_add_co_u32_e32 v60, vcc, s16, v4
	v_mbcnt_lo_u32_b32 v2, -1, 0
	v_addc_co_u32_e32 v59, vcc, v7, v5, vcc
	v_mbcnt_hi_u32_b32 v2, -1, v2
	v_add_co_u32_e32 v62, vcc, s18, v4
	v_lshlrev_b32_e32 v2, 2, v2
	v_mov_b32_e32 v1, v3
	s_mov_b32 s33, s20
	s_mov_b64 s[38:39], 7
	v_addc_co_u32_e32 v61, vcc, v8, v5, vcc
	v_and_b32_e32 v67, 0x100, v2
	s_mov_b64 s[42:43], s[34:35]
	v_mov_b32_e32 v26, v3
	v_mov_b32_e32 v27, v3
	s_branch .LBB99_5
.LBB99_3:                               ;   in Loop: Header=BB99_5 Depth=1
	s_or_b64 exec, exec, s[10:11]
	s_waitcnt vmcnt(1)
	ds_bpermute_b32 v2, v67, v69
	ds_bpermute_b32 v4, v67, v69 offset:4
	s_waitcnt vmcnt(0)
	ds_bpermute_b32 v5, v67, v68
	ds_bpermute_b32 v6, v67, v68 offset:4
	ds_bpermute_b32 v8, v67, v68 offset:12
	s_waitcnt lgkmcnt(4)
	v_sub_f32_e32 v2, v10, v2
	v_mul_f32_e32 v2, v18, v2
	s_waitcnt lgkmcnt(3)
	v_sub_f32_e32 v4, v11, v4
	s_waitcnt lgkmcnt(2)
	v_mul_f32_e32 v5, v2, v5
	ds_bpermute_b32 v2, v67, v69 offset:8
	v_mul_f32_e32 v4, v19, v4
	s_waitcnt lgkmcnt(2)
	v_mul_f32_e32 v7, v4, v6
	ds_bpermute_b32 v4, v67, v68 offset:8
	ds_bpermute_b32 v6, v67, v69 offset:12
	s_waitcnt lgkmcnt(2)
	v_sub_f32_e32 v2, v12, v2
	v_mul_f32_e32 v2, v20, v2
	v_mov_b32_e32 v10, v21
	s_waitcnt lgkmcnt(1)
	v_mul_f32_e32 v9, v2, v4
	s_waitcnt lgkmcnt(0)
	v_sub_f32_e32 v2, v13, v6
	ds_bpermute_b32 v4, v67, v69 offset:16
	v_mul_f32_e32 v2, v21, v2
	v_mul_f32_e32 v11, v2, v8
	ds_bpermute_b32 v2, v67, v68 offset:16
	ds_bpermute_b32 v6, v67, v69 offset:20
	;; [unrolled: 1-line block ×3, first 2 shown]
	s_waitcnt lgkmcnt(3)
	v_sub_f32_e32 v4, v14, v4
	v_mul_f32_e32 v4, v22, v4
	s_waitcnt lgkmcnt(2)
	v_mul_f32_e32 v13, v4, v2
	s_waitcnt lgkmcnt(1)
	v_sub_f32_e32 v2, v15, v6
	v_mul_f32_e32 v2, v23, v2
	s_waitcnt lgkmcnt(0)
	v_mul_f32_e32 v15, v2, v8
	v_mov_b32_e32 v4, v18
	ds_bpermute_b32 v2, v67, v69 offset:24
	v_pk_add_f32 v[4:5], v[26:27], v[4:5]
	v_mov_b32_e32 v6, v19
	v_pk_add_f32 v[4:5], v[6:7], v[4:5]
	ds_bpermute_b32 v7, v67, v68 offset:24
	v_mov_b32_e32 v8, v20
	v_pk_add_f32 v[4:5], v[8:9], v[4:5]
	v_pk_add_f32 v[4:5], v[10:11], v[4:5]
	v_mov_b32_e32 v12, v22
	s_waitcnt lgkmcnt(1)
	v_sub_f32_e32 v8, v16, v2
	v_pk_add_f32 v[4:5], v[12:13], v[4:5]
	v_mov_b32_e32 v14, v23
	v_mul_f32_e32 v8, v24, v8
	v_pk_add_f32 v[4:5], v[14:15], v[4:5]
	s_waitcnt lgkmcnt(0)
	v_mul_f32_e32 v9, v8, v7
	v_mov_b32_e32 v8, v24
	ds_bpermute_b32 v2, v67, v68 offset:28
	ds_bpermute_b32 v6, v67, v69 offset:28
	v_pk_add_f32 v[4:5], v[8:9], v[4:5]
.LBB99_4:                               ;   in Loop: Header=BB99_5 Depth=1
	s_waitcnt lgkmcnt(0)
	v_sub_f32_e32 v6, v17, v6
	v_mul_f32_e32 v6, v25, v6
	v_mul_f32_e32 v7, v6, v2
	v_mov_b32_e32 v2, s41
	v_add_co_u32_e32 v32, vcc, s40, v32
	v_addc_co_u32_e32 v29, vcc, v29, v2, vcc
	v_add_co_u32_e32 v34, vcc, s40, v34
	v_addc_co_u32_e32 v33, vcc, v33, v2, vcc
	;; [unrolled: 2-line block ×13, first 2 shown]
	v_add_co_u32_e32 v58, vcc, s40, v58
	v_mov_b32_e32 v6, v25
	v_addc_co_u32_e32 v57, vcc, v57, v2, vcc
	v_pk_add_f32 v[26:27], v[4:5], v[6:7]
	v_mov_b32_e32 v4, s33
	v_add_co_u32_e32 v28, vcc, s9, v28
	v_addc_co_u32_e32 v1, vcc, v1, v4, vcc
	v_add_co_u32_e32 v60, vcc, s40, v60
	v_addc_co_u32_e32 v59, vcc, v59, v2, vcc
	s_add_u32 s42, s42, s9
	v_add_co_u32_e32 v62, vcc, s40, v62
	s_addc_u32 s43, s43, 0
	v_addc_co_u32_e32 v61, vcc, v61, v2, vcc
	v_pk_mov_b32 v[4:5], s[12:13], s[12:13] op_sel:[0,1]
	s_add_u32 s38, s38, s9
	v_cmp_lt_i64_e32 vcc, s[42:43], v[4:5]
	s_addc_u32 s39, s39, 0
	s_cbranch_vccz .LBB99_49
.LBB99_5:                               ; =>This Inner Loop Header: Depth=1
	s_add_u32 s10, s34, s38
	s_addc_u32 s11, 0, s39
	v_pk_mov_b32 v[4:5], s[12:13], s[12:13] op_sel:[0,1]
	v_cmp_ge_i64_e32 vcc, s[10:11], v[4:5]
	v_mov_b32_e32 v2, s35
	v_add_co_u32_e64 v64, s[10:11], s34, v28
	v_addc_co_u32_e64 v65, s[10:11], v2, v1, s[10:11]
	s_cbranch_vccz .LBB99_27
; %bb.6:                                ;   in Loop: Header=BB99_5 Depth=1
	s_load_dword s10, s[36:37], 0xc
	v_mov_b32_e32 v68, 0
	v_mov_b32_e32 v69, 0
	s_waitcnt lgkmcnt(0)
	s_and_b32 s10, s10, 0xffff
	v_mad_u32_u24 v2, v66, s10, v63
	v_and_b32_e32 v2, 63, v2
	v_cmp_gt_u32_e32 vcc, 8, v2
	s_and_saveexec_b64 s[10:11], vcc
	s_cbranch_execz .LBB99_10
; %bb.7:                                ;   in Loop: Header=BB99_5 Depth=1
	v_add_co_u32_e32 v4, vcc, v64, v2
	v_addc_co_u32_e32 v5, vcc, 0, v65, vcc
	v_cmp_gt_i64_e32 vcc, s[12:13], v[4:5]
	v_mov_b32_e32 v69, 0
	v_mov_b32_e32 v68, 0
	s_and_saveexec_b64 s[22:23], vcc
	s_cbranch_execz .LBB99_9
; %bb.8:                                ;   in Loop: Header=BB99_5 Depth=1
	v_lshlrev_b64 v[4:5], 2, v[4:5]
	v_mov_b32_e32 v2, s31
	v_add_co_u32_e32 v6, vcc, s30, v4
	v_addc_co_u32_e32 v7, vcc, v2, v5, vcc
	v_mov_b32_e32 v2, s29
	v_add_co_u32_e32 v4, vcc, s28, v4
	v_addc_co_u32_e32 v5, vcc, v2, v5, vcc
	global_load_dword v69, v[4:5], off
	global_load_dword v68, v[6:7], off
.LBB99_9:                               ;   in Loop: Header=BB99_5 Depth=1
	s_or_b64 exec, exec, s[22:23]
.LBB99_10:                              ;   in Loop: Header=BB99_5 Depth=1
	s_or_b64 exec, exec, s[10:11]
	s_mov_b32 s21, s20
	s_mov_b32 s22, s20
	;; [unrolled: 1-line block ×7, first 2 shown]
	v_pk_mov_b32 v[10:11], s[20:21], s[20:21] op_sel:[0,1]
	v_pk_mov_b32 v[16:17], s[26:27], s[26:27] op_sel:[0,1]
	v_cmp_gt_i64_e32 vcc, s[12:13], v[64:65]
	v_pk_mov_b32 v[12:13], s[22:23], s[22:23] op_sel:[0,1]
	v_pk_mov_b32 v[14:15], s[24:25], s[24:25] op_sel:[0,1]
	;; [unrolled: 1-line block ×3, first 2 shown]
	s_and_b64 s[44:45], s[2:3], vcc
	v_pk_mov_b32 v[22:23], v[14:15], v[14:15] op_sel:[0,1]
	v_pk_mov_b32 v[20:21], v[12:13], v[12:13] op_sel:[0,1]
	;; [unrolled: 1-line block ×3, first 2 shown]
	s_and_saveexec_b64 s[10:11], s[44:45]
	s_cbranch_execz .LBB99_12
; %bb.11:                               ;   in Loop: Header=BB99_5 Depth=1
	v_add_co_u32_e32 v4, vcc, v60, v30
	v_addc_co_u32_e32 v5, vcc, v59, v31, vcc
	global_load_ushort v2, v[4:5], off
	v_add_co_u32_e32 v4, vcc, v62, v30
	v_addc_co_u32_e32 v5, vcc, v61, v31, vcc
	global_load_ushort v10, v[4:5], off
	v_mov_b32_e32 v8, v3
	v_mov_b32_e32 v9, v3
	;; [unrolled: 1-line block ×13, first 2 shown]
	s_waitcnt vmcnt(1)
	v_lshlrev_b32_e32 v2, 16, v2
	v_pk_mov_b32 v[24:25], v[8:9], v[8:9] op_sel:[0,1]
	v_pk_mov_b32 v[22:23], v[6:7], v[6:7] op_sel:[0,1]
	;; [unrolled: 1-line block ×4, first 2 shown]
	s_waitcnt vmcnt(0)
	v_lshlrev_b32_e32 v10, 16, v10
.LBB99_12:                              ;   in Loop: Header=BB99_5 Depth=1
	s_or_b64 exec, exec, s[10:11]
	v_add_co_u32_e32 v4, vcc, 1, v64
	v_addc_co_u32_e32 v5, vcc, 0, v65, vcc
	v_cmp_gt_i64_e32 vcc, s[12:13], v[4:5]
	s_and_b64 s[22:23], s[2:3], vcc
	s_and_saveexec_b64 s[10:11], s[22:23]
	s_cbranch_execz .LBB99_14
; %bb.13:                               ;   in Loop: Header=BB99_5 Depth=1
	v_add_co_u32_e32 v4, vcc, v56, v30
	v_addc_co_u32_e32 v5, vcc, v55, v31, vcc
	global_load_ushort v2, v[4:5], off
	v_add_co_u32_e32 v4, vcc, v58, v30
	v_addc_co_u32_e32 v5, vcc, v57, v31, vcc
	global_load_ushort v4, v[4:5], off
	s_waitcnt vmcnt(1)
	v_lshlrev_b32_e32 v19, 16, v2
	s_waitcnt vmcnt(0)
	v_lshlrev_b32_e32 v11, 16, v4
.LBB99_14:                              ;   in Loop: Header=BB99_5 Depth=1
	s_or_b64 exec, exec, s[10:11]
	v_add_co_u32_e32 v4, vcc, 2, v64
	v_addc_co_u32_e32 v5, vcc, 0, v65, vcc
	v_cmp_gt_i64_e32 vcc, s[12:13], v[4:5]
	s_and_b64 s[22:23], s[2:3], vcc
	s_and_saveexec_b64 s[10:11], s[22:23]
	s_cbranch_execz .LBB99_16
; %bb.15:                               ;   in Loop: Header=BB99_5 Depth=1
	v_add_co_u32_e32 v4, vcc, v52, v30
	v_addc_co_u32_e32 v5, vcc, v51, v31, vcc
	global_load_ushort v2, v[4:5], off
	v_add_co_u32_e32 v4, vcc, v54, v30
	v_addc_co_u32_e32 v5, vcc, v53, v31, vcc
	global_load_ushort v4, v[4:5], off
	s_waitcnt vmcnt(1)
	v_lshlrev_b32_e32 v20, 16, v2
	s_waitcnt vmcnt(0)
	v_lshlrev_b32_e32 v12, 16, v4
.LBB99_16:                              ;   in Loop: Header=BB99_5 Depth=1
	;; [unrolled: 19-line block ×7, first 2 shown]
	s_or_b64 exec, exec, s[10:11]
	s_waitcnt vmcnt(1)
	ds_bpermute_b32 v2, v67, v69
	ds_bpermute_b32 v4, v67, v69 offset:4
	s_waitcnt vmcnt(0)
	ds_bpermute_b32 v5, v67, v68
	ds_bpermute_b32 v6, v67, v68 offset:4
	ds_bpermute_b32 v8, v67, v68 offset:12
	s_waitcnt lgkmcnt(4)
	v_sub_f32_e32 v2, v10, v2
	v_mul_f32_e32 v2, v18, v2
	s_waitcnt lgkmcnt(3)
	v_sub_f32_e32 v4, v11, v4
	s_waitcnt lgkmcnt(2)
	v_mul_f32_e32 v5, v2, v5
	ds_bpermute_b32 v2, v67, v69 offset:8
	v_mul_f32_e32 v4, v19, v4
	s_waitcnt lgkmcnt(2)
	v_mul_f32_e32 v7, v4, v6
	ds_bpermute_b32 v4, v67, v68 offset:8
	ds_bpermute_b32 v6, v67, v69 offset:12
	s_waitcnt lgkmcnt(2)
	v_sub_f32_e32 v2, v12, v2
	v_mul_f32_e32 v2, v20, v2
	v_mov_b32_e32 v10, v21
	s_waitcnt lgkmcnt(1)
	v_mul_f32_e32 v9, v2, v4
	s_waitcnt lgkmcnt(0)
	v_sub_f32_e32 v2, v13, v6
	ds_bpermute_b32 v4, v67, v69 offset:16
	v_mul_f32_e32 v2, v21, v2
	v_mul_f32_e32 v11, v2, v8
	ds_bpermute_b32 v2, v67, v68 offset:16
	ds_bpermute_b32 v6, v67, v69 offset:20
	;; [unrolled: 1-line block ×3, first 2 shown]
	s_waitcnt lgkmcnt(3)
	v_sub_f32_e32 v4, v14, v4
	v_mul_f32_e32 v4, v22, v4
	s_waitcnt lgkmcnt(2)
	v_mul_f32_e32 v13, v4, v2
	s_waitcnt lgkmcnt(1)
	v_sub_f32_e32 v2, v15, v6
	v_mul_f32_e32 v2, v23, v2
	s_waitcnt lgkmcnt(0)
	v_mul_f32_e32 v15, v2, v8
	ds_bpermute_b32 v2, v67, v69 offset:24
	v_mov_b32_e32 v4, v18
	v_pk_add_f32 v[4:5], v[26:27], v[4:5]
	v_mov_b32_e32 v6, v19
	v_pk_add_f32 v[4:5], v[6:7], v[4:5]
	ds_bpermute_b32 v7, v67, v68 offset:24
	v_mov_b32_e32 v8, v20
	s_waitcnt lgkmcnt(1)
	v_sub_f32_e32 v2, v16, v2
	v_pk_add_f32 v[4:5], v[8:9], v[4:5]
	v_mul_f32_e32 v8, v24, v2
	ds_bpermute_b32 v2, v67, v68 offset:28
	ds_bpermute_b32 v6, v67, v69 offset:28
	v_pk_add_f32 v[4:5], v[10:11], v[4:5]
	v_mov_b32_e32 v12, v22
	v_pk_add_f32 v[4:5], v[12:13], v[4:5]
	v_mov_b32_e32 v14, v23
	v_pk_add_f32 v[4:5], v[14:15], v[4:5]
	s_waitcnt lgkmcnt(2)
	v_mul_f32_e32 v9, v8, v7
	v_mov_b32_e32 v8, v24
	v_pk_add_f32 v[4:5], v[8:9], v[4:5]
	s_branch .LBB99_4
.LBB99_27:                              ;   in Loop: Header=BB99_5 Depth=1
                                        ; implicit-def: $vgpr4_vgpr5
                                        ; implicit-def: $vgpr2
                                        ; implicit-def: $vgpr10_vgpr11_vgpr12_vgpr13_vgpr14_vgpr15_vgpr16_vgpr17
                                        ; implicit-def: $vgpr18_vgpr19_vgpr20_vgpr21_vgpr22_vgpr23_vgpr24_vgpr25
                                        ; implicit-def: $vgpr6
	s_cbranch_execz .LBB99_4
; %bb.28:                               ;   in Loop: Header=BB99_5 Depth=1
	s_load_dword s10, s[36:37], 0x0
	v_mov_b32_e32 v68, 0
	v_mov_b32_e32 v69, 0
	s_waitcnt lgkmcnt(0)
	s_cmp_lt_u32 s6, s10
	s_cselect_b32 s10, 12, 18
	s_add_u32 s10, s36, s10
	s_addc_u32 s11, s37, 0
	global_load_ushort v2, v3, s[10:11]
	s_waitcnt vmcnt(0)
	v_mad_u32_u24 v2, v66, v2, v63
	v_and_b32_e32 v2, 63, v2
	v_cmp_gt_u32_e32 vcc, 8, v2
	s_and_saveexec_b64 s[10:11], vcc
	s_cbranch_execz .LBB99_32
; %bb.29:                               ;   in Loop: Header=BB99_5 Depth=1
	v_add_co_u32_e32 v4, vcc, v64, v2
	v_addc_co_u32_e32 v5, vcc, 0, v65, vcc
	v_cmp_gt_i64_e32 vcc, s[12:13], v[4:5]
	v_mov_b32_e32 v69, 0
	v_mov_b32_e32 v68, 0
	s_and_saveexec_b64 s[22:23], vcc
	s_cbranch_execz .LBB99_31
; %bb.30:                               ;   in Loop: Header=BB99_5 Depth=1
	v_lshlrev_b64 v[4:5], 2, v[4:5]
	v_mov_b32_e32 v2, s31
	v_add_co_u32_e32 v6, vcc, s30, v4
	v_addc_co_u32_e32 v7, vcc, v2, v5, vcc
	v_mov_b32_e32 v2, s29
	v_add_co_u32_e32 v4, vcc, s28, v4
	v_addc_co_u32_e32 v5, vcc, v2, v5, vcc
	global_load_dword v69, v[4:5], off
	global_load_dword v68, v[6:7], off
.LBB99_31:                              ;   in Loop: Header=BB99_5 Depth=1
	s_or_b64 exec, exec, s[22:23]
.LBB99_32:                              ;   in Loop: Header=BB99_5 Depth=1
	s_or_b64 exec, exec, s[10:11]
	s_mov_b32 s21, s20
	s_mov_b32 s22, s20
	;; [unrolled: 1-line block ×7, first 2 shown]
	v_pk_mov_b32 v[10:11], s[20:21], s[20:21] op_sel:[0,1]
	v_pk_mov_b32 v[16:17], s[26:27], s[26:27] op_sel:[0,1]
	;; [unrolled: 1-line block ×8, first 2 shown]
	s_and_saveexec_b64 s[10:11], s[2:3]
	s_cbranch_execnz .LBB99_40
; %bb.33:                               ;   in Loop: Header=BB99_5 Depth=1
	s_or_b64 exec, exec, s[10:11]
	s_and_saveexec_b64 s[10:11], s[2:3]
	s_cbranch_execnz .LBB99_41
.LBB99_34:                              ;   in Loop: Header=BB99_5 Depth=1
	s_or_b64 exec, exec, s[10:11]
	s_and_saveexec_b64 s[10:11], s[2:3]
	s_cbranch_execnz .LBB99_42
.LBB99_35:                              ;   in Loop: Header=BB99_5 Depth=1
	s_or_b64 exec, exec, s[10:11]
	s_and_saveexec_b64 s[10:11], s[2:3]
	s_cbranch_execnz .LBB99_43
.LBB99_36:                              ;   in Loop: Header=BB99_5 Depth=1
	s_or_b64 exec, exec, s[10:11]
	s_and_saveexec_b64 s[10:11], s[2:3]
	s_cbranch_execnz .LBB99_44
.LBB99_37:                              ;   in Loop: Header=BB99_5 Depth=1
	s_or_b64 exec, exec, s[10:11]
	s_and_saveexec_b64 s[10:11], s[2:3]
	s_cbranch_execnz .LBB99_45
.LBB99_38:                              ;   in Loop: Header=BB99_5 Depth=1
	s_or_b64 exec, exec, s[10:11]
	s_and_saveexec_b64 s[10:11], s[2:3]
	s_cbranch_execnz .LBB99_46
.LBB99_39:                              ;   in Loop: Header=BB99_5 Depth=1
	s_or_b64 exec, exec, s[10:11]
	s_and_saveexec_b64 s[10:11], s[2:3]
	s_cbranch_execz .LBB99_3
	s_branch .LBB99_47
.LBB99_40:                              ;   in Loop: Header=BB99_5 Depth=1
	v_add_co_u32_e32 v4, vcc, v60, v30
	v_addc_co_u32_e32 v5, vcc, v59, v31, vcc
	global_load_ushort v2, v[4:5], off
	v_add_co_u32_e32 v4, vcc, v62, v30
	v_addc_co_u32_e32 v5, vcc, v61, v31, vcc
	global_load_ushort v10, v[4:5], off
	v_mov_b32_e32 v8, v3
	v_mov_b32_e32 v9, v3
	;; [unrolled: 1-line block ×13, first 2 shown]
	s_waitcnt vmcnt(1)
	v_lshlrev_b32_e32 v2, 16, v2
	v_pk_mov_b32 v[24:25], v[8:9], v[8:9] op_sel:[0,1]
	v_pk_mov_b32 v[22:23], v[6:7], v[6:7] op_sel:[0,1]
	;; [unrolled: 1-line block ×4, first 2 shown]
	s_waitcnt vmcnt(0)
	v_lshlrev_b32_e32 v10, 16, v10
	s_or_b64 exec, exec, s[10:11]
	s_and_saveexec_b64 s[10:11], s[2:3]
	s_cbranch_execz .LBB99_34
.LBB99_41:                              ;   in Loop: Header=BB99_5 Depth=1
	v_add_co_u32_e32 v4, vcc, v56, v30
	v_addc_co_u32_e32 v5, vcc, v55, v31, vcc
	global_load_ushort v2, v[4:5], off
	v_add_co_u32_e32 v4, vcc, v58, v30
	v_addc_co_u32_e32 v5, vcc, v57, v31, vcc
	global_load_ushort v4, v[4:5], off
	s_waitcnt vmcnt(1)
	v_lshlrev_b32_e32 v19, 16, v2
	s_waitcnt vmcnt(0)
	v_lshlrev_b32_e32 v11, 16, v4
	s_or_b64 exec, exec, s[10:11]
	s_and_saveexec_b64 s[10:11], s[2:3]
	s_cbranch_execz .LBB99_35
.LBB99_42:                              ;   in Loop: Header=BB99_5 Depth=1
	v_add_co_u32_e32 v4, vcc, v52, v30
	v_addc_co_u32_e32 v5, vcc, v51, v31, vcc
	global_load_ushort v2, v[4:5], off
	v_add_co_u32_e32 v4, vcc, v54, v30
	v_addc_co_u32_e32 v5, vcc, v53, v31, vcc
	global_load_ushort v4, v[4:5], off
	s_waitcnt vmcnt(1)
	v_lshlrev_b32_e32 v20, 16, v2
	s_waitcnt vmcnt(0)
	v_lshlrev_b32_e32 v12, 16, v4
	s_or_b64 exec, exec, s[10:11]
	s_and_saveexec_b64 s[10:11], s[2:3]
	s_cbranch_execz .LBB99_36
.LBB99_43:                              ;   in Loop: Header=BB99_5 Depth=1
	v_add_co_u32_e32 v4, vcc, v48, v30
	v_addc_co_u32_e32 v5, vcc, v47, v31, vcc
	global_load_ushort v2, v[4:5], off
	v_add_co_u32_e32 v4, vcc, v50, v30
	v_addc_co_u32_e32 v5, vcc, v49, v31, vcc
	global_load_ushort v4, v[4:5], off
	s_waitcnt vmcnt(1)
	v_lshlrev_b32_e32 v21, 16, v2
	s_waitcnt vmcnt(0)
	v_lshlrev_b32_e32 v13, 16, v4
	s_or_b64 exec, exec, s[10:11]
	s_and_saveexec_b64 s[10:11], s[2:3]
	s_cbranch_execz .LBB99_37
.LBB99_44:                              ;   in Loop: Header=BB99_5 Depth=1
	v_add_co_u32_e32 v4, vcc, v44, v30
	v_addc_co_u32_e32 v5, vcc, v43, v31, vcc
	global_load_ushort v2, v[4:5], off
	v_add_co_u32_e32 v4, vcc, v46, v30
	v_addc_co_u32_e32 v5, vcc, v45, v31, vcc
	global_load_ushort v4, v[4:5], off
	s_waitcnt vmcnt(1)
	v_lshlrev_b32_e32 v22, 16, v2
	s_waitcnt vmcnt(0)
	v_lshlrev_b32_e32 v14, 16, v4
	s_or_b64 exec, exec, s[10:11]
	s_and_saveexec_b64 s[10:11], s[2:3]
	s_cbranch_execz .LBB99_38
.LBB99_45:                              ;   in Loop: Header=BB99_5 Depth=1
	v_add_co_u32_e32 v4, vcc, v40, v30
	v_addc_co_u32_e32 v5, vcc, v39, v31, vcc
	global_load_ushort v2, v[4:5], off
	v_add_co_u32_e32 v4, vcc, v42, v30
	v_addc_co_u32_e32 v5, vcc, v41, v31, vcc
	global_load_ushort v4, v[4:5], off
	s_waitcnt vmcnt(1)
	v_lshlrev_b32_e32 v23, 16, v2
	s_waitcnt vmcnt(0)
	v_lshlrev_b32_e32 v15, 16, v4
	s_or_b64 exec, exec, s[10:11]
	s_and_saveexec_b64 s[10:11], s[2:3]
	s_cbranch_execz .LBB99_39
.LBB99_46:                              ;   in Loop: Header=BB99_5 Depth=1
	v_add_co_u32_e32 v4, vcc, v36, v30
	v_addc_co_u32_e32 v5, vcc, v35, v31, vcc
	global_load_ushort v2, v[4:5], off
	v_add_co_u32_e32 v4, vcc, v38, v30
	v_addc_co_u32_e32 v5, vcc, v37, v31, vcc
	global_load_ushort v4, v[4:5], off
	s_waitcnt vmcnt(1)
	v_lshlrev_b32_e32 v24, 16, v2
	s_waitcnt vmcnt(0)
	v_lshlrev_b32_e32 v16, 16, v4
	s_or_b64 exec, exec, s[10:11]
	s_and_saveexec_b64 s[10:11], s[2:3]
	s_cbranch_execz .LBB99_3
.LBB99_47:                              ;   in Loop: Header=BB99_5 Depth=1
	v_add_co_u32_e32 v4, vcc, v32, v30
	v_addc_co_u32_e32 v5, vcc, v29, v31, vcc
	global_load_ushort v2, v[4:5], off
	v_add_co_u32_e32 v4, vcc, v34, v30
	v_addc_co_u32_e32 v5, vcc, v33, v31, vcc
	global_load_ushort v4, v[4:5], off
	s_waitcnt vmcnt(1)
	v_lshlrev_b32_e32 v25, 16, v2
	s_waitcnt vmcnt(0)
	v_lshlrev_b32_e32 v17, 16, v4
	s_branch .LBB99_3
.LBB99_48:
                                        ; implicit-def: $vgpr27
	s_branch .LBB99_50
.LBB99_49:
	s_cbranch_execnz .LBB99_81
.LBB99_50:
	v_mov_b32_e32 v27, 0
	s_mov_b32 s20, 0
	s_and_b64 vcc, exec, s[0:1]
	v_mov_b32_e32 v26, v27
	s_cbranch_vccnz .LBB99_81
; %bb.51:
	v_bfe_u32 v89, v0, 10, 10
	s_add_u32 s2, s4, 64
	s_addc_u32 s3, s5, 0
	v_lshlrev_b32_e32 v1, 4, v89
	s_lshl_b64 s[0:1], s[34:35], 1
	v_mov_b32_e32 v2, s1
	v_add_co_u32_e32 v1, vcc, s0, v1
	v_addc_co_u32_e32 v4, vcc, 0, v2, vcc
	v_add_co_u32_e32 v6, vcc, 2, v1
	v_addc_co_u32_e32 v5, vcc, 0, v4, vcc
	v_add_co_u32_e32 v9, vcc, 4, v1
	v_mul_lo_u32 v7, s14, v5
	v_addc_co_u32_e32 v5, vcc, 0, v4, vcc
	v_add_co_u32_e32 v12, vcc, 6, v1
	v_mul_lo_u32 v10, s14, v5
	;; [unrolled: 3-line block ×5, first 2 shown]
	v_addc_co_u32_e32 v5, vcc, 0, v4, vcc
	v_add_co_u32_e32 v24, vcc, 14, v1
	v_lshlrev_b32_e32 v28, 3, v89
	v_addc_co_u32_e32 v1, vcc, 0, v4, vcc
	v_mul_lo_u32 v25, s14, v1
	v_mov_b32_e32 v1, s35
	v_add_co_u32_e32 v27, vcc, s34, v28
	v_pk_mov_b32 v[2:3], s[16:17], s[16:17] op_sel:[0,1]
	v_addc_co_u32_e32 v45, vcc, 0, v1, vcc
	v_mad_u64_u32 v[30:31], s[0:1], s14, v6, v[2:3]
	v_mad_u64_u32 v[32:33], s[0:1], s14, v9, v[2:3]
	;; [unrolled: 1-line block ×7, first 2 shown]
	v_mul_lo_u32 v61, s15, v27
	v_mul_lo_u32 v62, s14, v45
	v_mad_u64_u32 v[2:3], s[0:1], s14, v27, 0
	v_add3_u32 v3, v3, v62, v61
	v_lshlrev_b64 v[2:3], 1, v[2:3]
	v_mul_lo_u32 v22, s14, v5
	v_mov_b32_e32 v83, s17
	v_add_co_u32_e32 v44, vcc, s16, v2
	v_pk_mov_b32 v[4:5], s[18:19], s[18:19] op_sel:[0,1]
	v_mul_lo_u32 v17, s15, v15
	v_addc_co_u32_e32 v1, vcc, v83, v3, vcc
	v_mad_u64_u32 v[52:53], s[0:1], s14, v15, v[4:5]
	v_add3_u32 v37, v17, v37, v16
	v_add3_u32 v53, v17, v53, v16
	v_mov_b32_e32 v16, s19
	v_add_co_u32_e32 v60, vcc, s18, v2
	v_addc_co_u32_e32 v29, vcc, v16, v3, vcc
	v_add_co_u32_e32 v2, vcc, 7, v27
	v_addc_co_u32_e32 v3, vcc, 0, v45, vcc
	v_mad_u64_u32 v[46:47], s[0:1], s14, v6, v[4:5]
	v_mad_u64_u32 v[48:49], s[0:1], s14, v9, v[4:5]
	;; [unrolled: 1-line block ×6, first 2 shown]
	v_mul_lo_u32 v4, s15, v2
	v_mul_lo_u32 v5, s14, v3
	v_mad_u64_u32 v[2:3], s[0:1], s14, v2, 0
	v_add3_u32 v3, v3, v5, v4
	v_add_co_u32_e32 v4, vcc, 6, v27
	v_mul_lo_u32 v8, s15, v6
	v_addc_co_u32_e32 v5, vcc, 0, v45, vcc
	v_add3_u32 v31, v8, v31, v7
	v_add3_u32 v47, v8, v47, v7
	v_mul_lo_u32 v6, s15, v4
	v_mul_lo_u32 v7, s14, v5
	v_mad_u64_u32 v[4:5], s[0:1], s14, v4, 0
	v_add3_u32 v5, v5, v7, v6
	v_add_co_u32_e32 v6, vcc, 5, v27
	v_addc_co_u32_e32 v7, vcc, 0, v45, vcc
	v_mul_lo_u32 v11, s15, v9
	v_mul_lo_u32 v8, s15, v6
	;; [unrolled: 1-line block ×3, first 2 shown]
	v_mad_u64_u32 v[6:7], s[0:1], s14, v6, 0
	v_add3_u32 v7, v7, v9, v8
	v_add_co_u32_e32 v8, vcc, 4, v27
	v_addc_co_u32_e32 v9, vcc, 0, v45, vcc
	v_add3_u32 v33, v11, v33, v10
	v_add3_u32 v49, v11, v49, v10
	v_mul_lo_u32 v10, s15, v8
	v_mul_lo_u32 v11, s14, v9
	v_mad_u64_u32 v[8:9], s[0:1], s14, v8, 0
	v_add3_u32 v9, v9, v11, v10
	v_add_co_u32_e32 v10, vcc, 3, v27
	v_mul_lo_u32 v14, s15, v12
	v_addc_co_u32_e32 v11, vcc, 0, v45, vcc
	v_add3_u32 v35, v14, v35, v13
	v_add3_u32 v51, v14, v51, v13
	v_mul_lo_u32 v12, s15, v10
	v_mul_lo_u32 v13, s14, v11
	v_mad_u64_u32 v[10:11], s[0:1], s14, v10, 0
	v_add3_u32 v11, v11, v13, v12
	v_add_co_u32_e32 v12, vcc, 2, v27
	v_addc_co_u32_e32 v13, vcc, 0, v45, vcc
	v_mul_lo_u32 v14, s15, v12
	v_mul_lo_u32 v15, s14, v13
	v_mad_u64_u32 v[12:13], s[0:1], s14, v12, 0
	v_add3_u32 v13, v13, v15, v14
	v_pk_mov_b32 v[14:15], s[14:15], s[14:15] op_sel:[0,1]
	v_lshlrev_b64 v[2:3], 1, v[2:3]
	v_mad_u64_u32 v[14:15], s[0:1], s14, v27, v[14:15]
	v_add3_u32 v15, v61, v15, v62
	v_add_co_u32_e32 v62, vcc, s16, v2
	v_addc_co_u32_e32 v45, vcc, v83, v3, vcc
	v_add_co_u32_e32 v64, vcc, s18, v2
	v_addc_co_u32_e32 v61, vcc, v16, v3, vcc
	v_lshlrev_b64 v[2:3], 1, v[4:5]
	v_add_co_u32_e32 v66, vcc, s16, v2
	v_addc_co_u32_e32 v63, vcc, v83, v3, vcc
	v_add_co_u32_e32 v68, vcc, s18, v2
	v_addc_co_u32_e32 v65, vcc, v16, v3, vcc
	v_lshlrev_b64 v[2:3], 1, v[6:7]
	;; [unrolled: 5-line block ×5, first 2 shown]
	v_add_co_u32_e32 v82, vcc, s16, v2
	v_addc_co_u32_e32 v79, vcc, v83, v3, vcc
	s_load_dword s0, s[4:5], 0x44
	v_add_co_u32_e32 v84, vcc, s18, v2
	v_addc_co_u32_e32 v81, vcc, v16, v3, vcc
	v_lshlrev_b64 v[2:3], 1, v[14:15]
	v_add_co_u32_e32 v86, vcc, s16, v2
	v_addc_co_u32_e32 v83, vcc, v83, v3, vcc
	v_and_b32_e32 v96, 0x3ff, v0
	v_add_co_u32_e32 v88, vcc, s18, v2
	v_add_u32_e32 v2, s7, v96
	s_waitcnt lgkmcnt(0)
	s_lshl_b32 s7, s0, 3
	v_mbcnt_lo_u32_b32 v4, -1, 0
	s_mul_i32 s0, s15, s7
	s_mul_hi_u32 s1, s14, s7
	v_mbcnt_hi_u32_b32 v4, -1, v4
	v_mul_lo_u32 v20, s15, v18
	v_mul_lo_u32 v23, s15, v21
	;; [unrolled: 1-line block ×3, first 2 shown]
	v_addc_co_u32_e32 v85, vcc, v16, v3, vcc
	v_mov_b32_e32 v3, 0
	s_add_i32 s1, s1, s0
	s_mul_i32 s0, s14, s7
	v_lshlrev_b32_e32 v4, 2, v4
	v_add3_u32 v39, v20, v39, v19
	v_add3_u32 v41, v23, v41, v22
	;; [unrolled: 1-line block ×6, first 2 shown]
	s_mov_b32 s9, s20
	s_lshl_b64 s[10:11], s[0:1], 1
	s_mov_b64 s[16:17], 7
	v_and_b32_e32 v97, 0x100, v4
	s_mov_b64 s[18:19], s[34:35]
	v_mov_b32_e32 v26, v3
	v_mov_b32_e32 v27, v3
	;; [unrolled: 1-line block ×3, first 2 shown]
	v_lshlrev_b64 v[90:91], 1, v[2:3]
	s_branch .LBB99_55
.LBB99_52:                              ;   in Loop: Header=BB99_55 Depth=1
	s_or_b64 exec, exec, s[22:23]
.LBB99_53:                              ;   in Loop: Header=BB99_55 Depth=1
	s_or_b64 exec, exec, s[0:1]
	v_add_co_u32_e32 v4, vcc, v44, v90
	v_addc_co_u32_e32 v5, vcc, v1, v91, vcc
	global_load_ushort v7, v[4:5], off
	v_add_co_u32_e32 v4, vcc, v60, v90
	v_addc_co_u32_e32 v5, vcc, v29, v91, vcc
	global_load_ushort v8, v[4:5], off
	;; [unrolled: 3-line block ×16, first 2 shown]
	s_waitcnt vmcnt(16)
	ds_bpermute_b32 v24, v97, v2 offset:8
	s_waitcnt vmcnt(15)
	v_lshlrev_b32_e32 v4, 16, v7
	s_waitcnt vmcnt(14)
	v_lshlrev_b32_e32 v7, 16, v8
	;; [unrolled: 2-line block ×13, first 2 shown]
	ds_bpermute_b32 v19, v97, v6
	s_waitcnt vmcnt(2)
	v_lshlrev_b32_e32 v22, 16, v20
	s_waitcnt vmcnt(1)
	v_lshlrev_b32_e32 v20, 16, v21
	ds_bpermute_b32 v21, v97, v2
	s_waitcnt vmcnt(0)
	v_lshlrev_b32_e32 v23, 16, v5
	s_waitcnt lgkmcnt(1)
	v_sub_f32_e32 v5, v7, v19
	ds_bpermute_b32 v7, v97, v6 offset:4
	v_mul_f32_e32 v5, v5, v4
	s_waitcnt lgkmcnt(1)
	v_mul_f32_e32 v5, v5, v21
	ds_bpermute_b32 v19, v97, v2 offset:4
	ds_bpermute_b32 v21, v97, v6 offset:8
	s_waitcnt lgkmcnt(2)
	v_sub_f32_e32 v7, v9, v7
	v_mul_f32_e32 v7, v7, v8
	v_pk_add_f32 v[4:5], v[92:93], v[4:5]
	s_waitcnt lgkmcnt(1)
	v_mul_f32_e32 v9, v7, v19
	s_waitcnt lgkmcnt(0)
	v_sub_f32_e32 v7, v11, v21
	ds_bpermute_b32 v19, v97, v6 offset:12
	v_mul_f32_e32 v7, v7, v10
	v_mul_f32_e32 v11, v7, v24
	ds_bpermute_b32 v7, v97, v2 offset:12
	ds_bpermute_b32 v21, v97, v6 offset:16
	s_waitcnt lgkmcnt(2)
	v_sub_f32_e32 v13, v13, v19
	ds_bpermute_b32 v19, v97, v2 offset:16
	v_mul_f32_e32 v13, v13, v12
	s_waitcnt lgkmcnt(2)
	v_mul_f32_e32 v13, v13, v7
	s_waitcnt lgkmcnt(1)
	v_sub_f32_e32 v7, v15, v21
	ds_bpermute_b32 v21, v97, v6 offset:20
	v_mul_f32_e32 v7, v7, v14
	s_waitcnt lgkmcnt(1)
	v_mul_f32_e32 v15, v7, v19
	ds_bpermute_b32 v7, v97, v2 offset:20
	ds_bpermute_b32 v19, v97, v6 offset:24
	;; [unrolled: 1-line block ×3, first 2 shown]
	s_waitcnt lgkmcnt(3)
	v_sub_f32_e32 v17, v17, v21
	ds_bpermute_b32 v21, v97, v2 offset:24
	v_pk_add_f32 v[4:5], v[4:5], v[8:9]
	ds_bpermute_b32 v2, v97, v2 offset:28
	v_mul_f32_e32 v17, v17, v16
	v_pk_add_f32 v[4:5], v[4:5], v[10:11]
	s_waitcnt lgkmcnt(4)
	v_mul_f32_e32 v17, v17, v7
	s_waitcnt lgkmcnt(3)
	v_sub_f32_e32 v7, v22, v19
	v_pk_add_f32 v[4:5], v[4:5], v[12:13]
	v_mul_f32_e32 v7, v7, v18
	v_pk_add_f32 v[4:5], v[4:5], v[14:15]
	s_waitcnt lgkmcnt(2)
	v_sub_f32_e32 v6, v23, v6
	s_waitcnt lgkmcnt(1)
	v_mul_f32_e32 v19, v7, v21
	v_pk_add_f32 v[4:5], v[4:5], v[16:17]
	v_mul_f32_e32 v6, v6, v20
	v_pk_add_f32 v[4:5], v[4:5], v[18:19]
	s_waitcnt lgkmcnt(0)
	v_mul_f32_e32 v21, v6, v2
	v_pk_add_f32 v[26:27], v[4:5], v[20:21]
.LBB99_54:                              ;   in Loop: Header=BB99_55 Depth=1
	v_mov_b32_e32 v2, s9
	v_add_co_u32_e32 v28, vcc, s7, v28
	v_addc_co_u32_e32 v87, vcc, v87, v2, vcc
	v_mov_b32_e32 v2, s11
	v_add_co_u32_e32 v30, vcc, s10, v30
	v_addc_co_u32_e32 v31, vcc, v31, v2, vcc
	v_add_co_u32_e32 v32, vcc, s10, v32
	v_addc_co_u32_e32 v33, vcc, v33, v2, vcc
	;; [unrolled: 2-line block ×29, first 2 shown]
	s_add_u32 s18, s18, s7
	v_add_co_u32_e32 v88, vcc, s10, v88
	s_addc_u32 s19, s19, 0
	v_addc_co_u32_e32 v85, vcc, v85, v2, vcc
	v_pk_mov_b32 v[4:5], s[12:13], s[12:13] op_sel:[0,1]
	s_add_u32 s16, s16, s7
	v_cmp_ge_i64_e32 vcc, s[18:19], v[4:5]
	s_addc_u32 s17, s17, 0
	s_cbranch_vccnz .LBB99_81
.LBB99_55:                              ; =>This Inner Loop Header: Depth=1
	s_add_u32 s0, s34, s16
	s_addc_u32 s1, 0, s17
	v_pk_mov_b32 v[4:5], s[12:13], s[12:13] op_sel:[0,1]
	v_cmp_ge_i64_e32 vcc, s[0:1], v[4:5]
	v_mov_b32_e32 v2, s35
	v_add_co_u32_e64 v94, s[0:1], s34, v28
	v_mov_b32_e32 v92, v26
	v_mov_b32_e32 v93, v27
	v_addc_co_u32_e64 v95, s[0:1], v2, v87, s[0:1]
	s_cbranch_vccz .LBB99_77
; %bb.56:                               ;   in Loop: Header=BB99_55 Depth=1
	s_load_dword s0, s[2:3], 0xc
	v_mov_b32_e32 v26, 0
	v_mov_b32_e32 v27, 0
	s_waitcnt lgkmcnt(0)
	s_and_b32 s0, s0, 0xffff
	v_mad_u32_u24 v2, v89, s0, v96
	v_and_b32_e32 v2, 63, v2
	v_cmp_gt_u32_e32 vcc, 8, v2
	s_and_saveexec_b64 s[0:1], vcc
	s_cbranch_execz .LBB99_60
; %bb.57:                               ;   in Loop: Header=BB99_55 Depth=1
	v_add_co_u32_e32 v4, vcc, v94, v2
	v_addc_co_u32_e32 v5, vcc, 0, v95, vcc
	v_cmp_gt_i64_e32 vcc, s[12:13], v[4:5]
	v_mov_b32_e32 v27, 0
	v_mov_b32_e32 v26, 0
	s_and_saveexec_b64 s[22:23], vcc
	s_cbranch_execz .LBB99_59
; %bb.58:                               ;   in Loop: Header=BB99_55 Depth=1
	v_lshlrev_b64 v[4:5], 2, v[4:5]
	v_mov_b32_e32 v2, s31
	v_add_co_u32_e32 v6, vcc, s30, v4
	v_addc_co_u32_e32 v7, vcc, v2, v5, vcc
	v_mov_b32_e32 v2, s29
	v_add_co_u32_e32 v4, vcc, s28, v4
	v_addc_co_u32_e32 v5, vcc, v2, v5, vcc
	global_load_dword v27, v[4:5], off
	global_load_dword v26, v[6:7], off
.LBB99_59:                              ;   in Loop: Header=BB99_55 Depth=1
	s_or_b64 exec, exec, s[22:23]
.LBB99_60:                              ;   in Loop: Header=BB99_55 Depth=1
	s_or_b64 exec, exec, s[0:1]
	s_mov_b32 s21, s20
	s_mov_b32 s22, s20
	;; [unrolled: 1-line block ×7, first 2 shown]
	v_pk_mov_b32 v[10:11], s[20:21], s[20:21] op_sel:[0,1]
	v_pk_mov_b32 v[16:17], s[26:27], s[26:27] op_sel:[0,1]
	;; [unrolled: 1-line block ×5, first 2 shown]
	v_cmp_gt_i64_e32 vcc, s[12:13], v[94:95]
	v_pk_mov_b32 v[22:23], v[14:15], v[14:15] op_sel:[0,1]
	v_pk_mov_b32 v[20:21], v[12:13], v[12:13] op_sel:[0,1]
	;; [unrolled: 1-line block ×3, first 2 shown]
	s_and_saveexec_b64 s[0:1], vcc
	s_cbranch_execz .LBB99_62
; %bb.61:                               ;   in Loop: Header=BB99_55 Depth=1
	v_add_co_u32_e32 v4, vcc, v44, v90
	v_addc_co_u32_e32 v5, vcc, v1, v91, vcc
	global_load_ushort v2, v[4:5], off
	v_add_co_u32_e32 v4, vcc, v60, v90
	v_addc_co_u32_e32 v5, vcc, v29, v91, vcc
	global_load_ushort v10, v[4:5], off
	v_mov_b32_e32 v8, v3
	v_mov_b32_e32 v9, v3
	;; [unrolled: 1-line block ×13, first 2 shown]
	s_waitcnt vmcnt(1)
	v_lshlrev_b32_e32 v2, 16, v2
	v_pk_mov_b32 v[24:25], v[8:9], v[8:9] op_sel:[0,1]
	v_pk_mov_b32 v[22:23], v[6:7], v[6:7] op_sel:[0,1]
	;; [unrolled: 1-line block ×4, first 2 shown]
	s_waitcnt vmcnt(0)
	v_lshlrev_b32_e32 v10, 16, v10
.LBB99_62:                              ;   in Loop: Header=BB99_55 Depth=1
	s_or_b64 exec, exec, s[0:1]
	v_add_co_u32_e32 v4, vcc, 1, v94
	v_addc_co_u32_e32 v5, vcc, 0, v95, vcc
	v_cmp_gt_i64_e32 vcc, s[12:13], v[4:5]
	s_and_saveexec_b64 s[0:1], vcc
	s_cbranch_execz .LBB99_64
; %bb.63:                               ;   in Loop: Header=BB99_55 Depth=1
	v_add_co_u32_e32 v4, vcc, v86, v90
	v_addc_co_u32_e32 v5, vcc, v83, v91, vcc
	global_load_ushort v2, v[4:5], off
	v_add_co_u32_e32 v4, vcc, v88, v90
	v_addc_co_u32_e32 v5, vcc, v85, v91, vcc
	global_load_ushort v4, v[4:5], off
	s_waitcnt vmcnt(1)
	v_lshlrev_b32_e32 v19, 16, v2
	s_waitcnt vmcnt(0)
	v_lshlrev_b32_e32 v11, 16, v4
.LBB99_64:                              ;   in Loop: Header=BB99_55 Depth=1
	s_or_b64 exec, exec, s[0:1]
	v_add_co_u32_e32 v4, vcc, 2, v94
	v_addc_co_u32_e32 v5, vcc, 0, v95, vcc
	v_cmp_gt_i64_e32 vcc, s[12:13], v[4:5]
	s_and_saveexec_b64 s[0:1], vcc
	s_cbranch_execz .LBB99_66
; %bb.65:                               ;   in Loop: Header=BB99_55 Depth=1
	v_add_co_u32_e32 v4, vcc, v82, v90
	v_addc_co_u32_e32 v5, vcc, v79, v91, vcc
	global_load_ushort v2, v[4:5], off
	v_add_co_u32_e32 v4, vcc, v84, v90
	v_addc_co_u32_e32 v5, vcc, v81, v91, vcc
	global_load_ushort v4, v[4:5], off
	s_waitcnt vmcnt(1)
	v_lshlrev_b32_e32 v20, 16, v2
	s_waitcnt vmcnt(0)
	v_lshlrev_b32_e32 v12, 16, v4
.LBB99_66:                              ;   in Loop: Header=BB99_55 Depth=1
	;; [unrolled: 18-line block ×7, first 2 shown]
	s_or_b64 exec, exec, s[0:1]
	s_waitcnt vmcnt(1)
	ds_bpermute_b32 v2, v97, v27
	s_waitcnt vmcnt(0)
	ds_bpermute_b32 v4, v97, v26
	ds_bpermute_b32 v7, v97, v27 offset:4
	ds_bpermute_b32 v6, v97, v26 offset:4
	;; [unrolled: 1-line block ×3, first 2 shown]
	s_waitcnt lgkmcnt(4)
	v_sub_f32_e32 v2, v10, v2
	v_mul_f32_e32 v2, v18, v2
	s_waitcnt lgkmcnt(3)
	v_mul_f32_e32 v5, v2, v4
	ds_bpermute_b32 v4, v97, v26 offset:8
	s_waitcnt lgkmcnt(3)
	v_sub_f32_e32 v2, v11, v7
	v_mul_f32_e32 v2, v19, v2
	s_waitcnt lgkmcnt(2)
	v_mul_f32_e32 v7, v2, v6
	s_waitcnt lgkmcnt(1)
	v_sub_f32_e32 v2, v12, v8
	ds_bpermute_b32 v6, v97, v27 offset:12
	v_mul_f32_e32 v2, v20, v2
	s_waitcnt lgkmcnt(1)
	v_mul_f32_e32 v9, v2, v4
	ds_bpermute_b32 v2, v97, v26 offset:12
	ds_bpermute_b32 v4, v97, v27 offset:16
	;; [unrolled: 1-line block ×3, first 2 shown]
	s_waitcnt lgkmcnt(3)
	v_sub_f32_e32 v6, v13, v6
	v_mul_f32_e32 v6, v21, v6
	s_waitcnt lgkmcnt(2)
	v_mul_f32_e32 v11, v6, v2
	s_waitcnt lgkmcnt(1)
	v_sub_f32_e32 v2, v14, v4
	ds_bpermute_b32 v4, v97, v27 offset:20
	v_mul_f32_e32 v2, v22, v2
	s_waitcnt lgkmcnt(1)
	v_mul_f32_e32 v13, v2, v8
	ds_bpermute_b32 v2, v97, v26 offset:20
	ds_bpermute_b32 v6, v97, v27 offset:24
	ds_bpermute_b32 v8, v97, v26 offset:24
	s_waitcnt lgkmcnt(3)
	v_sub_f32_e32 v4, v15, v4
	v_mul_f32_e32 v4, v23, v4
	s_waitcnt lgkmcnt(2)
	v_mul_f32_e32 v15, v4, v2
	s_waitcnt lgkmcnt(1)
	v_sub_f32_e32 v2, v16, v6
	v_mul_f32_e32 v2, v24, v2
	s_waitcnt lgkmcnt(0)
	v_mul_f32_e32 v99, v2, v8
	v_mov_b32_e32 v4, v18
	ds_bpermute_b32 v2, v97, v27 offset:28
	v_pk_add_f32 v[4:5], v[92:93], v[4:5]
	v_mov_b32_e32 v6, v19
	v_pk_add_f32 v[4:5], v[6:7], v[4:5]
	v_mov_b32_e32 v8, v20
	ds_bpermute_b32 v6, v97, v26 offset:28
	v_pk_add_f32 v[4:5], v[8:9], v[4:5]
	v_mov_b32_e32 v10, v21
	v_pk_add_f32 v[4:5], v[10:11], v[4:5]
	v_mov_b32_e32 v12, v22
	;; [unrolled: 2-line block ×3, first 2 shown]
	s_waitcnt lgkmcnt(1)
	v_sub_f32_e32 v2, v17, v2
	v_pk_add_f32 v[4:5], v[14:15], v[4:5]
	v_mov_b32_e32 v98, v24
	v_mul_f32_e32 v2, v25, v2
	v_pk_add_f32 v[4:5], v[98:99], v[4:5]
	s_waitcnt lgkmcnt(0)
	v_mul_f32_e32 v7, v2, v6
	v_mov_b32_e32 v6, v25
	v_pk_add_f32 v[26:27], v[6:7], v[4:5]
	s_branch .LBB99_54
.LBB99_77:                              ;   in Loop: Header=BB99_55 Depth=1
                                        ; implicit-def: $vgpr27
	s_cbranch_execz .LBB99_54
; %bb.78:                               ;   in Loop: Header=BB99_55 Depth=1
	s_load_dword s0, s[2:3], 0x0
	v_mov_b32_e32 v2, 0
	v_mov_b32_e32 v6, 0
	s_waitcnt lgkmcnt(0)
	s_cmp_lt_u32 s6, s0
	s_cselect_b32 s0, 12, 18
	s_add_u32 s0, s2, s0
	s_addc_u32 s1, s3, 0
	global_load_ushort v4, v3, s[0:1]
	s_waitcnt vmcnt(0)
	v_mad_u32_u24 v4, v89, v4, v96
	v_and_b32_e32 v4, 63, v4
	v_cmp_gt_u32_e32 vcc, 8, v4
	s_and_saveexec_b64 s[0:1], vcc
	s_cbranch_execz .LBB99_53
; %bb.79:                               ;   in Loop: Header=BB99_55 Depth=1
	v_add_co_u32_e32 v4, vcc, v94, v4
	v_addc_co_u32_e32 v5, vcc, 0, v95, vcc
	v_cmp_gt_i64_e32 vcc, s[12:13], v[4:5]
	v_mov_b32_e32 v6, 0
	v_mov_b32_e32 v2, 0
	s_and_saveexec_b64 s[22:23], vcc
	s_cbranch_execz .LBB99_52
; %bb.80:                               ;   in Loop: Header=BB99_55 Depth=1
	v_lshlrev_b64 v[4:5], 2, v[4:5]
	v_mov_b32_e32 v2, s31
	v_add_co_u32_e32 v8, vcc, s30, v4
	v_addc_co_u32_e32 v9, vcc, v2, v5, vcc
	v_mov_b32_e32 v2, s29
	v_add_co_u32_e32 v4, vcc, s28, v4
	v_addc_co_u32_e32 v5, vcc, v2, v5, vcc
	global_load_dword v6, v[4:5], off
	global_load_dword v2, v[8:9], off
	s_branch .LBB99_52
.LBB99_81:
	s_mov_b32 s7, 0
	s_lshl_b64 s[0:1], s[6:7], 6
	v_and_b32_e32 v1, 0x3ff, v0
	v_or_b32_e32 v4, s0, v1
	v_mov_b32_e32 v5, s1
	v_cmp_gt_i64_e32 vcc, s[14:15], v[4:5]
	s_and_saveexec_b64 s[0:1], vcc
	s_cbranch_execz .LBB99_86
; %bb.82:
	s_load_dword s6, s[4:5], 0x4c
	s_load_dwordx4 s[0:3], s[4:5], 0x30
	v_bfe_u32 v0, v0, 10, 10
	v_mov_b32_e32 v1, 0
	v_mov_b32_e32 v2, s8
	s_waitcnt lgkmcnt(0)
	s_lshr_b32 s4, s6, 16
	v_mad_u64_u32 v[2:3], s[4:5], s4, v2, v[0:1]
	s_cmp_eq_u64 s[0:1], 0
	v_mul_lo_u32 v3, v3, s14
	v_mul_lo_u32 v6, v2, s15
	v_lshlrev_b64 v[0:1], 1, v[4:5]
	s_cbranch_scc1 .LBB99_84
; %bb.83:
	v_bfe_u32 v4, v27, 16, 1
	s_movk_i32 s4, 0x7fff
	v_add3_u32 v4, v27, v4, s4
	v_lshrrev_b32_e32 v4, 16, v4
	v_mov_b32_e32 v5, 0x7fc0
	v_cmp_o_f32_e32 vcc, v27, v27
	v_cndmask_b32_e32 v7, v5, v4, vcc
	v_mad_u64_u32 v[4:5], s[4:5], v2, s14, 0
	v_add3_u32 v5, v5, v6, v3
	v_lshlrev_b64 v[4:5], 1, v[4:5]
	v_mov_b32_e32 v8, s1
	v_add_co_u32_e32 v4, vcc, s0, v4
	v_addc_co_u32_e32 v5, vcc, v8, v5, vcc
	v_add_co_u32_e32 v4, vcc, v4, v0
	v_addc_co_u32_e32 v5, vcc, v5, v1, vcc
	global_store_short v[4:5], v7, off
.LBB99_84:
	s_cmp_eq_u64 s[2:3], 0
	s_cbranch_scc1 .LBB99_86
; %bb.85:
	v_bfe_u32 v4, v26, 16, 1
	s_movk_i32 s0, 0x7fff
	v_add3_u32 v4, v26, v4, s0
	v_lshrrev_b32_e32 v4, 16, v4
	v_mov_b32_e32 v5, 0x7fc0
	v_cmp_o_f32_e32 vcc, v26, v26
	v_cndmask_b32_e32 v7, v5, v4, vcc
	v_mad_u64_u32 v[4:5], s[0:1], v2, s14, 0
	v_add3_u32 v5, v5, v6, v3
	v_lshlrev_b64 v[2:3], 1, v[4:5]
	v_mov_b32_e32 v4, s3
	v_add_co_u32_e32 v2, vcc, s2, v2
	v_addc_co_u32_e32 v3, vcc, v4, v3, vcc
	v_add_co_u32_e32 v0, vcc, v2, v0
	v_addc_co_u32_e32 v1, vcc, v3, v1, vcc
	global_store_short v[0:1], v7, off
.LBB99_86:
	s_endpgm
	.section	.rodata,"a",@progbits
	.p2align	6, 0x0
	.amdhsa_kernel _ZN2at6native12_GLOBAL__N_135GammaBetaBackwardCUDAKernelTemplateIN3c108BFloat16EfLj64ELj1ELj8ELb1ELb0ELb0EEEvllPKT_S7_PKT0_SA_PS5_SB_
		.amdhsa_group_segment_fixed_size 0
		.amdhsa_private_segment_fixed_size 0
		.amdhsa_kernarg_size 320
		.amdhsa_user_sgpr_count 6
		.amdhsa_user_sgpr_private_segment_buffer 1
		.amdhsa_user_sgpr_dispatch_ptr 0
		.amdhsa_user_sgpr_queue_ptr 0
		.amdhsa_user_sgpr_kernarg_segment_ptr 1
		.amdhsa_user_sgpr_dispatch_id 0
		.amdhsa_user_sgpr_flat_scratch_init 0
		.amdhsa_user_sgpr_kernarg_preload_length 0
		.amdhsa_user_sgpr_kernarg_preload_offset 0
		.amdhsa_user_sgpr_private_segment_size 0
		.amdhsa_uses_dynamic_stack 0
		.amdhsa_system_sgpr_private_segment_wavefront_offset 0
		.amdhsa_system_sgpr_workgroup_id_x 1
		.amdhsa_system_sgpr_workgroup_id_y 1
		.amdhsa_system_sgpr_workgroup_id_z 0
		.amdhsa_system_sgpr_workgroup_info 0
		.amdhsa_system_vgpr_workitem_id 1
		.amdhsa_next_free_vgpr 100
		.amdhsa_next_free_sgpr 46
		.amdhsa_accum_offset 100
		.amdhsa_reserve_vcc 1
		.amdhsa_reserve_flat_scratch 0
		.amdhsa_float_round_mode_32 0
		.amdhsa_float_round_mode_16_64 0
		.amdhsa_float_denorm_mode_32 3
		.amdhsa_float_denorm_mode_16_64 3
		.amdhsa_dx10_clamp 1
		.amdhsa_ieee_mode 1
		.amdhsa_fp16_overflow 0
		.amdhsa_tg_split 0
		.amdhsa_exception_fp_ieee_invalid_op 0
		.amdhsa_exception_fp_denorm_src 0
		.amdhsa_exception_fp_ieee_div_zero 0
		.amdhsa_exception_fp_ieee_overflow 0
		.amdhsa_exception_fp_ieee_underflow 0
		.amdhsa_exception_fp_ieee_inexact 0
		.amdhsa_exception_int_div_zero 0
	.end_amdhsa_kernel
	.section	.text._ZN2at6native12_GLOBAL__N_135GammaBetaBackwardCUDAKernelTemplateIN3c108BFloat16EfLj64ELj1ELj8ELb1ELb0ELb0EEEvllPKT_S7_PKT0_SA_PS5_SB_,"axG",@progbits,_ZN2at6native12_GLOBAL__N_135GammaBetaBackwardCUDAKernelTemplateIN3c108BFloat16EfLj64ELj1ELj8ELb1ELb0ELb0EEEvllPKT_S7_PKT0_SA_PS5_SB_,comdat
.Lfunc_end99:
	.size	_ZN2at6native12_GLOBAL__N_135GammaBetaBackwardCUDAKernelTemplateIN3c108BFloat16EfLj64ELj1ELj8ELb1ELb0ELb0EEEvllPKT_S7_PKT0_SA_PS5_SB_, .Lfunc_end99-_ZN2at6native12_GLOBAL__N_135GammaBetaBackwardCUDAKernelTemplateIN3c108BFloat16EfLj64ELj1ELj8ELb1ELb0ELb0EEEvllPKT_S7_PKT0_SA_PS5_SB_
                                        ; -- End function
	.section	.AMDGPU.csdata,"",@progbits
; Kernel info:
; codeLenInByte = 7476
; NumSgprs: 50
; NumVgprs: 100
; NumAgprs: 0
; TotalNumVgprs: 100
; ScratchSize: 0
; MemoryBound: 0
; FloatMode: 240
; IeeeMode: 1
; LDSByteSize: 0 bytes/workgroup (compile time only)
; SGPRBlocks: 6
; VGPRBlocks: 12
; NumSGPRsForWavesPerEU: 50
; NumVGPRsForWavesPerEU: 100
; AccumOffset: 100
; Occupancy: 4
; WaveLimiterHint : 0
; COMPUTE_PGM_RSRC2:SCRATCH_EN: 0
; COMPUTE_PGM_RSRC2:USER_SGPR: 6
; COMPUTE_PGM_RSRC2:TRAP_HANDLER: 0
; COMPUTE_PGM_RSRC2:TGID_X_EN: 1
; COMPUTE_PGM_RSRC2:TGID_Y_EN: 1
; COMPUTE_PGM_RSRC2:TGID_Z_EN: 0
; COMPUTE_PGM_RSRC2:TIDIG_COMP_CNT: 1
; COMPUTE_PGM_RSRC3_GFX90A:ACCUM_OFFSET: 24
; COMPUTE_PGM_RSRC3_GFX90A:TG_SPLIT: 0
	.section	.text._ZN2at6native12_GLOBAL__N_135GammaBetaBackwardCUDAKernelTemplateIN3c108BFloat16EfLj64ELj8ELj64ELb0ELb1ELb0EEEvllPKT_S7_PKT0_SA_PS5_SB_,"axG",@progbits,_ZN2at6native12_GLOBAL__N_135GammaBetaBackwardCUDAKernelTemplateIN3c108BFloat16EfLj64ELj8ELj64ELb0ELb1ELb0EEEvllPKT_S7_PKT0_SA_PS5_SB_,comdat
	.globl	_ZN2at6native12_GLOBAL__N_135GammaBetaBackwardCUDAKernelTemplateIN3c108BFloat16EfLj64ELj8ELj64ELb0ELb1ELb0EEEvllPKT_S7_PKT0_SA_PS5_SB_ ; -- Begin function _ZN2at6native12_GLOBAL__N_135GammaBetaBackwardCUDAKernelTemplateIN3c108BFloat16EfLj64ELj8ELj64ELb0ELb1ELb0EEEvllPKT_S7_PKT0_SA_PS5_SB_
	.p2align	8
	.type	_ZN2at6native12_GLOBAL__N_135GammaBetaBackwardCUDAKernelTemplateIN3c108BFloat16EfLj64ELj8ELj64ELb0ELb1ELb0EEEvllPKT_S7_PKT0_SA_PS5_SB_,@function
_ZN2at6native12_GLOBAL__N_135GammaBetaBackwardCUDAKernelTemplateIN3c108BFloat16EfLj64ELj8ELj64ELb0ELb1ELb0EEEvllPKT_S7_PKT0_SA_PS5_SB_: ; @_ZN2at6native12_GLOBAL__N_135GammaBetaBackwardCUDAKernelTemplateIN3c108BFloat16EfLj64ELj8ELj64ELb0ELb1ELb0EEEvllPKT_S7_PKT0_SA_PS5_SB_
; %bb.0:
	s_load_dwordx4 s[20:23], s[4:5], 0x0
	s_lshl_b32 s2, s7, 6
	s_mov_b32 s3, 0
	v_bfe_u32 v12, v0, 10, 10
	s_waitcnt lgkmcnt(0)
	v_pk_mov_b32 v[2:3], s[20:21], s[20:21] op_sel:[0,1]
	v_cmp_lt_i64_e32 vcc, s[2:3], v[2:3]
	s_cbranch_vccnz .LBB100_2
; %bb.1:
	s_mov_b64 s[0:1], 0
	v_bfe_u32 v4, v0, 10, 10
	s_branch .LBB100_3
.LBB100_2:
	s_mov_b64 s[0:1], -1
                                        ; implicit-def: $vgpr4
.LBB100_3:
	s_load_dwordx4 s[16:19], s[4:5], 0x30
	v_and_b32_e32 v10, 0x3ff, v0
	s_andn2_b64 vcc, exec, s[0:1]
	v_mov_b32_e32 v1, s3
	v_mbcnt_lo_u32_b32 v11, -1, 0
	v_mov_b32_e32 v0, s3
	s_cbranch_vccnz .LBB100_11
; %bb.4:
	s_load_dword s0, s[4:5], 0x4c
	s_load_dword s7, s[4:5], 0x44
	s_load_dwordx8 s[8:15], s[4:5], 0x10
	v_mbcnt_hi_u32_b32 v4, -1, v11
	v_lshlrev_b32_e32 v2, 3, v12
	s_waitcnt lgkmcnt(0)
	s_and_b32 s0, s0, 0xffff
	v_lshlrev_b32_e32 v4, 2, v4
	v_mad_u32_u24 v0, v12, s0, v10
	v_and_b32_e32 v13, 0x100, v4
	v_mov_b32_e32 v4, s3
	v_add_co_u32_e32 v6, vcc, s2, v2
	v_and_b32_e32 v3, 63, v0
	v_addc_co_u32_e32 v7, vcc, 0, v4, vcc
	v_add_co_u32_e32 v2, vcc, v6, v3
	v_cmp_gt_u32_e64 s[0:1], 8, v3
	s_lshl_b32 s4, s7, 6
	v_addc_co_u32_e32 v3, vcc, 0, v7, vcc
	v_mul_lo_u32 v8, s23, v6
	v_mul_lo_u32 v9, s22, v7
	v_mad_u64_u32 v[6:7], s[26:27], s22, v6, 0
	v_mov_b32_e32 v1, 0
	v_lshl_add_u32 v0, s6, 6, v10
	v_add3_u32 v7, v7, v9, v8
	s_mul_i32 s7, s23, s4
	s_mul_hi_u32 s26, s22, s4
	s_mov_b32 s5, 0
	v_lshlrev_b64 v[6:7], 1, v[6:7]
	v_lshlrev_b64 v[8:9], 1, v[0:1]
	s_add_i32 s27, s26, s7
	s_mul_i32 s26, s22, s4
	s_lshl_b64 s[24:25], s[4:5], 2
	v_add_co_u32_e32 v6, vcc, v6, v8
	s_lshl_b64 s[26:27], s[26:27], 1
	s_lshl_b64 s[22:23], s[22:23], 1
	v_or_b32_e32 v14, 4, v13
	v_or_b32_e32 v15, 8, v13
	;; [unrolled: 1-line block ×7, first 2 shown]
	v_lshlrev_b64 v[4:5], 2, v[2:3]
	v_addc_co_u32_e32 v7, vcc, v7, v9, vcc
	v_mov_b32_e32 v21, s9
	v_mov_b32_e32 v22, s11
	;; [unrolled: 1-line block ×6, first 2 shown]
	v_pk_mov_b32 v[8:9], s[20:21], s[20:21] op_sel:[0,1]
	v_mov_b32_e32 v0, v1
	s_branch .LBB100_7
.LBB100_5:                              ;   in Loop: Header=BB100_7 Depth=1
	s_or_b64 exec, exec, s[30:31]
.LBB100_6:                              ;   in Loop: Header=BB100_7 Depth=1
	s_or_b64 exec, exec, s[28:29]
	v_add_co_u32_e32 v30, vcc, s8, v6
	v_addc_co_u32_e32 v31, vcc, v21, v7, vcc
	v_add_co_u32_e32 v32, vcc, s10, v6
	v_addc_co_u32_e32 v33, vcc, v22, v7, vcc
	global_load_ushort v29, v[30:31], off
	v_add_co_u32_e32 v30, vcc, s22, v30
	v_addc_co_u32_e32 v31, vcc, v31, v23, vcc
	global_load_ushort v34, v[32:33], off
	;; [unrolled: 3-line block ×13, first 2 shown]
	global_load_ushort v46, v[32:33], off
	v_add_co_u32_e32 v30, vcc, s22, v30
	v_addc_co_u32_e32 v31, vcc, v31, v23, vcc
	global_load_ushort v47, v[30:31], off
	v_add_co_u32_e32 v30, vcc, s22, v32
	v_addc_co_u32_e32 v31, vcc, v33, v23, vcc
	;; [unrolled: 3-line block ×3, first 2 shown]
	v_add_co_u32_e32 v2, vcc, s4, v2
	v_addc_co_u32_e32 v3, vcc, v3, v25, vcc
	s_waitcnt vmcnt(15)
	v_lshlrev_b32_e32 v30, 16, v29
	s_add_u32 s2, s2, s4
	v_add_co_u32_e32 v6, vcc, s26, v6
	s_addc_u32 s3, s3, 0
	s_waitcnt vmcnt(14)
	v_lshlrev_b32_e32 v29, 16, v34
	v_addc_co_u32_e32 v7, vcc, v7, v26, vcc
	v_cmp_lt_i64_e32 vcc, s[2:3], v[8:9]
	s_and_b64 vcc, exec, vcc
	s_waitcnt vmcnt(13)
	v_lshlrev_b32_e32 v32, 16, v35
	s_waitcnt vmcnt(12)
	v_lshlrev_b32_e32 v33, 16, v36
	;; [unrolled: 2-line block ×9, first 2 shown]
	ds_bpermute_b32 v43, v13, v28
	s_waitcnt vmcnt(4)
	v_lshlrev_b32_e32 v41, 16, v44
	s_waitcnt lgkmcnt(0)
	v_sub_f32_e32 v29, v29, v43
	ds_bpermute_b32 v43, v14, v28
	v_mul_f32_e32 v29, v29, v30
	s_waitcnt vmcnt(3)
	v_lshlrev_b32_e32 v42, 16, v45
	s_waitcnt vmcnt(2)
	v_lshlrev_b32_e32 v45, 16, v46
	ds_bpermute_b32 v46, v13, v27
	s_waitcnt lgkmcnt(1)
	v_sub_f32_e32 v33, v33, v43
	ds_bpermute_b32 v43, v15, v27
	v_mul_f32_e32 v33, v33, v32
	s_waitcnt vmcnt(1)
	v_lshlrev_b32_e32 v44, 16, v47
	s_waitcnt vmcnt(0)
	v_lshlrev_b32_e32 v47, 16, v31
	s_waitcnt lgkmcnt(1)
	v_mul_f32_e32 v31, v29, v46
	ds_bpermute_b32 v29, v14, v27
	ds_bpermute_b32 v46, v15, v28
	v_pk_add_f32 v[0:1], v[0:1], v[30:31]
	s_waitcnt lgkmcnt(1)
	v_mul_f32_e32 v33, v33, v29
	s_waitcnt lgkmcnt(0)
	v_sub_f32_e32 v29, v35, v46
	ds_bpermute_b32 v46, v16, v28
	v_mul_f32_e32 v29, v29, v34
	v_mul_f32_e32 v35, v29, v43
	ds_bpermute_b32 v29, v16, v27
	ds_bpermute_b32 v43, v17, v28
	s_waitcnt lgkmcnt(2)
	v_sub_f32_e32 v37, v37, v46
	ds_bpermute_b32 v46, v17, v27
	v_mul_f32_e32 v37, v37, v36
	s_waitcnt lgkmcnt(2)
	v_mul_f32_e32 v37, v37, v29
	s_waitcnt lgkmcnt(1)
	v_sub_f32_e32 v29, v39, v43
	ds_bpermute_b32 v43, v18, v28
	v_mul_f32_e32 v29, v29, v38
	s_waitcnt lgkmcnt(1)
	v_mul_f32_e32 v39, v29, v46
	ds_bpermute_b32 v29, v18, v27
	ds_bpermute_b32 v46, v19, v28
	ds_bpermute_b32 v28, v20, v28
	s_waitcnt lgkmcnt(3)
	v_sub_f32_e32 v41, v41, v43
	ds_bpermute_b32 v43, v19, v27
	v_pk_add_f32 v[0:1], v[0:1], v[32:33]
	ds_bpermute_b32 v27, v20, v27
	v_mul_f32_e32 v41, v41, v40
	v_pk_add_f32 v[0:1], v[0:1], v[34:35]
	s_waitcnt lgkmcnt(4)
	v_mul_f32_e32 v41, v41, v29
	s_waitcnt lgkmcnt(3)
	v_sub_f32_e32 v29, v45, v46
	v_pk_add_f32 v[0:1], v[0:1], v[36:37]
	v_mul_f32_e32 v29, v29, v42
	v_pk_add_f32 v[0:1], v[0:1], v[38:39]
	s_waitcnt lgkmcnt(2)
	v_sub_f32_e32 v28, v47, v28
	s_waitcnt lgkmcnt(1)
	v_mul_f32_e32 v43, v29, v43
	v_pk_add_f32 v[0:1], v[0:1], v[40:41]
	v_mul_f32_e32 v28, v28, v44
	v_pk_add_f32 v[0:1], v[0:1], v[42:43]
	s_waitcnt lgkmcnt(0)
	v_mul_f32_e32 v45, v28, v27
	v_pk_add_f32 v[0:1], v[0:1], v[44:45]
	s_cbranch_vccz .LBB100_10
.LBB100_7:                              ; =>This Inner Loop Header: Depth=1
	v_mov_b32_e32 v27, 0
	v_mov_b32_e32 v28, 0
	s_and_saveexec_b64 s[28:29], s[0:1]
	s_cbranch_execz .LBB100_6
; %bb.8:                                ;   in Loop: Header=BB100_7 Depth=1
	v_cmp_gt_i64_e32 vcc, s[20:21], v[2:3]
	v_mov_b32_e32 v28, 0
	v_mov_b32_e32 v27, 0
	s_and_saveexec_b64 s[30:31], vcc
	s_cbranch_execz .LBB100_5
; %bb.9:                                ;   in Loop: Header=BB100_7 Depth=1
	v_mov_b32_e32 v27, s15
	v_add_co_u32_e32 v30, vcc, s14, v4
	v_addc_co_u32_e32 v31, vcc, v27, v5, vcc
	v_mov_b32_e32 v27, s13
	v_add_co_u32_e32 v32, vcc, s12, v4
	v_addc_co_u32_e32 v33, vcc, v27, v5, vcc
	global_load_dword v28, v[32:33], off
	global_load_dword v27, v[30:31], off
	s_branch .LBB100_5
.LBB100_10:
	v_mov_b32_e32 v4, v12
.LBB100_11:
	s_movk_i32 s0, 0x41
	v_mad_u32_u24 v2, v4, s0, v10
	v_lshl_add_u32 v2, v2, 2, 0
	v_lshrrev_b32_e32 v5, 6, v10
	ds_write_b32 v2, v1
	ds_write_b32 v2, v0 offset:2080
	v_add_u32_e32 v0, v5, v4
	s_mov_b32 s7, 0
	v_cmp_gt_u32_e32 vcc, 64, v0
	s_waitcnt lgkmcnt(0)
	s_barrier
	s_and_saveexec_b64 s[0:1], vcc
	s_cbranch_execz .LBB100_21
; %bb.12:
	v_and_b32_e32 v1, 63, v10
	v_cmp_gt_u32_e64 s[0:1], 8, v1
	v_mul_u32_u24_e32 v12, 0x41, v1
	v_mbcnt_hi_u32_b32 v1, -1, v11
	v_and_b32_e32 v2, 64, v1
	v_add_u32_e32 v2, 64, v2
	v_xor_b32_e32 v3, 4, v1
	v_cmp_lt_i32_e32 vcc, v3, v2
	v_cndmask_b32_e32 v3, v1, v3, vcc
	v_lshlrev_b32_e32 v6, 2, v3
	v_xor_b32_e32 v3, 2, v1
	v_cmp_lt_i32_e32 vcc, v3, v2
	v_cndmask_b32_e32 v3, v1, v3, vcc
	v_lshlrev_b32_e32 v7, 2, v3
	v_xor_b32_e32 v3, 1, v1
	s_lshl_b64 s[4:5], s[6:7], 6
	v_cmp_lt_i32_e32 vcc, v3, v2
	v_cndmask_b32_e32 v1, v1, v3, vcc
	v_add_u32_e32 v9, -8, v0
	v_or_b32_e32 v0, s4, v5
	v_lshlrev_b32_e32 v8, 2, v1
	v_mov_b32_e32 v1, s5
	v_add_co_u32_e32 v0, vcc, v0, v4
	v_addc_co_u32_e32 v1, vcc, 0, v1, vcc
	v_lshlrev_b64 v[2:3], 1, v[0:1]
	v_mov_b32_e32 v1, s19
	v_add_co_u32_e32 v0, vcc, s18, v2
	s_cmp_lg_u64 s[16:17], 0
	v_addc_co_u32_e32 v1, vcc, v1, v3, vcc
	v_cmp_eq_u32_e64 s[2:3], 0, v10
	s_cselect_b64 s[6:7], -1, 0
	s_cmp_lg_u64 s[18:19], 0
	v_mov_b32_e32 v10, s17
	v_add_co_u32_e32 v2, vcc, s16, v2
	v_add3_u32 v4, v12, v4, v5
	v_addc_co_u32_e32 v3, vcc, v10, v3, vcc
	v_lshl_add_u32 v10, v4, 2, 0
	v_cndmask_b32_e64 v4, 0, 1, s[6:7]
	s_cselect_b64 s[6:7], -1, 0
	v_cmp_ne_u32_e64 s[4:5], 1, v4
	v_cndmask_b32_e64 v4, 0, 1, s[6:7]
	s_mov_b64 s[8:9], 0
	s_movk_i32 s12, 0x7fff
	v_cmp_ne_u32_e64 s[6:7], 1, v4
	v_mov_b32_e32 v11, 0x7fc0
                                        ; implicit-def: $vgpr4
	s_branch .LBB100_14
.LBB100_13:                             ;   in Loop: Header=BB100_14 Depth=1
	s_or_b64 exec, exec, s[10:11]
	v_add_co_u32_e32 v0, vcc, 16, v0
	v_addc_co_u32_e32 v1, vcc, 0, v1, vcc
	v_add_co_u32_e32 v2, vcc, 16, v2
	v_add_u32_e32 v9, 8, v9
	v_addc_co_u32_e32 v3, vcc, 0, v3, vcc
	v_cmp_lt_u32_e32 vcc, 55, v9
	s_or_b64 s[8:9], vcc, s[8:9]
	v_add_u32_e32 v10, 32, v10
	s_andn2_b64 exec, exec, s[8:9]
	s_cbranch_execz .LBB100_21
.LBB100_14:                             ; =>This Inner Loop Header: Depth=1
	s_and_saveexec_b64 s[10:11], s[0:1]
	s_cbranch_execz .LBB100_16
; %bb.15:                               ;   in Loop: Header=BB100_14 Depth=1
	ds_read_b32 v5, v10
	ds_read_b32 v4, v10 offset:2080
.LBB100_16:                             ;   in Loop: Header=BB100_14 Depth=1
	s_or_b64 exec, exec, s[10:11]
	s_waitcnt lgkmcnt(1)
	ds_bpermute_b32 v13, v6, v5
	s_waitcnt lgkmcnt(1)
	ds_bpermute_b32 v12, v6, v4
	s_waitcnt lgkmcnt(0)
	v_pk_add_f32 v[4:5], v[4:5], v[12:13]
	ds_bpermute_b32 v13, v7, v5
	ds_bpermute_b32 v12, v7, v4
	s_waitcnt lgkmcnt(0)
	v_pk_add_f32 v[4:5], v[4:5], v[12:13]
	ds_bpermute_b32 v13, v8, v5
	ds_bpermute_b32 v12, v8, v4
	s_waitcnt lgkmcnt(0)
	v_pk_add_f32 v[4:5], v[4:5], v[12:13]
	s_and_saveexec_b64 s[10:11], s[2:3]
	s_cbranch_execz .LBB100_13
; %bb.17:                               ;   in Loop: Header=BB100_14 Depth=1
	s_and_b64 vcc, exec, s[4:5]
	s_cbranch_vccnz .LBB100_19
; %bb.18:                               ;   in Loop: Header=BB100_14 Depth=1
	v_bfe_u32 v12, v5, 16, 1
	v_add3_u32 v12, v5, v12, s12
	v_lshrrev_b32_e32 v12, 16, v12
	v_cmp_o_f32_e32 vcc, v5, v5
	v_cndmask_b32_e32 v12, v11, v12, vcc
	global_store_short v[2:3], v12, off
.LBB100_19:                             ;   in Loop: Header=BB100_14 Depth=1
	s_and_b64 vcc, exec, s[6:7]
	s_cbranch_vccnz .LBB100_13
; %bb.20:                               ;   in Loop: Header=BB100_14 Depth=1
	v_bfe_u32 v12, v4, 16, 1
	v_add3_u32 v12, v4, v12, s12
	v_lshrrev_b32_e32 v12, 16, v12
	v_cmp_o_f32_e32 vcc, v4, v4
	v_cndmask_b32_e32 v12, v11, v12, vcc
	global_store_short v[0:1], v12, off
	s_branch .LBB100_13
.LBB100_21:
	s_endpgm
	.section	.rodata,"a",@progbits
	.p2align	6, 0x0
	.amdhsa_kernel _ZN2at6native12_GLOBAL__N_135GammaBetaBackwardCUDAKernelTemplateIN3c108BFloat16EfLj64ELj8ELj64ELb0ELb1ELb0EEEvllPKT_S7_PKT0_SA_PS5_SB_
		.amdhsa_group_segment_fixed_size 0
		.amdhsa_private_segment_fixed_size 0
		.amdhsa_kernarg_size 320
		.amdhsa_user_sgpr_count 6
		.amdhsa_user_sgpr_private_segment_buffer 1
		.amdhsa_user_sgpr_dispatch_ptr 0
		.amdhsa_user_sgpr_queue_ptr 0
		.amdhsa_user_sgpr_kernarg_segment_ptr 1
		.amdhsa_user_sgpr_dispatch_id 0
		.amdhsa_user_sgpr_flat_scratch_init 0
		.amdhsa_user_sgpr_kernarg_preload_length 0
		.amdhsa_user_sgpr_kernarg_preload_offset 0
		.amdhsa_user_sgpr_private_segment_size 0
		.amdhsa_uses_dynamic_stack 0
		.amdhsa_system_sgpr_private_segment_wavefront_offset 0
		.amdhsa_system_sgpr_workgroup_id_x 1
		.amdhsa_system_sgpr_workgroup_id_y 1
		.amdhsa_system_sgpr_workgroup_id_z 0
		.amdhsa_system_sgpr_workgroup_info 0
		.amdhsa_system_vgpr_workitem_id 1
		.amdhsa_next_free_vgpr 48
		.amdhsa_next_free_sgpr 32
		.amdhsa_accum_offset 48
		.amdhsa_reserve_vcc 1
		.amdhsa_reserve_flat_scratch 0
		.amdhsa_float_round_mode_32 0
		.amdhsa_float_round_mode_16_64 0
		.amdhsa_float_denorm_mode_32 3
		.amdhsa_float_denorm_mode_16_64 3
		.amdhsa_dx10_clamp 1
		.amdhsa_ieee_mode 1
		.amdhsa_fp16_overflow 0
		.amdhsa_tg_split 0
		.amdhsa_exception_fp_ieee_invalid_op 0
		.amdhsa_exception_fp_denorm_src 0
		.amdhsa_exception_fp_ieee_div_zero 0
		.amdhsa_exception_fp_ieee_overflow 0
		.amdhsa_exception_fp_ieee_underflow 0
		.amdhsa_exception_fp_ieee_inexact 0
		.amdhsa_exception_int_div_zero 0
	.end_amdhsa_kernel
	.section	.text._ZN2at6native12_GLOBAL__N_135GammaBetaBackwardCUDAKernelTemplateIN3c108BFloat16EfLj64ELj8ELj64ELb0ELb1ELb0EEEvllPKT_S7_PKT0_SA_PS5_SB_,"axG",@progbits,_ZN2at6native12_GLOBAL__N_135GammaBetaBackwardCUDAKernelTemplateIN3c108BFloat16EfLj64ELj8ELj64ELb0ELb1ELb0EEEvllPKT_S7_PKT0_SA_PS5_SB_,comdat
.Lfunc_end100:
	.size	_ZN2at6native12_GLOBAL__N_135GammaBetaBackwardCUDAKernelTemplateIN3c108BFloat16EfLj64ELj8ELj64ELb0ELb1ELb0EEEvllPKT_S7_PKT0_SA_PS5_SB_, .Lfunc_end100-_ZN2at6native12_GLOBAL__N_135GammaBetaBackwardCUDAKernelTemplateIN3c108BFloat16EfLj64ELj8ELj64ELb0ELb1ELb0EEEvllPKT_S7_PKT0_SA_PS5_SB_
                                        ; -- End function
	.section	.AMDGPU.csdata,"",@progbits
; Kernel info:
; codeLenInByte = 1820
; NumSgprs: 36
; NumVgprs: 48
; NumAgprs: 0
; TotalNumVgprs: 48
; ScratchSize: 0
; MemoryBound: 0
; FloatMode: 240
; IeeeMode: 1
; LDSByteSize: 0 bytes/workgroup (compile time only)
; SGPRBlocks: 4
; VGPRBlocks: 5
; NumSGPRsForWavesPerEU: 36
; NumVGPRsForWavesPerEU: 48
; AccumOffset: 48
; Occupancy: 8
; WaveLimiterHint : 0
; COMPUTE_PGM_RSRC2:SCRATCH_EN: 0
; COMPUTE_PGM_RSRC2:USER_SGPR: 6
; COMPUTE_PGM_RSRC2:TRAP_HANDLER: 0
; COMPUTE_PGM_RSRC2:TGID_X_EN: 1
; COMPUTE_PGM_RSRC2:TGID_Y_EN: 1
; COMPUTE_PGM_RSRC2:TGID_Z_EN: 0
; COMPUTE_PGM_RSRC2:TIDIG_COMP_CNT: 1
; COMPUTE_PGM_RSRC3_GFX90A:ACCUM_OFFSET: 11
; COMPUTE_PGM_RSRC3_GFX90A:TG_SPLIT: 0
	.section	.text._ZN2at6native12_GLOBAL__N_135GammaBetaBackwardCUDAKernelTemplateIN3c108BFloat16EfLj64ELj8ELj64ELb0ELb0ELb0EEEvllPKT_S7_PKT0_SA_PS5_SB_,"axG",@progbits,_ZN2at6native12_GLOBAL__N_135GammaBetaBackwardCUDAKernelTemplateIN3c108BFloat16EfLj64ELj8ELj64ELb0ELb0ELb0EEEvllPKT_S7_PKT0_SA_PS5_SB_,comdat
	.globl	_ZN2at6native12_GLOBAL__N_135GammaBetaBackwardCUDAKernelTemplateIN3c108BFloat16EfLj64ELj8ELj64ELb0ELb0ELb0EEEvllPKT_S7_PKT0_SA_PS5_SB_ ; -- Begin function _ZN2at6native12_GLOBAL__N_135GammaBetaBackwardCUDAKernelTemplateIN3c108BFloat16EfLj64ELj8ELj64ELb0ELb0ELb0EEEvllPKT_S7_PKT0_SA_PS5_SB_
	.p2align	8
	.type	_ZN2at6native12_GLOBAL__N_135GammaBetaBackwardCUDAKernelTemplateIN3c108BFloat16EfLj64ELj8ELj64ELb0ELb0ELb0EEEvllPKT_S7_PKT0_SA_PS5_SB_,@function
_ZN2at6native12_GLOBAL__N_135GammaBetaBackwardCUDAKernelTemplateIN3c108BFloat16EfLj64ELj8ELj64ELb0ELb0ELb0EEEvllPKT_S7_PKT0_SA_PS5_SB_: ; @_ZN2at6native12_GLOBAL__N_135GammaBetaBackwardCUDAKernelTemplateIN3c108BFloat16EfLj64ELj8ELj64ELb0ELb0ELb0EEEvllPKT_S7_PKT0_SA_PS5_SB_
; %bb.0:
	s_load_dwordx8 s[12:19], s[4:5], 0x0
	s_load_dwordx4 s[28:31], s[4:5], 0x20
	s_lshl_b32 s33, s6, 6
	s_mov_b32 s20, 0
	s_or_b32 s0, s33, 63
	s_mov_b32 s1, s20
	s_waitcnt lgkmcnt(0)
	v_pk_mov_b32 v[2:3], s[14:15], s[14:15] op_sel:[0,1]
	v_cmp_ge_i64_e32 vcc, s[0:1], v[2:3]
	s_lshl_b32 s10, s7, 6
	s_mov_b32 s11, s20
	v_pk_mov_b32 v[2:3], s[12:13], s[12:13] op_sel:[0,1]
	v_cmp_lt_i64_e64 s[0:1], s[10:11], v[2:3]
	v_cndmask_b32_e64 v1, 0, 1, s[0:1]
	v_cmp_ne_u32_e64 s[0:1], 1, v1
	s_cbranch_vccz .LBB101_48
; %bb.1:
	v_mov_b32_e32 v27, 0
	s_and_b64 vcc, exec, s[0:1]
	v_mov_b32_e32 v26, v27
	s_cbranch_vccnz .LBB101_49
; %bb.2:
	v_and_b32_e32 v61, 0x3ff, v0
	v_bfe_u32 v63, v0, 10, 10
	v_add_u32_e32 v2, s33, v61
	v_mov_b32_e32 v3, 0
	v_lshlrev_b32_e32 v28, 3, v63
	v_cmp_gt_i64_e64 s[2:3], s[14:15], v[2:3]
	v_lshlrev_b64 v[30:31], 1, v[2:3]
	v_mov_b32_e32 v1, s11
	v_add_co_u32_e32 v2, vcc, s10, v28
	v_addc_co_u32_e32 v6, vcc, 0, v1, vcc
	v_add_co_u32_e32 v1, vcc, 7, v2
	v_addc_co_u32_e32 v4, vcc, 0, v6, vcc
	v_mul_lo_u32 v7, s15, v1
	v_mul_lo_u32 v8, s14, v4
	v_mad_u64_u32 v[4:5], s[8:9], s14, v1, 0
	s_load_dword s7, s[4:5], 0x44
	v_add3_u32 v5, v5, v8, v7
	v_lshlrev_b64 v[4:5], 1, v[4:5]
	v_mov_b32_e32 v7, s17
	v_add_co_u32_e32 v32, vcc, s16, v4
	v_addc_co_u32_e32 v1, vcc, v7, v5, vcc
	s_add_u32 s34, s4, 64
	v_mov_b32_e32 v8, s19
	v_add_co_u32_e32 v34, vcc, s18, v4
	s_addc_u32 s35, s5, 0
	s_waitcnt lgkmcnt(0)
	s_lshl_b32 s7, s7, 6
	v_addc_co_u32_e32 v29, vcc, v8, v5, vcc
	s_mul_i32 s8, s15, s7
	s_mul_hi_u32 s9, s14, s7
	v_add_co_u32_e32 v4, vcc, 6, v2
	s_add_i32 s9, s9, s8
	s_mul_i32 s8, s14, s7
	v_addc_co_u32_e32 v5, vcc, 0, v6, vcc
	s_lshl_b64 s[36:37], s[8:9], 1
	v_mul_lo_u32 v9, s15, v4
	v_mul_lo_u32 v10, s14, v5
	v_mad_u64_u32 v[4:5], s[8:9], s14, v4, 0
	v_add3_u32 v5, v5, v10, v9
	v_lshlrev_b64 v[4:5], 1, v[4:5]
	v_add_co_u32_e32 v36, vcc, s16, v4
	v_addc_co_u32_e32 v33, vcc, v7, v5, vcc
	v_add_co_u32_e32 v38, vcc, s18, v4
	v_addc_co_u32_e32 v35, vcc, v8, v5, vcc
	v_add_co_u32_e32 v4, vcc, 5, v2
	v_addc_co_u32_e32 v5, vcc, 0, v6, vcc
	v_mul_lo_u32 v9, s15, v4
	v_mul_lo_u32 v10, s14, v5
	v_mad_u64_u32 v[4:5], s[8:9], s14, v4, 0
	v_add3_u32 v5, v5, v10, v9
	v_lshlrev_b64 v[4:5], 1, v[4:5]
	v_add_co_u32_e32 v40, vcc, s16, v4
	v_addc_co_u32_e32 v37, vcc, v7, v5, vcc
	v_add_co_u32_e32 v42, vcc, s18, v4
	v_addc_co_u32_e32 v39, vcc, v8, v5, vcc
	v_add_co_u32_e32 v4, vcc, 4, v2
	v_addc_co_u32_e32 v5, vcc, 0, v6, vcc
	;; [unrolled: 11-line block ×4, first 2 shown]
	v_mul_lo_u32 v9, s15, v4
	v_mul_lo_u32 v10, s14, v5
	v_mad_u64_u32 v[4:5], s[8:9], s14, v4, 0
	v_add3_u32 v5, v5, v10, v9
	v_lshlrev_b64 v[4:5], 1, v[4:5]
	v_add_co_u32_e32 v52, vcc, s16, v4
	v_addc_co_u32_e32 v49, vcc, v7, v5, vcc
	v_add_co_u32_e32 v54, vcc, s18, v4
	v_addc_co_u32_e32 v51, vcc, v8, v5, vcc
	v_pk_mov_b32 v[4:5], s[14:15], s[14:15] op_sel:[0,1]
	v_mad_u64_u32 v[4:5], s[8:9], s14, v2, v[4:5]
	v_mul_lo_u32 v6, s14, v6
	v_mul_lo_u32 v9, s15, v2
	v_add3_u32 v5, v9, v5, v6
	v_lshlrev_b64 v[4:5], 1, v[4:5]
	v_add_co_u32_e32 v56, vcc, s16, v4
	v_addc_co_u32_e32 v53, vcc, v7, v5, vcc
	v_add_co_u32_e32 v58, vcc, s18, v4
	v_addc_co_u32_e32 v55, vcc, v8, v5, vcc
	v_mad_u64_u32 v[4:5], s[8:9], s14, v2, 0
	v_add3_u32 v5, v5, v6, v9
	v_lshlrev_b64 v[4:5], 1, v[4:5]
	v_add_co_u32_e32 v60, vcc, s16, v4
	v_mbcnt_lo_u32_b32 v2, -1, 0
	v_addc_co_u32_e32 v57, vcc, v7, v5, vcc
	v_mbcnt_hi_u32_b32 v2, -1, v2
	s_add_u32 s38, s10, 63
	v_add_co_u32_e32 v62, vcc, s18, v4
	v_lshlrev_b32_e32 v2, 2, v2
	s_addc_u32 s39, 0, 0
	v_addc_co_u32_e32 v59, vcc, v8, v5, vcc
	v_and_b32_e32 v64, 0x100, v2
	s_mov_b64 s[40:41], s[10:11]
	v_mov_b32_e32 v26, v3
	v_mov_b32_e32 v27, v3
	s_branch .LBB101_5
.LBB101_3:                              ;   in Loop: Header=BB101_5 Depth=1
	s_or_b64 exec, exec, s[8:9]
	s_waitcnt vmcnt(1)
	ds_bpermute_b32 v2, v64, v68
	ds_bpermute_b32 v4, v64, v68 offset:4
	s_waitcnt vmcnt(0)
	ds_bpermute_b32 v5, v64, v67
	ds_bpermute_b32 v6, v64, v67 offset:4
	ds_bpermute_b32 v8, v64, v67 offset:12
	s_waitcnt lgkmcnt(4)
	v_sub_f32_e32 v2, v10, v2
	v_mul_f32_e32 v2, v18, v2
	s_waitcnt lgkmcnt(3)
	v_sub_f32_e32 v4, v11, v4
	s_waitcnt lgkmcnt(2)
	v_mul_f32_e32 v5, v2, v5
	ds_bpermute_b32 v2, v64, v68 offset:8
	v_mul_f32_e32 v4, v19, v4
	s_waitcnt lgkmcnt(2)
	v_mul_f32_e32 v7, v4, v6
	ds_bpermute_b32 v4, v64, v67 offset:8
	ds_bpermute_b32 v6, v64, v68 offset:12
	s_waitcnt lgkmcnt(2)
	v_sub_f32_e32 v2, v12, v2
	v_mul_f32_e32 v2, v20, v2
	v_mov_b32_e32 v10, v21
	s_waitcnt lgkmcnt(1)
	v_mul_f32_e32 v9, v2, v4
	s_waitcnt lgkmcnt(0)
	v_sub_f32_e32 v2, v13, v6
	ds_bpermute_b32 v4, v64, v68 offset:16
	v_mul_f32_e32 v2, v21, v2
	v_mul_f32_e32 v11, v2, v8
	ds_bpermute_b32 v2, v64, v67 offset:16
	ds_bpermute_b32 v6, v64, v68 offset:20
	;; [unrolled: 1-line block ×3, first 2 shown]
	s_waitcnt lgkmcnt(3)
	v_sub_f32_e32 v4, v14, v4
	v_mul_f32_e32 v4, v22, v4
	s_waitcnt lgkmcnt(2)
	v_mul_f32_e32 v13, v4, v2
	s_waitcnt lgkmcnt(1)
	v_sub_f32_e32 v2, v15, v6
	v_mul_f32_e32 v2, v23, v2
	s_waitcnt lgkmcnt(0)
	v_mul_f32_e32 v15, v2, v8
	v_mov_b32_e32 v4, v18
	ds_bpermute_b32 v2, v64, v68 offset:24
	v_pk_add_f32 v[4:5], v[26:27], v[4:5]
	v_mov_b32_e32 v6, v19
	v_pk_add_f32 v[4:5], v[6:7], v[4:5]
	ds_bpermute_b32 v7, v64, v67 offset:24
	v_mov_b32_e32 v8, v20
	v_pk_add_f32 v[4:5], v[8:9], v[4:5]
	v_pk_add_f32 v[4:5], v[10:11], v[4:5]
	v_mov_b32_e32 v12, v22
	s_waitcnt lgkmcnt(1)
	v_sub_f32_e32 v8, v16, v2
	v_pk_add_f32 v[4:5], v[12:13], v[4:5]
	v_mov_b32_e32 v14, v23
	v_mul_f32_e32 v8, v24, v8
	v_pk_add_f32 v[4:5], v[14:15], v[4:5]
	s_waitcnt lgkmcnt(0)
	v_mul_f32_e32 v9, v8, v7
	v_mov_b32_e32 v8, v24
	ds_bpermute_b32 v2, v64, v67 offset:28
	ds_bpermute_b32 v6, v64, v68 offset:28
	v_pk_add_f32 v[4:5], v[8:9], v[4:5]
.LBB101_4:                              ;   in Loop: Header=BB101_5 Depth=1
	s_waitcnt lgkmcnt(0)
	v_sub_f32_e32 v6, v17, v6
	v_mul_f32_e32 v6, v25, v6
	v_mul_f32_e32 v7, v6, v2
	v_mov_b32_e32 v2, s37
	v_add_co_u32_e32 v32, vcc, s36, v32
	v_addc_co_u32_e32 v1, vcc, v1, v2, vcc
	v_add_co_u32_e32 v34, vcc, s36, v34
	v_addc_co_u32_e32 v29, vcc, v29, v2, vcc
	;; [unrolled: 2-line block ×15, first 2 shown]
	v_mov_b32_e32 v6, v25
	s_add_u32 s40, s40, s7
	v_add_co_u32_e32 v62, vcc, s36, v62
	v_pk_add_f32 v[26:27], v[4:5], v[6:7]
	s_addc_u32 s41, s41, 0
	v_addc_co_u32_e32 v59, vcc, v59, v2, vcc
	v_pk_mov_b32 v[4:5], s[12:13], s[12:13] op_sel:[0,1]
	s_add_u32 s38, s38, s7
	v_cmp_lt_i64_e32 vcc, s[40:41], v[4:5]
	s_addc_u32 s39, s39, 0
	s_cbranch_vccz .LBB101_49
.LBB101_5:                              ; =>This Inner Loop Header: Depth=1
	v_pk_mov_b32 v[4:5], s[12:13], s[12:13] op_sel:[0,1]
	v_cmp_ge_i64_e32 vcc, s[38:39], v[4:5]
	v_mov_b32_e32 v2, s39
	v_add_co_u32_e64 v65, s[8:9], s38, v28
	v_addc_co_u32_e64 v66, s[8:9], 0, v2, s[8:9]
	s_cbranch_vccz .LBB101_27
; %bb.6:                                ;   in Loop: Header=BB101_5 Depth=1
	s_load_dword s8, s[34:35], 0xc
	v_mov_b32_e32 v67, 0
	v_mov_b32_e32 v68, 0
	s_waitcnt lgkmcnt(0)
	s_and_b32 s8, s8, 0xffff
	v_mad_u32_u24 v2, v63, s8, v61
	v_and_b32_e32 v2, 63, v2
	v_cmp_gt_u32_e32 vcc, 8, v2
	s_and_saveexec_b64 s[8:9], vcc
	s_cbranch_execz .LBB101_10
; %bb.7:                                ;   in Loop: Header=BB101_5 Depth=1
	v_add_co_u32_e32 v2, vcc, v65, v2
	v_addc_co_u32_e32 v5, vcc, 0, v66, vcc
	v_add_co_u32_e32 v4, vcc, 0xffffffc1, v2
	v_addc_co_u32_e32 v5, vcc, -1, v5, vcc
	v_cmp_gt_i64_e32 vcc, s[12:13], v[4:5]
	v_mov_b32_e32 v68, 0
	v_mov_b32_e32 v67, 0
	s_and_saveexec_b64 s[22:23], vcc
	s_cbranch_execz .LBB101_9
; %bb.8:                                ;   in Loop: Header=BB101_5 Depth=1
	v_lshlrev_b64 v[4:5], 2, v[4:5]
	v_mov_b32_e32 v2, s31
	v_add_co_u32_e32 v6, vcc, s30, v4
	v_addc_co_u32_e32 v7, vcc, v2, v5, vcc
	v_mov_b32_e32 v2, s29
	v_add_co_u32_e32 v4, vcc, s28, v4
	v_addc_co_u32_e32 v5, vcc, v2, v5, vcc
	global_load_dword v68, v[4:5], off
	global_load_dword v67, v[6:7], off
.LBB101_9:                              ;   in Loop: Header=BB101_5 Depth=1
	s_or_b64 exec, exec, s[22:23]
.LBB101_10:                             ;   in Loop: Header=BB101_5 Depth=1
	s_or_b64 exec, exec, s[8:9]
	s_mov_b32 s21, s20
	v_add_co_u32_e32 v4, vcc, 0xffffffc1, v65
	s_mov_b32 s22, s20
	s_mov_b32 s23, s20
	;; [unrolled: 1-line block ×6, first 2 shown]
	v_pk_mov_b32 v[10:11], s[20:21], s[20:21] op_sel:[0,1]
	v_addc_co_u32_e32 v5, vcc, -1, v66, vcc
	v_pk_mov_b32 v[16:17], s[26:27], s[26:27] op_sel:[0,1]
	v_cmp_gt_i64_e32 vcc, s[12:13], v[4:5]
	v_pk_mov_b32 v[12:13], s[22:23], s[22:23] op_sel:[0,1]
	v_pk_mov_b32 v[14:15], s[24:25], s[24:25] op_sel:[0,1]
	;; [unrolled: 1-line block ×3, first 2 shown]
	s_and_b64 s[42:43], s[2:3], vcc
	v_pk_mov_b32 v[22:23], v[14:15], v[14:15] op_sel:[0,1]
	v_pk_mov_b32 v[20:21], v[12:13], v[12:13] op_sel:[0,1]
	;; [unrolled: 1-line block ×3, first 2 shown]
	s_and_saveexec_b64 s[8:9], s[42:43]
	s_cbranch_execz .LBB101_12
; %bb.11:                               ;   in Loop: Header=BB101_5 Depth=1
	v_add_co_u32_e32 v4, vcc, v60, v30
	v_addc_co_u32_e32 v5, vcc, v57, v31, vcc
	global_load_ushort v2, v[4:5], off
	v_add_co_u32_e32 v4, vcc, v62, v30
	v_addc_co_u32_e32 v5, vcc, v59, v31, vcc
	global_load_ushort v10, v[4:5], off
	v_mov_b32_e32 v8, v3
	v_mov_b32_e32 v9, v3
	;; [unrolled: 1-line block ×13, first 2 shown]
	s_waitcnt vmcnt(1)
	v_lshlrev_b32_e32 v2, 16, v2
	v_pk_mov_b32 v[24:25], v[8:9], v[8:9] op_sel:[0,1]
	v_pk_mov_b32 v[22:23], v[6:7], v[6:7] op_sel:[0,1]
	;; [unrolled: 1-line block ×4, first 2 shown]
	s_waitcnt vmcnt(0)
	v_lshlrev_b32_e32 v10, 16, v10
.LBB101_12:                             ;   in Loop: Header=BB101_5 Depth=1
	s_or_b64 exec, exec, s[8:9]
	v_add_co_u32_e32 v4, vcc, 0xffffffc2, v65
	v_addc_co_u32_e32 v5, vcc, -1, v66, vcc
	v_cmp_gt_i64_e32 vcc, s[12:13], v[4:5]
	s_and_b64 s[22:23], s[2:3], vcc
	s_and_saveexec_b64 s[8:9], s[22:23]
	s_cbranch_execz .LBB101_14
; %bb.13:                               ;   in Loop: Header=BB101_5 Depth=1
	v_add_co_u32_e32 v4, vcc, v56, v30
	v_addc_co_u32_e32 v5, vcc, v53, v31, vcc
	global_load_ushort v2, v[4:5], off
	v_add_co_u32_e32 v4, vcc, v58, v30
	v_addc_co_u32_e32 v5, vcc, v55, v31, vcc
	global_load_ushort v4, v[4:5], off
	s_waitcnt vmcnt(1)
	v_lshlrev_b32_e32 v19, 16, v2
	s_waitcnt vmcnt(0)
	v_lshlrev_b32_e32 v11, 16, v4
.LBB101_14:                             ;   in Loop: Header=BB101_5 Depth=1
	s_or_b64 exec, exec, s[8:9]
	v_add_co_u32_e32 v4, vcc, 0xffffffc3, v65
	v_addc_co_u32_e32 v5, vcc, -1, v66, vcc
	v_cmp_gt_i64_e32 vcc, s[12:13], v[4:5]
	s_and_b64 s[22:23], s[2:3], vcc
	s_and_saveexec_b64 s[8:9], s[22:23]
	s_cbranch_execz .LBB101_16
; %bb.15:                               ;   in Loop: Header=BB101_5 Depth=1
	v_add_co_u32_e32 v4, vcc, v52, v30
	v_addc_co_u32_e32 v5, vcc, v49, v31, vcc
	global_load_ushort v2, v[4:5], off
	v_add_co_u32_e32 v4, vcc, v54, v30
	v_addc_co_u32_e32 v5, vcc, v51, v31, vcc
	global_load_ushort v4, v[4:5], off
	s_waitcnt vmcnt(1)
	v_lshlrev_b32_e32 v20, 16, v2
	s_waitcnt vmcnt(0)
	v_lshlrev_b32_e32 v12, 16, v4
.LBB101_16:                             ;   in Loop: Header=BB101_5 Depth=1
	;; [unrolled: 19-line block ×7, first 2 shown]
	s_or_b64 exec, exec, s[8:9]
	s_waitcnt vmcnt(1)
	ds_bpermute_b32 v2, v64, v68
	ds_bpermute_b32 v4, v64, v68 offset:4
	s_waitcnt vmcnt(0)
	ds_bpermute_b32 v5, v64, v67
	ds_bpermute_b32 v6, v64, v67 offset:4
	ds_bpermute_b32 v8, v64, v67 offset:12
	s_waitcnt lgkmcnt(4)
	v_sub_f32_e32 v2, v10, v2
	v_mul_f32_e32 v2, v18, v2
	s_waitcnt lgkmcnt(3)
	v_sub_f32_e32 v4, v11, v4
	s_waitcnt lgkmcnt(2)
	v_mul_f32_e32 v5, v2, v5
	ds_bpermute_b32 v2, v64, v68 offset:8
	v_mul_f32_e32 v4, v19, v4
	s_waitcnt lgkmcnt(2)
	v_mul_f32_e32 v7, v4, v6
	ds_bpermute_b32 v4, v64, v67 offset:8
	ds_bpermute_b32 v6, v64, v68 offset:12
	s_waitcnt lgkmcnt(2)
	v_sub_f32_e32 v2, v12, v2
	v_mul_f32_e32 v2, v20, v2
	v_mov_b32_e32 v10, v21
	s_waitcnt lgkmcnt(1)
	v_mul_f32_e32 v9, v2, v4
	s_waitcnt lgkmcnt(0)
	v_sub_f32_e32 v2, v13, v6
	ds_bpermute_b32 v4, v64, v68 offset:16
	v_mul_f32_e32 v2, v21, v2
	v_mul_f32_e32 v11, v2, v8
	ds_bpermute_b32 v2, v64, v67 offset:16
	ds_bpermute_b32 v6, v64, v68 offset:20
	;; [unrolled: 1-line block ×3, first 2 shown]
	s_waitcnt lgkmcnt(3)
	v_sub_f32_e32 v4, v14, v4
	v_mul_f32_e32 v4, v22, v4
	s_waitcnt lgkmcnt(2)
	v_mul_f32_e32 v13, v4, v2
	s_waitcnt lgkmcnt(1)
	v_sub_f32_e32 v2, v15, v6
	v_mul_f32_e32 v2, v23, v2
	s_waitcnt lgkmcnt(0)
	v_mul_f32_e32 v15, v2, v8
	ds_bpermute_b32 v2, v64, v68 offset:24
	v_mov_b32_e32 v4, v18
	v_pk_add_f32 v[4:5], v[26:27], v[4:5]
	v_mov_b32_e32 v6, v19
	v_pk_add_f32 v[4:5], v[6:7], v[4:5]
	ds_bpermute_b32 v7, v64, v67 offset:24
	v_mov_b32_e32 v8, v20
	s_waitcnt lgkmcnt(1)
	v_sub_f32_e32 v2, v16, v2
	v_pk_add_f32 v[4:5], v[8:9], v[4:5]
	v_mul_f32_e32 v8, v24, v2
	ds_bpermute_b32 v2, v64, v67 offset:28
	ds_bpermute_b32 v6, v64, v68 offset:28
	v_pk_add_f32 v[4:5], v[10:11], v[4:5]
	v_mov_b32_e32 v12, v22
	v_pk_add_f32 v[4:5], v[12:13], v[4:5]
	v_mov_b32_e32 v14, v23
	v_pk_add_f32 v[4:5], v[14:15], v[4:5]
	s_waitcnt lgkmcnt(2)
	v_mul_f32_e32 v9, v8, v7
	v_mov_b32_e32 v8, v24
	v_pk_add_f32 v[4:5], v[8:9], v[4:5]
	s_branch .LBB101_4
.LBB101_27:                             ;   in Loop: Header=BB101_5 Depth=1
                                        ; implicit-def: $vgpr4_vgpr5
                                        ; implicit-def: $vgpr2
                                        ; implicit-def: $vgpr10_vgpr11_vgpr12_vgpr13_vgpr14_vgpr15_vgpr16_vgpr17
                                        ; implicit-def: $vgpr18_vgpr19_vgpr20_vgpr21_vgpr22_vgpr23_vgpr24_vgpr25
                                        ; implicit-def: $vgpr6
	s_cbranch_execz .LBB101_4
; %bb.28:                               ;   in Loop: Header=BB101_5 Depth=1
	s_load_dword s8, s[34:35], 0x0
	v_mov_b32_e32 v67, 0
	v_mov_b32_e32 v68, 0
	s_waitcnt lgkmcnt(0)
	s_cmp_lt_u32 s6, s8
	s_cselect_b32 s8, 12, 18
	s_add_u32 s8, s34, s8
	s_addc_u32 s9, s35, 0
	global_load_ushort v2, v3, s[8:9]
	s_waitcnt vmcnt(0)
	v_mad_u32_u24 v2, v63, v2, v61
	v_and_b32_e32 v2, 63, v2
	v_cmp_gt_u32_e32 vcc, 8, v2
	s_and_saveexec_b64 s[8:9], vcc
	s_cbranch_execz .LBB101_32
; %bb.29:                               ;   in Loop: Header=BB101_5 Depth=1
	v_add_co_u32_e32 v2, vcc, v65, v2
	v_addc_co_u32_e32 v5, vcc, 0, v66, vcc
	v_add_co_u32_e32 v4, vcc, 0xffffffc1, v2
	v_addc_co_u32_e32 v5, vcc, -1, v5, vcc
	v_cmp_gt_i64_e32 vcc, s[12:13], v[4:5]
	v_mov_b32_e32 v68, 0
	v_mov_b32_e32 v67, 0
	s_and_saveexec_b64 s[22:23], vcc
	s_cbranch_execz .LBB101_31
; %bb.30:                               ;   in Loop: Header=BB101_5 Depth=1
	v_lshlrev_b64 v[4:5], 2, v[4:5]
	v_mov_b32_e32 v2, s31
	v_add_co_u32_e32 v6, vcc, s30, v4
	v_addc_co_u32_e32 v7, vcc, v2, v5, vcc
	v_mov_b32_e32 v2, s29
	v_add_co_u32_e32 v4, vcc, s28, v4
	v_addc_co_u32_e32 v5, vcc, v2, v5, vcc
	global_load_dword v68, v[4:5], off
	global_load_dword v67, v[6:7], off
.LBB101_31:                             ;   in Loop: Header=BB101_5 Depth=1
	s_or_b64 exec, exec, s[22:23]
.LBB101_32:                             ;   in Loop: Header=BB101_5 Depth=1
	s_or_b64 exec, exec, s[8:9]
	s_mov_b32 s21, s20
	s_mov_b32 s22, s20
	;; [unrolled: 1-line block ×7, first 2 shown]
	v_pk_mov_b32 v[10:11], s[20:21], s[20:21] op_sel:[0,1]
	v_pk_mov_b32 v[16:17], s[26:27], s[26:27] op_sel:[0,1]
	;; [unrolled: 1-line block ×8, first 2 shown]
	s_and_saveexec_b64 s[8:9], s[2:3]
	s_cbranch_execnz .LBB101_40
; %bb.33:                               ;   in Loop: Header=BB101_5 Depth=1
	s_or_b64 exec, exec, s[8:9]
	s_and_saveexec_b64 s[8:9], s[2:3]
	s_cbranch_execnz .LBB101_41
.LBB101_34:                             ;   in Loop: Header=BB101_5 Depth=1
	s_or_b64 exec, exec, s[8:9]
	s_and_saveexec_b64 s[8:9], s[2:3]
	s_cbranch_execnz .LBB101_42
.LBB101_35:                             ;   in Loop: Header=BB101_5 Depth=1
	s_or_b64 exec, exec, s[8:9]
	s_and_saveexec_b64 s[8:9], s[2:3]
	s_cbranch_execnz .LBB101_43
.LBB101_36:                             ;   in Loop: Header=BB101_5 Depth=1
	s_or_b64 exec, exec, s[8:9]
	s_and_saveexec_b64 s[8:9], s[2:3]
	s_cbranch_execnz .LBB101_44
.LBB101_37:                             ;   in Loop: Header=BB101_5 Depth=1
	s_or_b64 exec, exec, s[8:9]
	s_and_saveexec_b64 s[8:9], s[2:3]
	s_cbranch_execnz .LBB101_45
.LBB101_38:                             ;   in Loop: Header=BB101_5 Depth=1
	s_or_b64 exec, exec, s[8:9]
	s_and_saveexec_b64 s[8:9], s[2:3]
	s_cbranch_execnz .LBB101_46
.LBB101_39:                             ;   in Loop: Header=BB101_5 Depth=1
	s_or_b64 exec, exec, s[8:9]
	s_and_saveexec_b64 s[8:9], s[2:3]
	s_cbranch_execz .LBB101_3
	s_branch .LBB101_47
.LBB101_40:                             ;   in Loop: Header=BB101_5 Depth=1
	v_add_co_u32_e32 v4, vcc, v60, v30
	v_addc_co_u32_e32 v5, vcc, v57, v31, vcc
	global_load_ushort v2, v[4:5], off
	v_add_co_u32_e32 v4, vcc, v62, v30
	v_addc_co_u32_e32 v5, vcc, v59, v31, vcc
	global_load_ushort v10, v[4:5], off
	v_mov_b32_e32 v8, v3
	v_mov_b32_e32 v9, v3
	;; [unrolled: 1-line block ×13, first 2 shown]
	s_waitcnt vmcnt(1)
	v_lshlrev_b32_e32 v2, 16, v2
	v_pk_mov_b32 v[24:25], v[8:9], v[8:9] op_sel:[0,1]
	v_pk_mov_b32 v[22:23], v[6:7], v[6:7] op_sel:[0,1]
	;; [unrolled: 1-line block ×4, first 2 shown]
	s_waitcnt vmcnt(0)
	v_lshlrev_b32_e32 v10, 16, v10
	s_or_b64 exec, exec, s[8:9]
	s_and_saveexec_b64 s[8:9], s[2:3]
	s_cbranch_execz .LBB101_34
.LBB101_41:                             ;   in Loop: Header=BB101_5 Depth=1
	v_add_co_u32_e32 v4, vcc, v56, v30
	v_addc_co_u32_e32 v5, vcc, v53, v31, vcc
	global_load_ushort v2, v[4:5], off
	v_add_co_u32_e32 v4, vcc, v58, v30
	v_addc_co_u32_e32 v5, vcc, v55, v31, vcc
	global_load_ushort v4, v[4:5], off
	s_waitcnt vmcnt(1)
	v_lshlrev_b32_e32 v19, 16, v2
	s_waitcnt vmcnt(0)
	v_lshlrev_b32_e32 v11, 16, v4
	s_or_b64 exec, exec, s[8:9]
	s_and_saveexec_b64 s[8:9], s[2:3]
	s_cbranch_execz .LBB101_35
.LBB101_42:                             ;   in Loop: Header=BB101_5 Depth=1
	v_add_co_u32_e32 v4, vcc, v52, v30
	v_addc_co_u32_e32 v5, vcc, v49, v31, vcc
	global_load_ushort v2, v[4:5], off
	v_add_co_u32_e32 v4, vcc, v54, v30
	v_addc_co_u32_e32 v5, vcc, v51, v31, vcc
	global_load_ushort v4, v[4:5], off
	s_waitcnt vmcnt(1)
	v_lshlrev_b32_e32 v20, 16, v2
	s_waitcnt vmcnt(0)
	v_lshlrev_b32_e32 v12, 16, v4
	s_or_b64 exec, exec, s[8:9]
	s_and_saveexec_b64 s[8:9], s[2:3]
	s_cbranch_execz .LBB101_36
.LBB101_43:                             ;   in Loop: Header=BB101_5 Depth=1
	v_add_co_u32_e32 v4, vcc, v48, v30
	v_addc_co_u32_e32 v5, vcc, v45, v31, vcc
	global_load_ushort v2, v[4:5], off
	v_add_co_u32_e32 v4, vcc, v50, v30
	v_addc_co_u32_e32 v5, vcc, v47, v31, vcc
	global_load_ushort v4, v[4:5], off
	s_waitcnt vmcnt(1)
	v_lshlrev_b32_e32 v21, 16, v2
	s_waitcnt vmcnt(0)
	v_lshlrev_b32_e32 v13, 16, v4
	s_or_b64 exec, exec, s[8:9]
	s_and_saveexec_b64 s[8:9], s[2:3]
	s_cbranch_execz .LBB101_37
.LBB101_44:                             ;   in Loop: Header=BB101_5 Depth=1
	v_add_co_u32_e32 v4, vcc, v44, v30
	v_addc_co_u32_e32 v5, vcc, v41, v31, vcc
	global_load_ushort v2, v[4:5], off
	v_add_co_u32_e32 v4, vcc, v46, v30
	v_addc_co_u32_e32 v5, vcc, v43, v31, vcc
	global_load_ushort v4, v[4:5], off
	s_waitcnt vmcnt(1)
	v_lshlrev_b32_e32 v22, 16, v2
	s_waitcnt vmcnt(0)
	v_lshlrev_b32_e32 v14, 16, v4
	s_or_b64 exec, exec, s[8:9]
	s_and_saveexec_b64 s[8:9], s[2:3]
	s_cbranch_execz .LBB101_38
.LBB101_45:                             ;   in Loop: Header=BB101_5 Depth=1
	v_add_co_u32_e32 v4, vcc, v40, v30
	v_addc_co_u32_e32 v5, vcc, v37, v31, vcc
	global_load_ushort v2, v[4:5], off
	v_add_co_u32_e32 v4, vcc, v42, v30
	v_addc_co_u32_e32 v5, vcc, v39, v31, vcc
	global_load_ushort v4, v[4:5], off
	s_waitcnt vmcnt(1)
	v_lshlrev_b32_e32 v23, 16, v2
	s_waitcnt vmcnt(0)
	v_lshlrev_b32_e32 v15, 16, v4
	s_or_b64 exec, exec, s[8:9]
	s_and_saveexec_b64 s[8:9], s[2:3]
	s_cbranch_execz .LBB101_39
.LBB101_46:                             ;   in Loop: Header=BB101_5 Depth=1
	v_add_co_u32_e32 v4, vcc, v36, v30
	v_addc_co_u32_e32 v5, vcc, v33, v31, vcc
	global_load_ushort v2, v[4:5], off
	v_add_co_u32_e32 v4, vcc, v38, v30
	v_addc_co_u32_e32 v5, vcc, v35, v31, vcc
	global_load_ushort v4, v[4:5], off
	s_waitcnt vmcnt(1)
	v_lshlrev_b32_e32 v24, 16, v2
	s_waitcnt vmcnt(0)
	v_lshlrev_b32_e32 v16, 16, v4
	s_or_b64 exec, exec, s[8:9]
	s_and_saveexec_b64 s[8:9], s[2:3]
	s_cbranch_execz .LBB101_3
.LBB101_47:                             ;   in Loop: Header=BB101_5 Depth=1
	v_add_co_u32_e32 v4, vcc, v32, v30
	v_addc_co_u32_e32 v5, vcc, v1, v31, vcc
	global_load_ushort v2, v[4:5], off
	v_add_co_u32_e32 v4, vcc, v34, v30
	v_addc_co_u32_e32 v5, vcc, v29, v31, vcc
	global_load_ushort v4, v[4:5], off
	s_waitcnt vmcnt(1)
	v_lshlrev_b32_e32 v25, 16, v2
	s_waitcnt vmcnt(0)
	v_lshlrev_b32_e32 v17, 16, v4
	s_branch .LBB101_3
.LBB101_48:
                                        ; implicit-def: $vgpr27
	s_branch .LBB101_50
.LBB101_49:
	s_cbranch_execnz .LBB101_81
.LBB101_50:
	v_mov_b32_e32 v27, 0
	s_mov_b32 s20, 0
	s_and_b64 vcc, exec, s[0:1]
	v_mov_b32_e32 v26, v27
	s_cbranch_vccnz .LBB101_81
; %bb.51:
	s_load_dword s0, s[4:5], 0x44
	s_add_u32 s2, s4, 64
	s_addc_u32 s3, s5, 0
	v_bfe_u32 v87, v0, 10, 10
	v_lshlrev_b32_e32 v1, 4, v87
	s_waitcnt lgkmcnt(0)
	s_lshl_b32 s7, s0, 6
	s_add_u32 s8, s10, 63
	s_addc_u32 s9, 0, 0
	s_lshl_b64 s[0:1], s[10:11], 1
	v_mov_b32_e32 v2, s1
	v_add_co_u32_e32 v1, vcc, s0, v1
	v_addc_co_u32_e32 v4, vcc, 0, v2, vcc
	v_add_co_u32_e32 v6, vcc, 2, v1
	v_addc_co_u32_e32 v5, vcc, 0, v4, vcc
	v_add_co_u32_e32 v9, vcc, 4, v1
	v_mul_lo_u32 v7, s14, v5
	v_addc_co_u32_e32 v5, vcc, 0, v4, vcc
	v_add_co_u32_e32 v12, vcc, 6, v1
	v_mul_lo_u32 v10, s14, v5
	;; [unrolled: 3-line block ×5, first 2 shown]
	v_addc_co_u32_e32 v5, vcc, 0, v4, vcc
	v_add_co_u32_e32 v24, vcc, 14, v1
	v_lshlrev_b32_e32 v28, 3, v87
	v_addc_co_u32_e32 v1, vcc, 0, v4, vcc
	v_mul_lo_u32 v25, s14, v1
	v_mov_b32_e32 v1, s11
	v_add_co_u32_e32 v27, vcc, s10, v28
	v_pk_mov_b32 v[2:3], s[16:17], s[16:17] op_sel:[0,1]
	v_addc_co_u32_e32 v45, vcc, 0, v1, vcc
	v_mad_u64_u32 v[30:31], s[0:1], s14, v6, v[2:3]
	v_mad_u64_u32 v[32:33], s[0:1], s14, v9, v[2:3]
	;; [unrolled: 1-line block ×7, first 2 shown]
	v_mul_lo_u32 v61, s15, v27
	v_mul_lo_u32 v62, s14, v45
	v_mad_u64_u32 v[2:3], s[0:1], s14, v27, 0
	v_add3_u32 v3, v3, v62, v61
	v_lshlrev_b64 v[2:3], 1, v[2:3]
	v_mul_lo_u32 v22, s14, v5
	v_mov_b32_e32 v83, s17
	v_add_co_u32_e32 v44, vcc, s16, v2
	v_pk_mov_b32 v[4:5], s[18:19], s[18:19] op_sel:[0,1]
	v_mul_lo_u32 v17, s15, v15
	v_addc_co_u32_e32 v1, vcc, v83, v3, vcc
	v_mad_u64_u32 v[52:53], s[0:1], s14, v15, v[4:5]
	v_add3_u32 v37, v17, v37, v16
	v_add3_u32 v53, v17, v53, v16
	v_mov_b32_e32 v16, s19
	v_add_co_u32_e32 v60, vcc, s18, v2
	v_addc_co_u32_e32 v29, vcc, v16, v3, vcc
	v_add_co_u32_e32 v2, vcc, 7, v27
	v_addc_co_u32_e32 v3, vcc, 0, v45, vcc
	v_mad_u64_u32 v[46:47], s[0:1], s14, v6, v[4:5]
	v_mad_u64_u32 v[48:49], s[0:1], s14, v9, v[4:5]
	v_mad_u64_u32 v[50:51], s[0:1], s14, v12, v[4:5]
	v_mad_u64_u32 v[54:55], s[0:1], s14, v18, v[4:5]
	v_mad_u64_u32 v[56:57], s[0:1], s14, v21, v[4:5]
	v_mad_u64_u32 v[58:59], s[0:1], s14, v24, v[4:5]
	v_mul_lo_u32 v4, s15, v2
	v_mul_lo_u32 v5, s14, v3
	v_mad_u64_u32 v[2:3], s[0:1], s14, v2, 0
	v_add3_u32 v3, v3, v5, v4
	v_add_co_u32_e32 v4, vcc, 6, v27
	v_mul_lo_u32 v8, s15, v6
	v_addc_co_u32_e32 v5, vcc, 0, v45, vcc
	v_add3_u32 v31, v8, v31, v7
	v_add3_u32 v47, v8, v47, v7
	v_mul_lo_u32 v6, s15, v4
	v_mul_lo_u32 v7, s14, v5
	v_mad_u64_u32 v[4:5], s[0:1], s14, v4, 0
	v_add3_u32 v5, v5, v7, v6
	v_add_co_u32_e32 v6, vcc, 5, v27
	v_addc_co_u32_e32 v7, vcc, 0, v45, vcc
	v_mul_lo_u32 v11, s15, v9
	v_mul_lo_u32 v8, s15, v6
	v_mul_lo_u32 v9, s14, v7
	v_mad_u64_u32 v[6:7], s[0:1], s14, v6, 0
	v_add3_u32 v7, v7, v9, v8
	v_add_co_u32_e32 v8, vcc, 4, v27
	v_addc_co_u32_e32 v9, vcc, 0, v45, vcc
	v_add3_u32 v33, v11, v33, v10
	v_add3_u32 v49, v11, v49, v10
	v_mul_lo_u32 v10, s15, v8
	v_mul_lo_u32 v11, s14, v9
	v_mad_u64_u32 v[8:9], s[0:1], s14, v8, 0
	v_add3_u32 v9, v9, v11, v10
	v_add_co_u32_e32 v10, vcc, 3, v27
	v_mul_lo_u32 v14, s15, v12
	v_addc_co_u32_e32 v11, vcc, 0, v45, vcc
	v_add3_u32 v35, v14, v35, v13
	v_add3_u32 v51, v14, v51, v13
	v_mul_lo_u32 v12, s15, v10
	v_mul_lo_u32 v13, s14, v11
	v_mad_u64_u32 v[10:11], s[0:1], s14, v10, 0
	v_add3_u32 v11, v11, v13, v12
	v_add_co_u32_e32 v12, vcc, 2, v27
	v_addc_co_u32_e32 v13, vcc, 0, v45, vcc
	v_mul_lo_u32 v14, s15, v12
	v_mul_lo_u32 v15, s14, v13
	v_mad_u64_u32 v[12:13], s[0:1], s14, v12, 0
	v_add3_u32 v13, v13, v15, v14
	v_pk_mov_b32 v[14:15], s[14:15], s[14:15] op_sel:[0,1]
	v_lshlrev_b64 v[2:3], 1, v[2:3]
	v_mad_u64_u32 v[14:15], s[0:1], s14, v27, v[14:15]
	v_add3_u32 v15, v61, v15, v62
	v_add_co_u32_e32 v62, vcc, s16, v2
	v_addc_co_u32_e32 v45, vcc, v83, v3, vcc
	v_add_co_u32_e32 v64, vcc, s18, v2
	v_addc_co_u32_e32 v61, vcc, v16, v3, vcc
	v_lshlrev_b64 v[2:3], 1, v[4:5]
	v_add_co_u32_e32 v66, vcc, s16, v2
	v_addc_co_u32_e32 v63, vcc, v83, v3, vcc
	v_add_co_u32_e32 v68, vcc, s18, v2
	v_addc_co_u32_e32 v65, vcc, v16, v3, vcc
	v_lshlrev_b64 v[2:3], 1, v[6:7]
	;; [unrolled: 5-line block ×6, first 2 shown]
	v_add_co_u32_e32 v86, vcc, s16, v2
	v_addc_co_u32_e32 v83, vcc, v83, v3, vcc
	v_mbcnt_lo_u32_b32 v4, -1, 0
	v_add_co_u32_e32 v88, vcc, s18, v2
	v_and_b32_e32 v89, 0x3ff, v0
	s_mul_i32 s0, s15, s7
	s_mul_hi_u32 s1, s14, s7
	v_mbcnt_hi_u32_b32 v4, -1, v4
	v_mul_lo_u32 v20, s15, v18
	v_mul_lo_u32 v23, s15, v21
	;; [unrolled: 1-line block ×3, first 2 shown]
	v_addc_co_u32_e32 v85, vcc, v16, v3, vcc
	v_add_u32_e32 v2, s33, v89
	v_mov_b32_e32 v3, 0
	s_add_i32 s1, s1, s0
	s_mul_i32 s0, s14, s7
	v_lshlrev_b32_e32 v4, 2, v4
	v_add3_u32 v39, v20, v39, v19
	v_add3_u32 v41, v23, v41, v22
	;; [unrolled: 1-line block ×6, first 2 shown]
	s_lshl_b64 s[16:17], s[0:1], 1
	v_and_b32_e32 v94, 0x100, v4
	v_mov_b32_e32 v26, v3
	v_mov_b32_e32 v27, v3
	v_lshlrev_b64 v[90:91], 1, v[2:3]
	s_branch .LBB101_55
.LBB101_52:                             ;   in Loop: Header=BB101_55 Depth=1
	s_or_b64 exec, exec, s[18:19]
.LBB101_53:                             ;   in Loop: Header=BB101_55 Depth=1
	s_or_b64 exec, exec, s[0:1]
	v_add_co_u32_e32 v4, vcc, v44, v90
	v_addc_co_u32_e32 v5, vcc, v1, v91, vcc
	global_load_ushort v7, v[4:5], off
	v_add_co_u32_e32 v4, vcc, v60, v90
	v_addc_co_u32_e32 v5, vcc, v29, v91, vcc
	global_load_ushort v8, v[4:5], off
	;; [unrolled: 3-line block ×16, first 2 shown]
	s_waitcnt vmcnt(16)
	ds_bpermute_b32 v24, v94, v2 offset:8
	s_waitcnt vmcnt(15)
	v_lshlrev_b32_e32 v4, 16, v7
	s_waitcnt vmcnt(14)
	v_lshlrev_b32_e32 v7, 16, v8
	;; [unrolled: 2-line block ×13, first 2 shown]
	ds_bpermute_b32 v19, v94, v6
	s_waitcnt vmcnt(2)
	v_lshlrev_b32_e32 v22, 16, v20
	s_waitcnt vmcnt(1)
	v_lshlrev_b32_e32 v20, 16, v21
	ds_bpermute_b32 v21, v94, v2
	s_waitcnt vmcnt(0)
	v_lshlrev_b32_e32 v23, 16, v5
	s_waitcnt lgkmcnt(1)
	v_sub_f32_e32 v5, v7, v19
	ds_bpermute_b32 v7, v94, v6 offset:4
	v_mul_f32_e32 v5, v5, v4
	s_waitcnt lgkmcnt(1)
	v_mul_f32_e32 v5, v5, v21
	ds_bpermute_b32 v19, v94, v2 offset:4
	ds_bpermute_b32 v21, v94, v6 offset:8
	s_waitcnt lgkmcnt(2)
	v_sub_f32_e32 v7, v9, v7
	v_mul_f32_e32 v7, v7, v8
	v_pk_add_f32 v[4:5], v[92:93], v[4:5]
	s_waitcnt lgkmcnt(1)
	v_mul_f32_e32 v9, v7, v19
	s_waitcnt lgkmcnt(0)
	v_sub_f32_e32 v7, v11, v21
	ds_bpermute_b32 v19, v94, v6 offset:12
	v_mul_f32_e32 v7, v7, v10
	v_mul_f32_e32 v11, v7, v24
	ds_bpermute_b32 v7, v94, v2 offset:12
	ds_bpermute_b32 v21, v94, v6 offset:16
	s_waitcnt lgkmcnt(2)
	v_sub_f32_e32 v13, v13, v19
	ds_bpermute_b32 v19, v94, v2 offset:16
	v_mul_f32_e32 v13, v13, v12
	s_waitcnt lgkmcnt(2)
	v_mul_f32_e32 v13, v13, v7
	s_waitcnt lgkmcnt(1)
	v_sub_f32_e32 v7, v15, v21
	ds_bpermute_b32 v21, v94, v6 offset:20
	v_mul_f32_e32 v7, v7, v14
	s_waitcnt lgkmcnt(1)
	v_mul_f32_e32 v15, v7, v19
	ds_bpermute_b32 v7, v94, v2 offset:20
	ds_bpermute_b32 v19, v94, v6 offset:24
	;; [unrolled: 1-line block ×3, first 2 shown]
	s_waitcnt lgkmcnt(3)
	v_sub_f32_e32 v17, v17, v21
	ds_bpermute_b32 v21, v94, v2 offset:24
	v_pk_add_f32 v[4:5], v[4:5], v[8:9]
	ds_bpermute_b32 v2, v94, v2 offset:28
	v_mul_f32_e32 v17, v17, v16
	v_pk_add_f32 v[4:5], v[4:5], v[10:11]
	s_waitcnt lgkmcnt(4)
	v_mul_f32_e32 v17, v17, v7
	s_waitcnt lgkmcnt(3)
	v_sub_f32_e32 v7, v22, v19
	v_pk_add_f32 v[4:5], v[4:5], v[12:13]
	v_mul_f32_e32 v7, v7, v18
	v_pk_add_f32 v[4:5], v[4:5], v[14:15]
	s_waitcnt lgkmcnt(2)
	v_sub_f32_e32 v6, v23, v6
	s_waitcnt lgkmcnt(1)
	v_mul_f32_e32 v19, v7, v21
	v_pk_add_f32 v[4:5], v[4:5], v[16:17]
	v_mul_f32_e32 v6, v6, v20
	v_pk_add_f32 v[4:5], v[4:5], v[18:19]
	s_waitcnt lgkmcnt(0)
	v_mul_f32_e32 v21, v6, v2
	v_pk_add_f32 v[26:27], v[4:5], v[20:21]
.LBB101_54:                             ;   in Loop: Header=BB101_55 Depth=1
	v_mov_b32_e32 v2, s17
	v_add_co_u32_e32 v30, vcc, s16, v30
	v_addc_co_u32_e32 v31, vcc, v31, v2, vcc
	v_add_co_u32_e32 v32, vcc, s16, v32
	v_addc_co_u32_e32 v33, vcc, v33, v2, vcc
	;; [unrolled: 2-line block ×29, first 2 shown]
	s_add_u32 s10, s10, s7
	v_add_co_u32_e32 v88, vcc, s16, v88
	s_addc_u32 s11, s11, 0
	v_addc_co_u32_e32 v85, vcc, v85, v2, vcc
	v_pk_mov_b32 v[4:5], s[12:13], s[12:13] op_sel:[0,1]
	s_add_u32 s8, s8, s7
	v_cmp_ge_i64_e32 vcc, s[10:11], v[4:5]
	s_addc_u32 s9, s9, 0
	s_cbranch_vccnz .LBB101_81
.LBB101_55:                             ; =>This Inner Loop Header: Depth=1
	v_pk_mov_b32 v[4:5], s[12:13], s[12:13] op_sel:[0,1]
	v_cmp_ge_i64_e32 vcc, s[8:9], v[4:5]
	v_mov_b32_e32 v2, s9
	v_add_co_u32_e64 v95, s[0:1], s8, v28
	v_mov_b32_e32 v92, v26
	v_mov_b32_e32 v93, v27
	v_addc_co_u32_e64 v96, s[0:1], 0, v2, s[0:1]
	s_cbranch_vccz .LBB101_77
; %bb.56:                               ;   in Loop: Header=BB101_55 Depth=1
	s_load_dword s0, s[2:3], 0xc
	v_mov_b32_e32 v26, 0
	v_mov_b32_e32 v27, 0
	s_waitcnt lgkmcnt(0)
	s_and_b32 s0, s0, 0xffff
	v_mad_u32_u24 v2, v87, s0, v89
	v_and_b32_e32 v2, 63, v2
	v_cmp_gt_u32_e32 vcc, 8, v2
	s_and_saveexec_b64 s[0:1], vcc
	s_cbranch_execz .LBB101_60
; %bb.57:                               ;   in Loop: Header=BB101_55 Depth=1
	v_add_co_u32_e32 v2, vcc, v95, v2
	v_addc_co_u32_e32 v5, vcc, 0, v96, vcc
	v_add_co_u32_e32 v4, vcc, 0xffffffc1, v2
	v_addc_co_u32_e32 v5, vcc, -1, v5, vcc
	v_cmp_gt_i64_e32 vcc, s[12:13], v[4:5]
	v_mov_b32_e32 v27, 0
	v_mov_b32_e32 v26, 0
	s_and_saveexec_b64 s[18:19], vcc
	s_cbranch_execz .LBB101_59
; %bb.58:                               ;   in Loop: Header=BB101_55 Depth=1
	v_lshlrev_b64 v[4:5], 2, v[4:5]
	v_mov_b32_e32 v2, s31
	v_add_co_u32_e32 v6, vcc, s30, v4
	v_addc_co_u32_e32 v7, vcc, v2, v5, vcc
	v_mov_b32_e32 v2, s29
	v_add_co_u32_e32 v4, vcc, s28, v4
	v_addc_co_u32_e32 v5, vcc, v2, v5, vcc
	global_load_dword v27, v[4:5], off
	global_load_dword v26, v[6:7], off
.LBB101_59:                             ;   in Loop: Header=BB101_55 Depth=1
	s_or_b64 exec, exec, s[18:19]
.LBB101_60:                             ;   in Loop: Header=BB101_55 Depth=1
	s_or_b64 exec, exec, s[0:1]
	s_mov_b32 s21, s20
	s_mov_b32 s22, s20
	;; [unrolled: 1-line block ×7, first 2 shown]
	v_pk_mov_b32 v[10:11], s[20:21], s[20:21] op_sel:[0,1]
	v_add_co_u32_e32 v4, vcc, 0xffffffc1, v95
	v_pk_mov_b32 v[16:17], s[26:27], s[26:27] op_sel:[0,1]
	v_addc_co_u32_e32 v5, vcc, -1, v96, vcc
	v_pk_mov_b32 v[12:13], s[22:23], s[22:23] op_sel:[0,1]
	v_pk_mov_b32 v[14:15], s[24:25], s[24:25] op_sel:[0,1]
	;; [unrolled: 1-line block ×3, first 2 shown]
	v_cmp_gt_i64_e32 vcc, s[12:13], v[4:5]
	v_pk_mov_b32 v[22:23], v[14:15], v[14:15] op_sel:[0,1]
	v_pk_mov_b32 v[20:21], v[12:13], v[12:13] op_sel:[0,1]
	;; [unrolled: 1-line block ×3, first 2 shown]
	s_and_saveexec_b64 s[0:1], vcc
	s_cbranch_execz .LBB101_62
; %bb.61:                               ;   in Loop: Header=BB101_55 Depth=1
	v_add_co_u32_e32 v4, vcc, v44, v90
	v_addc_co_u32_e32 v5, vcc, v1, v91, vcc
	global_load_ushort v2, v[4:5], off
	v_add_co_u32_e32 v4, vcc, v60, v90
	v_addc_co_u32_e32 v5, vcc, v29, v91, vcc
	global_load_ushort v10, v[4:5], off
	v_mov_b32_e32 v8, v3
	v_mov_b32_e32 v9, v3
	;; [unrolled: 1-line block ×13, first 2 shown]
	s_waitcnt vmcnt(1)
	v_lshlrev_b32_e32 v2, 16, v2
	v_pk_mov_b32 v[24:25], v[8:9], v[8:9] op_sel:[0,1]
	v_pk_mov_b32 v[22:23], v[6:7], v[6:7] op_sel:[0,1]
	;; [unrolled: 1-line block ×4, first 2 shown]
	s_waitcnt vmcnt(0)
	v_lshlrev_b32_e32 v10, 16, v10
.LBB101_62:                             ;   in Loop: Header=BB101_55 Depth=1
	s_or_b64 exec, exec, s[0:1]
	v_add_co_u32_e32 v4, vcc, 0xffffffc2, v95
	v_addc_co_u32_e32 v5, vcc, -1, v96, vcc
	v_cmp_gt_i64_e32 vcc, s[12:13], v[4:5]
	s_and_saveexec_b64 s[0:1], vcc
	s_cbranch_execz .LBB101_64
; %bb.63:                               ;   in Loop: Header=BB101_55 Depth=1
	v_add_co_u32_e32 v4, vcc, v86, v90
	v_addc_co_u32_e32 v5, vcc, v83, v91, vcc
	global_load_ushort v2, v[4:5], off
	v_add_co_u32_e32 v4, vcc, v88, v90
	v_addc_co_u32_e32 v5, vcc, v85, v91, vcc
	global_load_ushort v4, v[4:5], off
	s_waitcnt vmcnt(1)
	v_lshlrev_b32_e32 v19, 16, v2
	s_waitcnt vmcnt(0)
	v_lshlrev_b32_e32 v11, 16, v4
.LBB101_64:                             ;   in Loop: Header=BB101_55 Depth=1
	s_or_b64 exec, exec, s[0:1]
	v_add_co_u32_e32 v4, vcc, 0xffffffc3, v95
	v_addc_co_u32_e32 v5, vcc, -1, v96, vcc
	v_cmp_gt_i64_e32 vcc, s[12:13], v[4:5]
	s_and_saveexec_b64 s[0:1], vcc
	s_cbranch_execz .LBB101_66
; %bb.65:                               ;   in Loop: Header=BB101_55 Depth=1
	v_add_co_u32_e32 v4, vcc, v82, v90
	v_addc_co_u32_e32 v5, vcc, v79, v91, vcc
	global_load_ushort v2, v[4:5], off
	v_add_co_u32_e32 v4, vcc, v84, v90
	v_addc_co_u32_e32 v5, vcc, v81, v91, vcc
	global_load_ushort v4, v[4:5], off
	s_waitcnt vmcnt(1)
	v_lshlrev_b32_e32 v20, 16, v2
	s_waitcnt vmcnt(0)
	v_lshlrev_b32_e32 v12, 16, v4
.LBB101_66:                             ;   in Loop: Header=BB101_55 Depth=1
	s_or_b64 exec, exec, s[0:1]
	v_add_co_u32_e32 v4, vcc, 0xffffffc4, v95
	v_addc_co_u32_e32 v5, vcc, -1, v96, vcc
	v_cmp_gt_i64_e32 vcc, s[12:13], v[4:5]
	s_and_saveexec_b64 s[0:1], vcc
	s_cbranch_execz .LBB101_68
; %bb.67:                               ;   in Loop: Header=BB101_55 Depth=1
	v_add_co_u32_e32 v4, vcc, v78, v90
	v_addc_co_u32_e32 v5, vcc, v75, v91, vcc
	global_load_ushort v2, v[4:5], off
	v_add_co_u32_e32 v4, vcc, v80, v90
	v_addc_co_u32_e32 v5, vcc, v77, v91, vcc
	global_load_ushort v4, v[4:5], off
	s_waitcnt vmcnt(1)
	v_lshlrev_b32_e32 v21, 16, v2
	s_waitcnt vmcnt(0)
	v_lshlrev_b32_e32 v13, 16, v4
.LBB101_68:                             ;   in Loop: Header=BB101_55 Depth=1
	s_or_b64 exec, exec, s[0:1]
	v_add_co_u32_e32 v4, vcc, 0xffffffc5, v95
	v_addc_co_u32_e32 v5, vcc, -1, v96, vcc
	v_cmp_gt_i64_e32 vcc, s[12:13], v[4:5]
	s_and_saveexec_b64 s[0:1], vcc
	s_cbranch_execz .LBB101_70
; %bb.69:                               ;   in Loop: Header=BB101_55 Depth=1
	v_add_co_u32_e32 v4, vcc, v74, v90
	v_addc_co_u32_e32 v5, vcc, v71, v91, vcc
	global_load_ushort v2, v[4:5], off
	v_add_co_u32_e32 v4, vcc, v76, v90
	v_addc_co_u32_e32 v5, vcc, v73, v91, vcc
	global_load_ushort v4, v[4:5], off
	s_waitcnt vmcnt(1)
	v_lshlrev_b32_e32 v22, 16, v2
	s_waitcnt vmcnt(0)
	v_lshlrev_b32_e32 v14, 16, v4
.LBB101_70:                             ;   in Loop: Header=BB101_55 Depth=1
	s_or_b64 exec, exec, s[0:1]
	v_add_co_u32_e32 v4, vcc, 0xffffffc6, v95
	v_addc_co_u32_e32 v5, vcc, -1, v96, vcc
	v_cmp_gt_i64_e32 vcc, s[12:13], v[4:5]
	s_and_saveexec_b64 s[0:1], vcc
	s_cbranch_execz .LBB101_72
; %bb.71:                               ;   in Loop: Header=BB101_55 Depth=1
	v_add_co_u32_e32 v4, vcc, v70, v90
	v_addc_co_u32_e32 v5, vcc, v67, v91, vcc
	global_load_ushort v2, v[4:5], off
	v_add_co_u32_e32 v4, vcc, v72, v90
	v_addc_co_u32_e32 v5, vcc, v69, v91, vcc
	global_load_ushort v4, v[4:5], off
	s_waitcnt vmcnt(1)
	v_lshlrev_b32_e32 v23, 16, v2
	s_waitcnt vmcnt(0)
	v_lshlrev_b32_e32 v15, 16, v4
.LBB101_72:                             ;   in Loop: Header=BB101_55 Depth=1
	s_or_b64 exec, exec, s[0:1]
	v_add_co_u32_e32 v4, vcc, 0xffffffc7, v95
	v_addc_co_u32_e32 v5, vcc, -1, v96, vcc
	v_cmp_gt_i64_e32 vcc, s[12:13], v[4:5]
	s_and_saveexec_b64 s[0:1], vcc
	s_cbranch_execz .LBB101_74
; %bb.73:                               ;   in Loop: Header=BB101_55 Depth=1
	v_add_co_u32_e32 v4, vcc, v66, v90
	v_addc_co_u32_e32 v5, vcc, v63, v91, vcc
	global_load_ushort v2, v[4:5], off
	v_add_co_u32_e32 v4, vcc, v68, v90
	v_addc_co_u32_e32 v5, vcc, v65, v91, vcc
	global_load_ushort v4, v[4:5], off
	s_waitcnt vmcnt(1)
	v_lshlrev_b32_e32 v24, 16, v2
	s_waitcnt vmcnt(0)
	v_lshlrev_b32_e32 v16, 16, v4
.LBB101_74:                             ;   in Loop: Header=BB101_55 Depth=1
	s_or_b64 exec, exec, s[0:1]
	v_add_co_u32_e32 v4, vcc, 0xffffffc8, v95
	v_addc_co_u32_e32 v5, vcc, -1, v96, vcc
	v_cmp_gt_i64_e32 vcc, s[12:13], v[4:5]
	s_and_saveexec_b64 s[0:1], vcc
	s_cbranch_execz .LBB101_76
; %bb.75:                               ;   in Loop: Header=BB101_55 Depth=1
	v_add_co_u32_e32 v4, vcc, v62, v90
	v_addc_co_u32_e32 v5, vcc, v45, v91, vcc
	global_load_ushort v2, v[4:5], off
	v_add_co_u32_e32 v4, vcc, v64, v90
	v_addc_co_u32_e32 v5, vcc, v61, v91, vcc
	global_load_ushort v4, v[4:5], off
	s_waitcnt vmcnt(1)
	v_lshlrev_b32_e32 v25, 16, v2
	s_waitcnt vmcnt(0)
	v_lshlrev_b32_e32 v17, 16, v4
.LBB101_76:                             ;   in Loop: Header=BB101_55 Depth=1
	s_or_b64 exec, exec, s[0:1]
	s_waitcnt vmcnt(1)
	ds_bpermute_b32 v2, v94, v27
	s_waitcnt vmcnt(0)
	ds_bpermute_b32 v4, v94, v26
	ds_bpermute_b32 v7, v94, v27 offset:4
	ds_bpermute_b32 v6, v94, v26 offset:4
	;; [unrolled: 1-line block ×3, first 2 shown]
	s_waitcnt lgkmcnt(4)
	v_sub_f32_e32 v2, v10, v2
	v_mul_f32_e32 v2, v18, v2
	s_waitcnt lgkmcnt(3)
	v_mul_f32_e32 v5, v2, v4
	ds_bpermute_b32 v4, v94, v26 offset:8
	s_waitcnt lgkmcnt(3)
	v_sub_f32_e32 v2, v11, v7
	v_mul_f32_e32 v2, v19, v2
	s_waitcnt lgkmcnt(2)
	v_mul_f32_e32 v7, v2, v6
	s_waitcnt lgkmcnt(1)
	v_sub_f32_e32 v2, v12, v8
	ds_bpermute_b32 v6, v94, v27 offset:12
	v_mul_f32_e32 v2, v20, v2
	s_waitcnt lgkmcnt(1)
	v_mul_f32_e32 v9, v2, v4
	ds_bpermute_b32 v2, v94, v26 offset:12
	ds_bpermute_b32 v4, v94, v27 offset:16
	;; [unrolled: 1-line block ×3, first 2 shown]
	s_waitcnt lgkmcnt(3)
	v_sub_f32_e32 v6, v13, v6
	v_mul_f32_e32 v6, v21, v6
	s_waitcnt lgkmcnt(2)
	v_mul_f32_e32 v11, v6, v2
	s_waitcnt lgkmcnt(1)
	v_sub_f32_e32 v2, v14, v4
	ds_bpermute_b32 v4, v94, v27 offset:20
	v_mul_f32_e32 v2, v22, v2
	s_waitcnt lgkmcnt(1)
	v_mul_f32_e32 v13, v2, v8
	ds_bpermute_b32 v2, v94, v26 offset:20
	ds_bpermute_b32 v6, v94, v27 offset:24
	;; [unrolled: 1-line block ×3, first 2 shown]
	s_waitcnt lgkmcnt(3)
	v_sub_f32_e32 v4, v15, v4
	v_mul_f32_e32 v4, v23, v4
	s_waitcnt lgkmcnt(2)
	v_mul_f32_e32 v15, v4, v2
	s_waitcnt lgkmcnt(1)
	v_sub_f32_e32 v2, v16, v6
	v_mul_f32_e32 v2, v24, v2
	s_waitcnt lgkmcnt(0)
	v_mul_f32_e32 v99, v2, v8
	v_mov_b32_e32 v4, v18
	ds_bpermute_b32 v2, v94, v27 offset:28
	v_pk_add_f32 v[4:5], v[92:93], v[4:5]
	v_mov_b32_e32 v6, v19
	v_pk_add_f32 v[4:5], v[6:7], v[4:5]
	v_mov_b32_e32 v8, v20
	ds_bpermute_b32 v6, v94, v26 offset:28
	v_pk_add_f32 v[4:5], v[8:9], v[4:5]
	v_mov_b32_e32 v10, v21
	v_pk_add_f32 v[4:5], v[10:11], v[4:5]
	v_mov_b32_e32 v12, v22
	;; [unrolled: 2-line block ×3, first 2 shown]
	s_waitcnt lgkmcnt(1)
	v_sub_f32_e32 v2, v17, v2
	v_pk_add_f32 v[4:5], v[14:15], v[4:5]
	v_mov_b32_e32 v98, v24
	v_mul_f32_e32 v2, v25, v2
	v_pk_add_f32 v[4:5], v[98:99], v[4:5]
	s_waitcnt lgkmcnt(0)
	v_mul_f32_e32 v7, v2, v6
	v_mov_b32_e32 v6, v25
	v_pk_add_f32 v[26:27], v[6:7], v[4:5]
	s_branch .LBB101_54
.LBB101_77:                             ;   in Loop: Header=BB101_55 Depth=1
                                        ; implicit-def: $vgpr27
	s_cbranch_execz .LBB101_54
; %bb.78:                               ;   in Loop: Header=BB101_55 Depth=1
	s_load_dword s0, s[2:3], 0x0
	v_mov_b32_e32 v2, 0
	v_mov_b32_e32 v6, 0
	s_waitcnt lgkmcnt(0)
	s_cmp_lt_u32 s6, s0
	s_cselect_b32 s0, 12, 18
	s_add_u32 s0, s2, s0
	s_addc_u32 s1, s3, 0
	global_load_ushort v4, v3, s[0:1]
	s_waitcnt vmcnt(0)
	v_mad_u32_u24 v4, v87, v4, v89
	v_and_b32_e32 v4, 63, v4
	v_cmp_gt_u32_e32 vcc, 8, v4
	s_and_saveexec_b64 s[0:1], vcc
	s_cbranch_execz .LBB101_53
; %bb.79:                               ;   in Loop: Header=BB101_55 Depth=1
	v_add_co_u32_e32 v2, vcc, v95, v4
	v_addc_co_u32_e32 v5, vcc, 0, v96, vcc
	v_add_co_u32_e32 v4, vcc, 0xffffffc1, v2
	v_addc_co_u32_e32 v5, vcc, -1, v5, vcc
	v_cmp_gt_i64_e32 vcc, s[12:13], v[4:5]
	v_mov_b32_e32 v6, 0
	v_mov_b32_e32 v2, 0
	s_and_saveexec_b64 s[18:19], vcc
	s_cbranch_execz .LBB101_52
; %bb.80:                               ;   in Loop: Header=BB101_55 Depth=1
	v_lshlrev_b64 v[4:5], 2, v[4:5]
	v_mov_b32_e32 v2, s31
	v_add_co_u32_e32 v8, vcc, s30, v4
	v_addc_co_u32_e32 v9, vcc, v2, v5, vcc
	v_mov_b32_e32 v2, s29
	v_add_co_u32_e32 v4, vcc, s28, v4
	v_addc_co_u32_e32 v5, vcc, v2, v5, vcc
	global_load_dword v6, v[4:5], off
	global_load_dword v2, v[8:9], off
	s_branch .LBB101_52
.LBB101_81:
	v_bfe_u32 v6, v0, 10, 10
	v_and_b32_e32 v0, 0x3ff, v0
	s_movk_i32 s0, 0x41
	v_mad_u32_u24 v1, v6, s0, v0
	v_lshl_add_u32 v1, v1, 2, 0
	v_lshrrev_b32_e32 v7, 6, v0
	ds_write_b32 v1, v27
	ds_write_b32 v1, v26 offset:2080
	v_add_u32_e32 v1, v7, v6
	s_mov_b32 s7, 0
	v_cmp_gt_u32_e32 vcc, 64, v1
	s_waitcnt lgkmcnt(0)
	s_barrier
	s_and_saveexec_b64 s[0:1], vcc
	s_cbranch_execz .LBB101_91
; %bb.82:
	v_and_b32_e32 v1, 63, v0
	v_cmp_gt_u32_e64 s[0:1], 8, v1
	v_mul_u32_u24_e32 v11, 0x41, v1
	v_mbcnt_lo_u32_b32 v1, -1, 0
	v_mbcnt_hi_u32_b32 v1, -1, v1
	v_and_b32_e32 v2, 64, v1
	v_add_u32_e32 v2, 64, v2
	v_cmp_eq_u32_e64 s[2:3], 0, v0
	v_xor_b32_e32 v0, 4, v1
	v_cmp_lt_i32_e32 vcc, v0, v2
	v_cndmask_b32_e32 v0, v1, v0, vcc
	v_lshlrev_b32_e32 v8, 2, v0
	v_xor_b32_e32 v0, 2, v1
	v_cmp_lt_i32_e32 vcc, v0, v2
	v_cndmask_b32_e32 v0, v1, v0, vcc
	v_lshlrev_b32_e32 v9, 2, v0
	v_xor_b32_e32 v0, 1, v1
	s_load_dwordx4 s[8:11], s[4:5], 0x30
	v_cmp_lt_i32_e32 vcc, v0, v2
	v_cndmask_b32_e32 v0, v1, v0, vcc
	s_lshl_b64 s[12:13], s[6:7], 6
	v_lshlrev_b32_e32 v10, 2, v0
	v_add_co_u32_e32 v0, vcc, v7, v6
	v_addc_co_u32_e64 v1, s[6:7], 0, 0, vcc
	v_mov_b32_e32 v3, s13
	v_add_co_u32_e32 v2, vcc, s12, v0
	v_addc_co_u32_e32 v3, vcc, v1, v3, vcc
	s_waitcnt lgkmcnt(0)
	s_cmp_lg_u64 s[8:9], 0
	v_lshlrev_b64 v[4:5], 1, v[2:3]
	s_cselect_b64 s[4:5], -1, 0
	s_cmp_lg_u64 s[10:11], 0
	v_mov_b32_e32 v3, s11
	v_add_co_u32_e32 v2, vcc, s10, v4
	v_add3_u32 v6, v11, v6, v7
	v_addc_co_u32_e32 v3, vcc, v3, v5, vcc
	v_lshl_add_u32 v11, v6, 2, 0
	v_cndmask_b32_e64 v6, 0, 1, s[4:5]
	s_cselect_b64 s[6:7], -1, 0
	v_mov_b32_e32 v12, s9
	v_add_co_u32_e32 v4, vcc, s8, v4
	v_cmp_ne_u32_e64 s[4:5], 1, v6
	v_cndmask_b32_e64 v6, 0, 1, s[6:7]
	s_mov_b64 s[16:17], 0
	v_addc_co_u32_e32 v5, vcc, v12, v5, vcc
	v_mov_b32_e32 v12, s13
	s_movk_i32 s10, 0x7fff
	v_cmp_ne_u32_e64 s[6:7], 1, v6
	v_mov_b32_e32 v13, 0x7fc0
                                        ; implicit-def: $vgpr6
	s_branch .LBB101_84
.LBB101_83:                             ;   in Loop: Header=BB101_84 Depth=1
	s_or_b64 exec, exec, s[8:9]
	v_add_co_u32_e32 v0, vcc, 8, v0
	v_addc_co_u32_e32 v1, vcc, 0, v1, vcc
	v_add_co_u32_e32 v2, vcc, 16, v2
	v_addc_co_u32_e32 v3, vcc, 0, v3, vcc
	v_add_co_u32_e32 v4, vcc, 16, v4
	v_add_u32_e32 v14, -8, v0
	v_addc_co_u32_e32 v5, vcc, 0, v5, vcc
	v_cmp_lt_u32_e32 vcc, 55, v14
	s_or_b64 s[16:17], vcc, s[16:17]
	v_add_u32_e32 v11, 32, v11
	s_andn2_b64 exec, exec, s[16:17]
	s_cbranch_execz .LBB101_91
.LBB101_84:                             ; =>This Inner Loop Header: Depth=1
	s_and_saveexec_b64 s[8:9], s[0:1]
	s_cbranch_execz .LBB101_86
; %bb.85:                               ;   in Loop: Header=BB101_84 Depth=1
	ds_read_b32 v7, v11
	ds_read_b32 v6, v11 offset:2080
.LBB101_86:                             ;   in Loop: Header=BB101_84 Depth=1
	s_or_b64 exec, exec, s[8:9]
	s_waitcnt lgkmcnt(1)
	ds_bpermute_b32 v15, v8, v7
	s_waitcnt lgkmcnt(1)
	ds_bpermute_b32 v14, v8, v6
	v_add_co_u32_e32 v16, vcc, s12, v0
	v_addc_co_u32_e32 v17, vcc, v12, v1, vcc
	s_waitcnt lgkmcnt(0)
	v_pk_add_f32 v[6:7], v[6:7], v[14:15]
	ds_bpermute_b32 v15, v9, v7
	ds_bpermute_b32 v14, v9, v6
	v_cmp_gt_i64_e32 vcc, s[14:15], v[16:17]
	s_and_b64 s[18:19], s[2:3], vcc
	s_waitcnt lgkmcnt(0)
	v_pk_add_f32 v[6:7], v[6:7], v[14:15]
	ds_bpermute_b32 v15, v10, v7
	ds_bpermute_b32 v14, v10, v6
	s_waitcnt lgkmcnt(0)
	v_pk_add_f32 v[6:7], v[6:7], v[14:15]
	s_and_saveexec_b64 s[8:9], s[18:19]
	s_cbranch_execz .LBB101_83
; %bb.87:                               ;   in Loop: Header=BB101_84 Depth=1
	s_and_b64 vcc, exec, s[4:5]
	s_cbranch_vccnz .LBB101_89
; %bb.88:                               ;   in Loop: Header=BB101_84 Depth=1
	v_bfe_u32 v14, v7, 16, 1
	v_add3_u32 v14, v7, v14, s10
	v_lshrrev_b32_e32 v14, 16, v14
	v_cmp_o_f32_e32 vcc, v7, v7
	v_cndmask_b32_e32 v14, v13, v14, vcc
	global_store_short v[4:5], v14, off
.LBB101_89:                             ;   in Loop: Header=BB101_84 Depth=1
	s_and_b64 vcc, exec, s[6:7]
	s_cbranch_vccnz .LBB101_83
; %bb.90:                               ;   in Loop: Header=BB101_84 Depth=1
	v_bfe_u32 v14, v6, 16, 1
	v_add3_u32 v14, v6, v14, s10
	v_lshrrev_b32_e32 v14, 16, v14
	v_cmp_o_f32_e32 vcc, v6, v6
	v_cndmask_b32_e32 v14, v13, v14, vcc
	global_store_short v[2:3], v14, off
	s_branch .LBB101_83
.LBB101_91:
	s_endpgm
	.section	.rodata,"a",@progbits
	.p2align	6, 0x0
	.amdhsa_kernel _ZN2at6native12_GLOBAL__N_135GammaBetaBackwardCUDAKernelTemplateIN3c108BFloat16EfLj64ELj8ELj64ELb0ELb0ELb0EEEvllPKT_S7_PKT0_SA_PS5_SB_
		.amdhsa_group_segment_fixed_size 0
		.amdhsa_private_segment_fixed_size 0
		.amdhsa_kernarg_size 320
		.amdhsa_user_sgpr_count 6
		.amdhsa_user_sgpr_private_segment_buffer 1
		.amdhsa_user_sgpr_dispatch_ptr 0
		.amdhsa_user_sgpr_queue_ptr 0
		.amdhsa_user_sgpr_kernarg_segment_ptr 1
		.amdhsa_user_sgpr_dispatch_id 0
		.amdhsa_user_sgpr_flat_scratch_init 0
		.amdhsa_user_sgpr_kernarg_preload_length 0
		.amdhsa_user_sgpr_kernarg_preload_offset 0
		.amdhsa_user_sgpr_private_segment_size 0
		.amdhsa_uses_dynamic_stack 0
		.amdhsa_system_sgpr_private_segment_wavefront_offset 0
		.amdhsa_system_sgpr_workgroup_id_x 1
		.amdhsa_system_sgpr_workgroup_id_y 1
		.amdhsa_system_sgpr_workgroup_id_z 0
		.amdhsa_system_sgpr_workgroup_info 0
		.amdhsa_system_vgpr_workitem_id 1
		.amdhsa_next_free_vgpr 100
		.amdhsa_next_free_sgpr 44
		.amdhsa_accum_offset 100
		.amdhsa_reserve_vcc 1
		.amdhsa_reserve_flat_scratch 0
		.amdhsa_float_round_mode_32 0
		.amdhsa_float_round_mode_16_64 0
		.amdhsa_float_denorm_mode_32 3
		.amdhsa_float_denorm_mode_16_64 3
		.amdhsa_dx10_clamp 1
		.amdhsa_ieee_mode 1
		.amdhsa_fp16_overflow 0
		.amdhsa_tg_split 0
		.amdhsa_exception_fp_ieee_invalid_op 0
		.amdhsa_exception_fp_denorm_src 0
		.amdhsa_exception_fp_ieee_div_zero 0
		.amdhsa_exception_fp_ieee_overflow 0
		.amdhsa_exception_fp_ieee_underflow 0
		.amdhsa_exception_fp_ieee_inexact 0
		.amdhsa_exception_int_div_zero 0
	.end_amdhsa_kernel
	.section	.text._ZN2at6native12_GLOBAL__N_135GammaBetaBackwardCUDAKernelTemplateIN3c108BFloat16EfLj64ELj8ELj64ELb0ELb0ELb0EEEvllPKT_S7_PKT0_SA_PS5_SB_,"axG",@progbits,_ZN2at6native12_GLOBAL__N_135GammaBetaBackwardCUDAKernelTemplateIN3c108BFloat16EfLj64ELj8ELj64ELb0ELb0ELb0EEEvllPKT_S7_PKT0_SA_PS5_SB_,comdat
.Lfunc_end101:
	.size	_ZN2at6native12_GLOBAL__N_135GammaBetaBackwardCUDAKernelTemplateIN3c108BFloat16EfLj64ELj8ELj64ELb0ELb0ELb0EEEvllPKT_S7_PKT0_SA_PS5_SB_, .Lfunc_end101-_ZN2at6native12_GLOBAL__N_135GammaBetaBackwardCUDAKernelTemplateIN3c108BFloat16EfLj64ELj8ELj64ELb0ELb0ELb0EEEvllPKT_S7_PKT0_SA_PS5_SB_
                                        ; -- End function
	.section	.AMDGPU.csdata,"",@progbits
; Kernel info:
; codeLenInByte = 7872
; NumSgprs: 48
; NumVgprs: 100
; NumAgprs: 0
; TotalNumVgprs: 100
; ScratchSize: 0
; MemoryBound: 0
; FloatMode: 240
; IeeeMode: 1
; LDSByteSize: 0 bytes/workgroup (compile time only)
; SGPRBlocks: 5
; VGPRBlocks: 12
; NumSGPRsForWavesPerEU: 48
; NumVGPRsForWavesPerEU: 100
; AccumOffset: 100
; Occupancy: 4
; WaveLimiterHint : 0
; COMPUTE_PGM_RSRC2:SCRATCH_EN: 0
; COMPUTE_PGM_RSRC2:USER_SGPR: 6
; COMPUTE_PGM_RSRC2:TRAP_HANDLER: 0
; COMPUTE_PGM_RSRC2:TGID_X_EN: 1
; COMPUTE_PGM_RSRC2:TGID_Y_EN: 1
; COMPUTE_PGM_RSRC2:TGID_Z_EN: 0
; COMPUTE_PGM_RSRC2:TIDIG_COMP_CNT: 1
; COMPUTE_PGM_RSRC3_GFX90A:ACCUM_OFFSET: 24
; COMPUTE_PGM_RSRC3_GFX90A:TG_SPLIT: 0
	.section	.text._ZN2at6native12_GLOBAL__N_135GammaBetaBackwardCUDAKernelTemplateIN3c108BFloat16EfLj64ELj16ELj128ELb0ELb1ELb0EEEvllPKT_S7_PKT0_SA_PS5_SB_,"axG",@progbits,_ZN2at6native12_GLOBAL__N_135GammaBetaBackwardCUDAKernelTemplateIN3c108BFloat16EfLj64ELj16ELj128ELb0ELb1ELb0EEEvllPKT_S7_PKT0_SA_PS5_SB_,comdat
	.globl	_ZN2at6native12_GLOBAL__N_135GammaBetaBackwardCUDAKernelTemplateIN3c108BFloat16EfLj64ELj16ELj128ELb0ELb1ELb0EEEvllPKT_S7_PKT0_SA_PS5_SB_ ; -- Begin function _ZN2at6native12_GLOBAL__N_135GammaBetaBackwardCUDAKernelTemplateIN3c108BFloat16EfLj64ELj16ELj128ELb0ELb1ELb0EEEvllPKT_S7_PKT0_SA_PS5_SB_
	.p2align	8
	.type	_ZN2at6native12_GLOBAL__N_135GammaBetaBackwardCUDAKernelTemplateIN3c108BFloat16EfLj64ELj16ELj128ELb0ELb1ELb0EEEvllPKT_S7_PKT0_SA_PS5_SB_,@function
_ZN2at6native12_GLOBAL__N_135GammaBetaBackwardCUDAKernelTemplateIN3c108BFloat16EfLj64ELj16ELj128ELb0ELb1ELb0EEEvllPKT_S7_PKT0_SA_PS5_SB_: ; @_ZN2at6native12_GLOBAL__N_135GammaBetaBackwardCUDAKernelTemplateIN3c108BFloat16EfLj64ELj16ELj128ELb0ELb1ELb0EEEvllPKT_S7_PKT0_SA_PS5_SB_
; %bb.0:
	s_load_dwordx4 s[20:23], s[4:5], 0x0
	s_lshl_b32 s2, s7, 7
	s_mov_b32 s3, 0
	v_bfe_u32 v12, v0, 10, 10
	s_waitcnt lgkmcnt(0)
	v_pk_mov_b32 v[2:3], s[20:21], s[20:21] op_sel:[0,1]
	v_cmp_lt_i64_e32 vcc, s[2:3], v[2:3]
	s_cbranch_vccnz .LBB102_2
; %bb.1:
	s_mov_b64 s[0:1], 0
	v_bfe_u32 v4, v0, 10, 10
	s_branch .LBB102_3
.LBB102_2:
	s_mov_b64 s[0:1], -1
                                        ; implicit-def: $vgpr4
.LBB102_3:
	s_load_dwordx4 s[16:19], s[4:5], 0x30
	v_and_b32_e32 v10, 0x3ff, v0
	s_andn2_b64 vcc, exec, s[0:1]
	v_mov_b32_e32 v1, s3
	v_mbcnt_lo_u32_b32 v11, -1, 0
	v_mov_b32_e32 v0, s3
	s_cbranch_vccnz .LBB102_11
; %bb.4:
	s_load_dword s0, s[4:5], 0x4c
	s_load_dword s7, s[4:5], 0x44
	s_load_dwordx8 s[8:15], s[4:5], 0x10
	v_mbcnt_hi_u32_b32 v4, -1, v11
	v_lshlrev_b32_e32 v2, 3, v12
	s_waitcnt lgkmcnt(0)
	s_and_b32 s0, s0, 0xffff
	v_lshlrev_b32_e32 v4, 2, v4
	v_mad_u32_u24 v0, v12, s0, v10
	v_and_b32_e32 v13, 0x100, v4
	v_mov_b32_e32 v4, s3
	v_add_co_u32_e32 v6, vcc, s2, v2
	v_and_b32_e32 v3, 63, v0
	v_addc_co_u32_e32 v7, vcc, 0, v4, vcc
	v_add_co_u32_e32 v2, vcc, v6, v3
	v_cmp_gt_u32_e64 s[0:1], 8, v3
	s_lshl_b32 s4, s7, 7
	v_addc_co_u32_e32 v3, vcc, 0, v7, vcc
	v_mul_lo_u32 v8, s23, v6
	v_mul_lo_u32 v9, s22, v7
	v_mad_u64_u32 v[6:7], s[26:27], s22, v6, 0
	v_mov_b32_e32 v1, 0
	v_lshl_add_u32 v0, s6, 6, v10
	v_add3_u32 v7, v7, v9, v8
	s_mul_i32 s7, s23, s4
	s_mul_hi_u32 s26, s22, s4
	s_mov_b32 s5, 0
	v_lshlrev_b64 v[6:7], 1, v[6:7]
	v_lshlrev_b64 v[8:9], 1, v[0:1]
	s_add_i32 s27, s26, s7
	s_mul_i32 s26, s22, s4
	s_lshl_b64 s[24:25], s[4:5], 2
	v_add_co_u32_e32 v6, vcc, v6, v8
	s_lshl_b64 s[26:27], s[26:27], 1
	s_lshl_b64 s[22:23], s[22:23], 1
	v_or_b32_e32 v14, 4, v13
	v_or_b32_e32 v15, 8, v13
	;; [unrolled: 1-line block ×7, first 2 shown]
	v_lshlrev_b64 v[4:5], 2, v[2:3]
	v_addc_co_u32_e32 v7, vcc, v7, v9, vcc
	v_mov_b32_e32 v21, s9
	v_mov_b32_e32 v22, s11
	;; [unrolled: 1-line block ×6, first 2 shown]
	v_pk_mov_b32 v[8:9], s[20:21], s[20:21] op_sel:[0,1]
	v_mov_b32_e32 v0, v1
	s_branch .LBB102_7
.LBB102_5:                              ;   in Loop: Header=BB102_7 Depth=1
	s_or_b64 exec, exec, s[30:31]
.LBB102_6:                              ;   in Loop: Header=BB102_7 Depth=1
	s_or_b64 exec, exec, s[28:29]
	v_add_co_u32_e32 v30, vcc, s8, v6
	v_addc_co_u32_e32 v31, vcc, v21, v7, vcc
	v_add_co_u32_e32 v32, vcc, s10, v6
	v_addc_co_u32_e32 v33, vcc, v22, v7, vcc
	global_load_ushort v29, v[30:31], off
	v_add_co_u32_e32 v30, vcc, s22, v30
	v_addc_co_u32_e32 v31, vcc, v31, v23, vcc
	global_load_ushort v34, v[32:33], off
	;; [unrolled: 3-line block ×13, first 2 shown]
	global_load_ushort v46, v[32:33], off
	v_add_co_u32_e32 v30, vcc, s22, v30
	v_addc_co_u32_e32 v31, vcc, v31, v23, vcc
	global_load_ushort v47, v[30:31], off
	v_add_co_u32_e32 v30, vcc, s22, v32
	v_addc_co_u32_e32 v31, vcc, v33, v23, vcc
	global_load_ushort v31, v[30:31], off
	v_add_co_u32_e32 v4, vcc, s24, v4
	v_addc_co_u32_e32 v5, vcc, v5, v24, vcc
	v_add_co_u32_e32 v2, vcc, s4, v2
	v_addc_co_u32_e32 v3, vcc, v3, v25, vcc
	s_waitcnt vmcnt(15)
	v_lshlrev_b32_e32 v30, 16, v29
	s_add_u32 s2, s2, s4
	v_add_co_u32_e32 v6, vcc, s26, v6
	s_addc_u32 s3, s3, 0
	s_waitcnt vmcnt(14)
	v_lshlrev_b32_e32 v29, 16, v34
	v_addc_co_u32_e32 v7, vcc, v7, v26, vcc
	v_cmp_lt_i64_e32 vcc, s[2:3], v[8:9]
	s_and_b64 vcc, exec, vcc
	s_waitcnt vmcnt(13)
	v_lshlrev_b32_e32 v32, 16, v35
	s_waitcnt vmcnt(12)
	v_lshlrev_b32_e32 v33, 16, v36
	;; [unrolled: 2-line block ×9, first 2 shown]
	ds_bpermute_b32 v43, v13, v28
	s_waitcnt vmcnt(4)
	v_lshlrev_b32_e32 v41, 16, v44
	s_waitcnt lgkmcnt(0)
	v_sub_f32_e32 v29, v29, v43
	ds_bpermute_b32 v43, v14, v28
	v_mul_f32_e32 v29, v29, v30
	s_waitcnt vmcnt(3)
	v_lshlrev_b32_e32 v42, 16, v45
	s_waitcnt vmcnt(2)
	v_lshlrev_b32_e32 v45, 16, v46
	ds_bpermute_b32 v46, v13, v27
	s_waitcnt lgkmcnt(1)
	v_sub_f32_e32 v33, v33, v43
	ds_bpermute_b32 v43, v15, v27
	v_mul_f32_e32 v33, v33, v32
	s_waitcnt vmcnt(1)
	v_lshlrev_b32_e32 v44, 16, v47
	s_waitcnt vmcnt(0)
	v_lshlrev_b32_e32 v47, 16, v31
	s_waitcnt lgkmcnt(1)
	v_mul_f32_e32 v31, v29, v46
	ds_bpermute_b32 v29, v14, v27
	ds_bpermute_b32 v46, v15, v28
	v_pk_add_f32 v[0:1], v[0:1], v[30:31]
	s_waitcnt lgkmcnt(1)
	v_mul_f32_e32 v33, v33, v29
	s_waitcnt lgkmcnt(0)
	v_sub_f32_e32 v29, v35, v46
	ds_bpermute_b32 v46, v16, v28
	v_mul_f32_e32 v29, v29, v34
	v_mul_f32_e32 v35, v29, v43
	ds_bpermute_b32 v29, v16, v27
	ds_bpermute_b32 v43, v17, v28
	s_waitcnt lgkmcnt(2)
	v_sub_f32_e32 v37, v37, v46
	ds_bpermute_b32 v46, v17, v27
	v_mul_f32_e32 v37, v37, v36
	s_waitcnt lgkmcnt(2)
	v_mul_f32_e32 v37, v37, v29
	s_waitcnt lgkmcnt(1)
	v_sub_f32_e32 v29, v39, v43
	ds_bpermute_b32 v43, v18, v28
	v_mul_f32_e32 v29, v29, v38
	s_waitcnt lgkmcnt(1)
	v_mul_f32_e32 v39, v29, v46
	ds_bpermute_b32 v29, v18, v27
	ds_bpermute_b32 v46, v19, v28
	;; [unrolled: 1-line block ×3, first 2 shown]
	s_waitcnt lgkmcnt(3)
	v_sub_f32_e32 v41, v41, v43
	ds_bpermute_b32 v43, v19, v27
	v_pk_add_f32 v[0:1], v[0:1], v[32:33]
	ds_bpermute_b32 v27, v20, v27
	v_mul_f32_e32 v41, v41, v40
	v_pk_add_f32 v[0:1], v[0:1], v[34:35]
	s_waitcnt lgkmcnt(4)
	v_mul_f32_e32 v41, v41, v29
	s_waitcnt lgkmcnt(3)
	v_sub_f32_e32 v29, v45, v46
	v_pk_add_f32 v[0:1], v[0:1], v[36:37]
	v_mul_f32_e32 v29, v29, v42
	v_pk_add_f32 v[0:1], v[0:1], v[38:39]
	s_waitcnt lgkmcnt(2)
	v_sub_f32_e32 v28, v47, v28
	s_waitcnt lgkmcnt(1)
	v_mul_f32_e32 v43, v29, v43
	v_pk_add_f32 v[0:1], v[0:1], v[40:41]
	v_mul_f32_e32 v28, v28, v44
	v_pk_add_f32 v[0:1], v[0:1], v[42:43]
	s_waitcnt lgkmcnt(0)
	v_mul_f32_e32 v45, v28, v27
	v_pk_add_f32 v[0:1], v[0:1], v[44:45]
	s_cbranch_vccz .LBB102_10
.LBB102_7:                              ; =>This Inner Loop Header: Depth=1
	v_mov_b32_e32 v27, 0
	v_mov_b32_e32 v28, 0
	s_and_saveexec_b64 s[28:29], s[0:1]
	s_cbranch_execz .LBB102_6
; %bb.8:                                ;   in Loop: Header=BB102_7 Depth=1
	v_cmp_gt_i64_e32 vcc, s[20:21], v[2:3]
	v_mov_b32_e32 v28, 0
	v_mov_b32_e32 v27, 0
	s_and_saveexec_b64 s[30:31], vcc
	s_cbranch_execz .LBB102_5
; %bb.9:                                ;   in Loop: Header=BB102_7 Depth=1
	v_mov_b32_e32 v27, s15
	v_add_co_u32_e32 v30, vcc, s14, v4
	v_addc_co_u32_e32 v31, vcc, v27, v5, vcc
	v_mov_b32_e32 v27, s13
	v_add_co_u32_e32 v32, vcc, s12, v4
	v_addc_co_u32_e32 v33, vcc, v27, v5, vcc
	global_load_dword v28, v[32:33], off
	global_load_dword v27, v[30:31], off
	s_branch .LBB102_5
.LBB102_10:
	v_mov_b32_e32 v4, v12
.LBB102_11:
	s_movk_i32 s0, 0x41
	v_mad_u32_u24 v2, v4, s0, v10
	v_lshl_add_u32 v2, v2, 2, 0
	v_lshrrev_b32_e32 v5, 6, v10
	ds_write_b32 v2, v1
	ds_write_b32 v2, v0 offset:4160
	v_add_u32_e32 v0, v5, v4
	s_mov_b32 s7, 0
	v_cmp_gt_u32_e32 vcc, 64, v0
	s_waitcnt lgkmcnt(0)
	s_barrier
	s_and_saveexec_b64 s[0:1], vcc
	s_cbranch_execz .LBB102_21
; %bb.12:
	v_and_b32_e32 v1, 63, v10
	v_cmp_gt_u32_e64 s[0:1], 16, v1
	v_mul_u32_u24_e32 v12, 0x41, v1
	v_mbcnt_hi_u32_b32 v1, -1, v11
	v_and_b32_e32 v2, 64, v1
	v_add_u32_e32 v2, 64, v2
	v_xor_b32_e32 v3, 8, v1
	v_cmp_lt_i32_e32 vcc, v3, v2
	v_cndmask_b32_e32 v3, v1, v3, vcc
	v_lshlrev_b32_e32 v6, 2, v3
	v_xor_b32_e32 v3, 4, v1
	v_cmp_lt_i32_e32 vcc, v3, v2
	v_cndmask_b32_e32 v3, v1, v3, vcc
	v_lshlrev_b32_e32 v7, 2, v3
	;; [unrolled: 4-line block ×3, first 2 shown]
	v_xor_b32_e32 v3, 1, v1
	s_lshl_b64 s[4:5], s[6:7], 6
	v_cmp_lt_i32_e32 vcc, v3, v2
	v_cmp_eq_u32_e64 s[2:3], 0, v10
	v_cndmask_b32_e32 v1, v1, v3, vcc
	v_add_u32_e32 v10, -16, v0
	v_or_b32_e32 v0, s4, v5
	v_lshlrev_b32_e32 v9, 2, v1
	v_mov_b32_e32 v1, s5
	v_add_co_u32_e32 v0, vcc, v0, v4
	v_addc_co_u32_e32 v1, vcc, 0, v1, vcc
	v_lshlrev_b64 v[2:3], 1, v[0:1]
	v_mov_b32_e32 v1, s19
	v_add_co_u32_e32 v0, vcc, s18, v2
	s_cmp_lg_u64 s[16:17], 0
	v_addc_co_u32_e32 v1, vcc, v1, v3, vcc
	s_cselect_b64 s[6:7], -1, 0
	s_cmp_lg_u64 s[18:19], 0
	v_mov_b32_e32 v11, s17
	v_add_co_u32_e32 v2, vcc, s16, v2
	v_add3_u32 v4, v12, v4, v5
	v_addc_co_u32_e32 v3, vcc, v11, v3, vcc
	v_lshl_add_u32 v11, v4, 2, 0
	v_cndmask_b32_e64 v4, 0, 1, s[6:7]
	s_cselect_b64 s[6:7], -1, 0
	v_cmp_ne_u32_e64 s[4:5], 1, v4
	v_cndmask_b32_e64 v4, 0, 1, s[6:7]
	s_mov_b64 s[8:9], 0
	s_movk_i32 s12, 0x7fff
	v_cmp_ne_u32_e64 s[6:7], 1, v4
	v_mov_b32_e32 v12, 0x7fc0
                                        ; implicit-def: $vgpr4
	s_branch .LBB102_14
.LBB102_13:                             ;   in Loop: Header=BB102_14 Depth=1
	s_or_b64 exec, exec, s[10:11]
	v_add_co_u32_e32 v0, vcc, 32, v0
	v_addc_co_u32_e32 v1, vcc, 0, v1, vcc
	v_add_co_u32_e32 v2, vcc, 32, v2
	v_add_u32_e32 v10, 16, v10
	v_addc_co_u32_e32 v3, vcc, 0, v3, vcc
	v_cmp_lt_u32_e32 vcc, 47, v10
	s_or_b64 s[8:9], vcc, s[8:9]
	v_add_u32_e32 v11, 64, v11
	s_andn2_b64 exec, exec, s[8:9]
	s_cbranch_execz .LBB102_21
.LBB102_14:                             ; =>This Inner Loop Header: Depth=1
	s_and_saveexec_b64 s[10:11], s[0:1]
	s_cbranch_execz .LBB102_16
; %bb.15:                               ;   in Loop: Header=BB102_14 Depth=1
	ds_read_b32 v5, v11
	ds_read_b32 v4, v11 offset:4160
.LBB102_16:                             ;   in Loop: Header=BB102_14 Depth=1
	s_or_b64 exec, exec, s[10:11]
	s_waitcnt lgkmcnt(1)
	ds_bpermute_b32 v15, v6, v5
	s_waitcnt lgkmcnt(1)
	ds_bpermute_b32 v14, v6, v4
	s_waitcnt lgkmcnt(0)
	v_pk_add_f32 v[4:5], v[4:5], v[14:15]
	ds_bpermute_b32 v15, v7, v5
	ds_bpermute_b32 v14, v7, v4
	s_waitcnt lgkmcnt(0)
	v_pk_add_f32 v[4:5], v[4:5], v[14:15]
	ds_bpermute_b32 v15, v8, v5
	;; [unrolled: 4-line block ×3, first 2 shown]
	ds_bpermute_b32 v14, v9, v4
	s_waitcnt lgkmcnt(0)
	v_pk_add_f32 v[4:5], v[4:5], v[14:15]
	s_and_saveexec_b64 s[10:11], s[2:3]
	s_cbranch_execz .LBB102_13
; %bb.17:                               ;   in Loop: Header=BB102_14 Depth=1
	s_and_b64 vcc, exec, s[4:5]
	s_cbranch_vccnz .LBB102_19
; %bb.18:                               ;   in Loop: Header=BB102_14 Depth=1
	v_bfe_u32 v13, v5, 16, 1
	v_add3_u32 v13, v5, v13, s12
	v_lshrrev_b32_e32 v13, 16, v13
	v_cmp_o_f32_e32 vcc, v5, v5
	v_cndmask_b32_e32 v13, v12, v13, vcc
	global_store_short v[2:3], v13, off
.LBB102_19:                             ;   in Loop: Header=BB102_14 Depth=1
	s_and_b64 vcc, exec, s[6:7]
	s_cbranch_vccnz .LBB102_13
; %bb.20:                               ;   in Loop: Header=BB102_14 Depth=1
	v_bfe_u32 v13, v4, 16, 1
	v_add3_u32 v13, v4, v13, s12
	v_lshrrev_b32_e32 v13, 16, v13
	v_cmp_o_f32_e32 vcc, v4, v4
	v_cndmask_b32_e32 v13, v12, v13, vcc
	global_store_short v[0:1], v13, off
	s_branch .LBB102_13
.LBB102_21:
	s_endpgm
	.section	.rodata,"a",@progbits
	.p2align	6, 0x0
	.amdhsa_kernel _ZN2at6native12_GLOBAL__N_135GammaBetaBackwardCUDAKernelTemplateIN3c108BFloat16EfLj64ELj16ELj128ELb0ELb1ELb0EEEvllPKT_S7_PKT0_SA_PS5_SB_
		.amdhsa_group_segment_fixed_size 0
		.amdhsa_private_segment_fixed_size 0
		.amdhsa_kernarg_size 320
		.amdhsa_user_sgpr_count 6
		.amdhsa_user_sgpr_private_segment_buffer 1
		.amdhsa_user_sgpr_dispatch_ptr 0
		.amdhsa_user_sgpr_queue_ptr 0
		.amdhsa_user_sgpr_kernarg_segment_ptr 1
		.amdhsa_user_sgpr_dispatch_id 0
		.amdhsa_user_sgpr_flat_scratch_init 0
		.amdhsa_user_sgpr_kernarg_preload_length 0
		.amdhsa_user_sgpr_kernarg_preload_offset 0
		.amdhsa_user_sgpr_private_segment_size 0
		.amdhsa_uses_dynamic_stack 0
		.amdhsa_system_sgpr_private_segment_wavefront_offset 0
		.amdhsa_system_sgpr_workgroup_id_x 1
		.amdhsa_system_sgpr_workgroup_id_y 1
		.amdhsa_system_sgpr_workgroup_id_z 0
		.amdhsa_system_sgpr_workgroup_info 0
		.amdhsa_system_vgpr_workitem_id 1
		.amdhsa_next_free_vgpr 48
		.amdhsa_next_free_sgpr 32
		.amdhsa_accum_offset 48
		.amdhsa_reserve_vcc 1
		.amdhsa_reserve_flat_scratch 0
		.amdhsa_float_round_mode_32 0
		.amdhsa_float_round_mode_16_64 0
		.amdhsa_float_denorm_mode_32 3
		.amdhsa_float_denorm_mode_16_64 3
		.amdhsa_dx10_clamp 1
		.amdhsa_ieee_mode 1
		.amdhsa_fp16_overflow 0
		.amdhsa_tg_split 0
		.amdhsa_exception_fp_ieee_invalid_op 0
		.amdhsa_exception_fp_denorm_src 0
		.amdhsa_exception_fp_ieee_div_zero 0
		.amdhsa_exception_fp_ieee_overflow 0
		.amdhsa_exception_fp_ieee_underflow 0
		.amdhsa_exception_fp_ieee_inexact 0
		.amdhsa_exception_int_div_zero 0
	.end_amdhsa_kernel
	.section	.text._ZN2at6native12_GLOBAL__N_135GammaBetaBackwardCUDAKernelTemplateIN3c108BFloat16EfLj64ELj16ELj128ELb0ELb1ELb0EEEvllPKT_S7_PKT0_SA_PS5_SB_,"axG",@progbits,_ZN2at6native12_GLOBAL__N_135GammaBetaBackwardCUDAKernelTemplateIN3c108BFloat16EfLj64ELj16ELj128ELb0ELb1ELb0EEEvllPKT_S7_PKT0_SA_PS5_SB_,comdat
.Lfunc_end102:
	.size	_ZN2at6native12_GLOBAL__N_135GammaBetaBackwardCUDAKernelTemplateIN3c108BFloat16EfLj64ELj16ELj128ELb0ELb1ELb0EEEvllPKT_S7_PKT0_SA_PS5_SB_, .Lfunc_end102-_ZN2at6native12_GLOBAL__N_135GammaBetaBackwardCUDAKernelTemplateIN3c108BFloat16EfLj64ELj16ELj128ELb0ELb1ELb0EEEvllPKT_S7_PKT0_SA_PS5_SB_
                                        ; -- End function
	.section	.AMDGPU.csdata,"",@progbits
; Kernel info:
; codeLenInByte = 1864
; NumSgprs: 36
; NumVgprs: 48
; NumAgprs: 0
; TotalNumVgprs: 48
; ScratchSize: 0
; MemoryBound: 0
; FloatMode: 240
; IeeeMode: 1
; LDSByteSize: 0 bytes/workgroup (compile time only)
; SGPRBlocks: 4
; VGPRBlocks: 5
; NumSGPRsForWavesPerEU: 36
; NumVGPRsForWavesPerEU: 48
; AccumOffset: 48
; Occupancy: 8
; WaveLimiterHint : 0
; COMPUTE_PGM_RSRC2:SCRATCH_EN: 0
; COMPUTE_PGM_RSRC2:USER_SGPR: 6
; COMPUTE_PGM_RSRC2:TRAP_HANDLER: 0
; COMPUTE_PGM_RSRC2:TGID_X_EN: 1
; COMPUTE_PGM_RSRC2:TGID_Y_EN: 1
; COMPUTE_PGM_RSRC2:TGID_Z_EN: 0
; COMPUTE_PGM_RSRC2:TIDIG_COMP_CNT: 1
; COMPUTE_PGM_RSRC3_GFX90A:ACCUM_OFFSET: 11
; COMPUTE_PGM_RSRC3_GFX90A:TG_SPLIT: 0
	.section	.text._ZN2at6native12_GLOBAL__N_135GammaBetaBackwardCUDAKernelTemplateIN3c108BFloat16EfLj64ELj16ELj128ELb0ELb0ELb0EEEvllPKT_S7_PKT0_SA_PS5_SB_,"axG",@progbits,_ZN2at6native12_GLOBAL__N_135GammaBetaBackwardCUDAKernelTemplateIN3c108BFloat16EfLj64ELj16ELj128ELb0ELb0ELb0EEEvllPKT_S7_PKT0_SA_PS5_SB_,comdat
	.globl	_ZN2at6native12_GLOBAL__N_135GammaBetaBackwardCUDAKernelTemplateIN3c108BFloat16EfLj64ELj16ELj128ELb0ELb0ELb0EEEvllPKT_S7_PKT0_SA_PS5_SB_ ; -- Begin function _ZN2at6native12_GLOBAL__N_135GammaBetaBackwardCUDAKernelTemplateIN3c108BFloat16EfLj64ELj16ELj128ELb0ELb0ELb0EEEvllPKT_S7_PKT0_SA_PS5_SB_
	.p2align	8
	.type	_ZN2at6native12_GLOBAL__N_135GammaBetaBackwardCUDAKernelTemplateIN3c108BFloat16EfLj64ELj16ELj128ELb0ELb0ELb0EEEvllPKT_S7_PKT0_SA_PS5_SB_,@function
_ZN2at6native12_GLOBAL__N_135GammaBetaBackwardCUDAKernelTemplateIN3c108BFloat16EfLj64ELj16ELj128ELb0ELb0ELb0EEEvllPKT_S7_PKT0_SA_PS5_SB_: ; @_ZN2at6native12_GLOBAL__N_135GammaBetaBackwardCUDAKernelTemplateIN3c108BFloat16EfLj64ELj16ELj128ELb0ELb0ELb0EEEvllPKT_S7_PKT0_SA_PS5_SB_
; %bb.0:
	s_load_dwordx8 s[12:19], s[4:5], 0x0
	s_load_dwordx4 s[28:31], s[4:5], 0x20
	s_lshl_b32 s33, s6, 6
	s_mov_b32 s20, 0
	s_or_b32 s0, s33, 63
	s_mov_b32 s1, s20
	s_waitcnt lgkmcnt(0)
	v_pk_mov_b32 v[2:3], s[14:15], s[14:15] op_sel:[0,1]
	v_cmp_ge_i64_e32 vcc, s[0:1], v[2:3]
	s_lshl_b32 s10, s7, 7
	s_mov_b32 s11, s20
	v_pk_mov_b32 v[2:3], s[12:13], s[12:13] op_sel:[0,1]
	v_cmp_lt_i64_e64 s[0:1], s[10:11], v[2:3]
	v_cndmask_b32_e64 v1, 0, 1, s[0:1]
	v_cmp_ne_u32_e64 s[0:1], 1, v1
	s_cbranch_vccz .LBB103_48
; %bb.1:
	v_mov_b32_e32 v27, 0
	s_and_b64 vcc, exec, s[0:1]
	v_mov_b32_e32 v26, v27
	s_cbranch_vccnz .LBB103_49
; %bb.2:
	v_and_b32_e32 v61, 0x3ff, v0
	v_bfe_u32 v63, v0, 10, 10
	v_add_u32_e32 v2, s33, v61
	v_mov_b32_e32 v3, 0
	v_lshlrev_b32_e32 v28, 3, v63
	v_cmp_gt_i64_e64 s[2:3], s[14:15], v[2:3]
	v_lshlrev_b64 v[30:31], 1, v[2:3]
	v_mov_b32_e32 v1, s11
	v_add_co_u32_e32 v2, vcc, s10, v28
	v_addc_co_u32_e32 v6, vcc, 0, v1, vcc
	v_add_co_u32_e32 v1, vcc, 7, v2
	v_addc_co_u32_e32 v4, vcc, 0, v6, vcc
	v_mul_lo_u32 v7, s15, v1
	v_mul_lo_u32 v8, s14, v4
	v_mad_u64_u32 v[4:5], s[8:9], s14, v1, 0
	s_load_dword s7, s[4:5], 0x44
	v_add3_u32 v5, v5, v8, v7
	v_lshlrev_b64 v[4:5], 1, v[4:5]
	v_mov_b32_e32 v7, s17
	v_add_co_u32_e32 v32, vcc, s16, v4
	v_addc_co_u32_e32 v1, vcc, v7, v5, vcc
	s_add_u32 s34, s4, 64
	v_mov_b32_e32 v8, s19
	v_add_co_u32_e32 v34, vcc, s18, v4
	s_addc_u32 s35, s5, 0
	s_waitcnt lgkmcnt(0)
	s_lshl_b32 s7, s7, 7
	v_addc_co_u32_e32 v29, vcc, v8, v5, vcc
	s_mul_i32 s8, s15, s7
	s_mul_hi_u32 s9, s14, s7
	v_add_co_u32_e32 v4, vcc, 6, v2
	s_add_i32 s9, s9, s8
	s_mul_i32 s8, s14, s7
	v_addc_co_u32_e32 v5, vcc, 0, v6, vcc
	s_lshl_b64 s[36:37], s[8:9], 1
	v_mul_lo_u32 v9, s15, v4
	v_mul_lo_u32 v10, s14, v5
	v_mad_u64_u32 v[4:5], s[8:9], s14, v4, 0
	v_add3_u32 v5, v5, v10, v9
	v_lshlrev_b64 v[4:5], 1, v[4:5]
	v_add_co_u32_e32 v36, vcc, s16, v4
	v_addc_co_u32_e32 v33, vcc, v7, v5, vcc
	v_add_co_u32_e32 v38, vcc, s18, v4
	v_addc_co_u32_e32 v35, vcc, v8, v5, vcc
	v_add_co_u32_e32 v4, vcc, 5, v2
	v_addc_co_u32_e32 v5, vcc, 0, v6, vcc
	v_mul_lo_u32 v9, s15, v4
	v_mul_lo_u32 v10, s14, v5
	v_mad_u64_u32 v[4:5], s[8:9], s14, v4, 0
	v_add3_u32 v5, v5, v10, v9
	v_lshlrev_b64 v[4:5], 1, v[4:5]
	v_add_co_u32_e32 v40, vcc, s16, v4
	v_addc_co_u32_e32 v37, vcc, v7, v5, vcc
	v_add_co_u32_e32 v42, vcc, s18, v4
	v_addc_co_u32_e32 v39, vcc, v8, v5, vcc
	v_add_co_u32_e32 v4, vcc, 4, v2
	v_addc_co_u32_e32 v5, vcc, 0, v6, vcc
	;; [unrolled: 11-line block ×4, first 2 shown]
	v_mul_lo_u32 v9, s15, v4
	v_mul_lo_u32 v10, s14, v5
	v_mad_u64_u32 v[4:5], s[8:9], s14, v4, 0
	v_add3_u32 v5, v5, v10, v9
	v_lshlrev_b64 v[4:5], 1, v[4:5]
	v_add_co_u32_e32 v52, vcc, s16, v4
	v_addc_co_u32_e32 v49, vcc, v7, v5, vcc
	v_add_co_u32_e32 v54, vcc, s18, v4
	v_addc_co_u32_e32 v51, vcc, v8, v5, vcc
	v_pk_mov_b32 v[4:5], s[14:15], s[14:15] op_sel:[0,1]
	v_mad_u64_u32 v[4:5], s[8:9], s14, v2, v[4:5]
	v_mul_lo_u32 v6, s14, v6
	v_mul_lo_u32 v9, s15, v2
	v_add3_u32 v5, v9, v5, v6
	v_lshlrev_b64 v[4:5], 1, v[4:5]
	v_add_co_u32_e32 v56, vcc, s16, v4
	v_addc_co_u32_e32 v53, vcc, v7, v5, vcc
	v_add_co_u32_e32 v58, vcc, s18, v4
	v_addc_co_u32_e32 v55, vcc, v8, v5, vcc
	v_mad_u64_u32 v[4:5], s[8:9], s14, v2, 0
	v_add3_u32 v5, v5, v6, v9
	v_lshlrev_b64 v[4:5], 1, v[4:5]
	v_add_co_u32_e32 v60, vcc, s16, v4
	v_mbcnt_lo_u32_b32 v2, -1, 0
	v_addc_co_u32_e32 v57, vcc, v7, v5, vcc
	v_mbcnt_hi_u32_b32 v2, -1, v2
	s_add_u32 s38, s10, 0x7f
	v_add_co_u32_e32 v62, vcc, s18, v4
	v_lshlrev_b32_e32 v2, 2, v2
	s_addc_u32 s39, 0, 0
	v_addc_co_u32_e32 v59, vcc, v8, v5, vcc
	v_and_b32_e32 v64, 0x100, v2
	s_mov_b64 s[40:41], s[10:11]
	v_mov_b32_e32 v26, v3
	v_mov_b32_e32 v27, v3
	s_branch .LBB103_5
.LBB103_3:                              ;   in Loop: Header=BB103_5 Depth=1
	s_or_b64 exec, exec, s[8:9]
	s_waitcnt vmcnt(1)
	ds_bpermute_b32 v2, v64, v68
	ds_bpermute_b32 v4, v64, v68 offset:4
	s_waitcnt vmcnt(0)
	ds_bpermute_b32 v5, v64, v67
	ds_bpermute_b32 v6, v64, v67 offset:4
	ds_bpermute_b32 v8, v64, v67 offset:12
	s_waitcnt lgkmcnt(4)
	v_sub_f32_e32 v2, v10, v2
	v_mul_f32_e32 v2, v18, v2
	s_waitcnt lgkmcnt(3)
	v_sub_f32_e32 v4, v11, v4
	s_waitcnt lgkmcnt(2)
	v_mul_f32_e32 v5, v2, v5
	ds_bpermute_b32 v2, v64, v68 offset:8
	v_mul_f32_e32 v4, v19, v4
	s_waitcnt lgkmcnt(2)
	v_mul_f32_e32 v7, v4, v6
	ds_bpermute_b32 v4, v64, v67 offset:8
	ds_bpermute_b32 v6, v64, v68 offset:12
	s_waitcnt lgkmcnt(2)
	v_sub_f32_e32 v2, v12, v2
	v_mul_f32_e32 v2, v20, v2
	v_mov_b32_e32 v10, v21
	s_waitcnt lgkmcnt(1)
	v_mul_f32_e32 v9, v2, v4
	s_waitcnt lgkmcnt(0)
	v_sub_f32_e32 v2, v13, v6
	ds_bpermute_b32 v4, v64, v68 offset:16
	v_mul_f32_e32 v2, v21, v2
	v_mul_f32_e32 v11, v2, v8
	ds_bpermute_b32 v2, v64, v67 offset:16
	ds_bpermute_b32 v6, v64, v68 offset:20
	;; [unrolled: 1-line block ×3, first 2 shown]
	s_waitcnt lgkmcnt(3)
	v_sub_f32_e32 v4, v14, v4
	v_mul_f32_e32 v4, v22, v4
	s_waitcnt lgkmcnt(2)
	v_mul_f32_e32 v13, v4, v2
	s_waitcnt lgkmcnt(1)
	v_sub_f32_e32 v2, v15, v6
	v_mul_f32_e32 v2, v23, v2
	s_waitcnt lgkmcnt(0)
	v_mul_f32_e32 v15, v2, v8
	v_mov_b32_e32 v4, v18
	ds_bpermute_b32 v2, v64, v68 offset:24
	v_pk_add_f32 v[4:5], v[26:27], v[4:5]
	v_mov_b32_e32 v6, v19
	v_pk_add_f32 v[4:5], v[6:7], v[4:5]
	ds_bpermute_b32 v7, v64, v67 offset:24
	v_mov_b32_e32 v8, v20
	v_pk_add_f32 v[4:5], v[8:9], v[4:5]
	v_pk_add_f32 v[4:5], v[10:11], v[4:5]
	v_mov_b32_e32 v12, v22
	s_waitcnt lgkmcnt(1)
	v_sub_f32_e32 v8, v16, v2
	v_pk_add_f32 v[4:5], v[12:13], v[4:5]
	v_mov_b32_e32 v14, v23
	v_mul_f32_e32 v8, v24, v8
	v_pk_add_f32 v[4:5], v[14:15], v[4:5]
	s_waitcnt lgkmcnt(0)
	v_mul_f32_e32 v9, v8, v7
	v_mov_b32_e32 v8, v24
	ds_bpermute_b32 v2, v64, v67 offset:28
	ds_bpermute_b32 v6, v64, v68 offset:28
	v_pk_add_f32 v[4:5], v[8:9], v[4:5]
.LBB103_4:                              ;   in Loop: Header=BB103_5 Depth=1
	s_waitcnt lgkmcnt(0)
	v_sub_f32_e32 v6, v17, v6
	v_mul_f32_e32 v6, v25, v6
	v_mul_f32_e32 v7, v6, v2
	v_mov_b32_e32 v2, s37
	v_add_co_u32_e32 v32, vcc, s36, v32
	v_addc_co_u32_e32 v1, vcc, v1, v2, vcc
	v_add_co_u32_e32 v34, vcc, s36, v34
	v_addc_co_u32_e32 v29, vcc, v29, v2, vcc
	;; [unrolled: 2-line block ×15, first 2 shown]
	v_mov_b32_e32 v6, v25
	s_add_u32 s40, s40, s7
	v_add_co_u32_e32 v62, vcc, s36, v62
	v_pk_add_f32 v[26:27], v[4:5], v[6:7]
	s_addc_u32 s41, s41, 0
	v_addc_co_u32_e32 v59, vcc, v59, v2, vcc
	v_pk_mov_b32 v[4:5], s[12:13], s[12:13] op_sel:[0,1]
	s_add_u32 s38, s38, s7
	v_cmp_lt_i64_e32 vcc, s[40:41], v[4:5]
	s_addc_u32 s39, s39, 0
	s_cbranch_vccz .LBB103_49
.LBB103_5:                              ; =>This Inner Loop Header: Depth=1
	v_pk_mov_b32 v[4:5], s[12:13], s[12:13] op_sel:[0,1]
	v_cmp_ge_i64_e32 vcc, s[38:39], v[4:5]
	v_mov_b32_e32 v2, s39
	v_add_co_u32_e64 v65, s[8:9], s38, v28
	v_addc_co_u32_e64 v66, s[8:9], 0, v2, s[8:9]
	s_cbranch_vccz .LBB103_27
; %bb.6:                                ;   in Loop: Header=BB103_5 Depth=1
	s_load_dword s8, s[34:35], 0xc
	v_mov_b32_e32 v67, 0
	v_mov_b32_e32 v68, 0
	s_waitcnt lgkmcnt(0)
	s_and_b32 s8, s8, 0xffff
	v_mad_u32_u24 v2, v63, s8, v61
	v_and_b32_e32 v2, 63, v2
	v_cmp_gt_u32_e32 vcc, 8, v2
	s_and_saveexec_b64 s[8:9], vcc
	s_cbranch_execz .LBB103_10
; %bb.7:                                ;   in Loop: Header=BB103_5 Depth=1
	v_add_co_u32_e32 v2, vcc, v65, v2
	v_addc_co_u32_e32 v5, vcc, 0, v66, vcc
	v_add_co_u32_e32 v4, vcc, 0xffffff81, v2
	v_addc_co_u32_e32 v5, vcc, -1, v5, vcc
	v_cmp_gt_i64_e32 vcc, s[12:13], v[4:5]
	v_mov_b32_e32 v68, 0
	v_mov_b32_e32 v67, 0
	s_and_saveexec_b64 s[22:23], vcc
	s_cbranch_execz .LBB103_9
; %bb.8:                                ;   in Loop: Header=BB103_5 Depth=1
	v_lshlrev_b64 v[4:5], 2, v[4:5]
	v_mov_b32_e32 v2, s31
	v_add_co_u32_e32 v6, vcc, s30, v4
	v_addc_co_u32_e32 v7, vcc, v2, v5, vcc
	v_mov_b32_e32 v2, s29
	v_add_co_u32_e32 v4, vcc, s28, v4
	v_addc_co_u32_e32 v5, vcc, v2, v5, vcc
	global_load_dword v68, v[4:5], off
	global_load_dword v67, v[6:7], off
.LBB103_9:                              ;   in Loop: Header=BB103_5 Depth=1
	s_or_b64 exec, exec, s[22:23]
.LBB103_10:                             ;   in Loop: Header=BB103_5 Depth=1
	s_or_b64 exec, exec, s[8:9]
	s_mov_b32 s21, s20
	v_add_co_u32_e32 v4, vcc, 0xffffff81, v65
	s_mov_b32 s22, s20
	s_mov_b32 s23, s20
	;; [unrolled: 1-line block ×6, first 2 shown]
	v_pk_mov_b32 v[10:11], s[20:21], s[20:21] op_sel:[0,1]
	v_addc_co_u32_e32 v5, vcc, -1, v66, vcc
	v_pk_mov_b32 v[16:17], s[26:27], s[26:27] op_sel:[0,1]
	v_cmp_gt_i64_e32 vcc, s[12:13], v[4:5]
	v_pk_mov_b32 v[12:13], s[22:23], s[22:23] op_sel:[0,1]
	v_pk_mov_b32 v[14:15], s[24:25], s[24:25] op_sel:[0,1]
	;; [unrolled: 1-line block ×3, first 2 shown]
	s_and_b64 s[42:43], s[2:3], vcc
	v_pk_mov_b32 v[22:23], v[14:15], v[14:15] op_sel:[0,1]
	v_pk_mov_b32 v[20:21], v[12:13], v[12:13] op_sel:[0,1]
	v_pk_mov_b32 v[18:19], v[10:11], v[10:11] op_sel:[0,1]
	s_and_saveexec_b64 s[8:9], s[42:43]
	s_cbranch_execz .LBB103_12
; %bb.11:                               ;   in Loop: Header=BB103_5 Depth=1
	v_add_co_u32_e32 v4, vcc, v60, v30
	v_addc_co_u32_e32 v5, vcc, v57, v31, vcc
	global_load_ushort v2, v[4:5], off
	v_add_co_u32_e32 v4, vcc, v62, v30
	v_addc_co_u32_e32 v5, vcc, v59, v31, vcc
	global_load_ushort v10, v[4:5], off
	v_mov_b32_e32 v8, v3
	v_mov_b32_e32 v9, v3
	;; [unrolled: 1-line block ×13, first 2 shown]
	s_waitcnt vmcnt(1)
	v_lshlrev_b32_e32 v2, 16, v2
	v_pk_mov_b32 v[24:25], v[8:9], v[8:9] op_sel:[0,1]
	v_pk_mov_b32 v[22:23], v[6:7], v[6:7] op_sel:[0,1]
	;; [unrolled: 1-line block ×4, first 2 shown]
	s_waitcnt vmcnt(0)
	v_lshlrev_b32_e32 v10, 16, v10
.LBB103_12:                             ;   in Loop: Header=BB103_5 Depth=1
	s_or_b64 exec, exec, s[8:9]
	v_add_co_u32_e32 v4, vcc, 0xffffff82, v65
	v_addc_co_u32_e32 v5, vcc, -1, v66, vcc
	v_cmp_gt_i64_e32 vcc, s[12:13], v[4:5]
	s_and_b64 s[22:23], s[2:3], vcc
	s_and_saveexec_b64 s[8:9], s[22:23]
	s_cbranch_execz .LBB103_14
; %bb.13:                               ;   in Loop: Header=BB103_5 Depth=1
	v_add_co_u32_e32 v4, vcc, v56, v30
	v_addc_co_u32_e32 v5, vcc, v53, v31, vcc
	global_load_ushort v2, v[4:5], off
	v_add_co_u32_e32 v4, vcc, v58, v30
	v_addc_co_u32_e32 v5, vcc, v55, v31, vcc
	global_load_ushort v4, v[4:5], off
	s_waitcnt vmcnt(1)
	v_lshlrev_b32_e32 v19, 16, v2
	s_waitcnt vmcnt(0)
	v_lshlrev_b32_e32 v11, 16, v4
.LBB103_14:                             ;   in Loop: Header=BB103_5 Depth=1
	s_or_b64 exec, exec, s[8:9]
	v_add_co_u32_e32 v4, vcc, 0xffffff83, v65
	v_addc_co_u32_e32 v5, vcc, -1, v66, vcc
	v_cmp_gt_i64_e32 vcc, s[12:13], v[4:5]
	s_and_b64 s[22:23], s[2:3], vcc
	s_and_saveexec_b64 s[8:9], s[22:23]
	s_cbranch_execz .LBB103_16
; %bb.15:                               ;   in Loop: Header=BB103_5 Depth=1
	v_add_co_u32_e32 v4, vcc, v52, v30
	v_addc_co_u32_e32 v5, vcc, v49, v31, vcc
	global_load_ushort v2, v[4:5], off
	v_add_co_u32_e32 v4, vcc, v54, v30
	v_addc_co_u32_e32 v5, vcc, v51, v31, vcc
	global_load_ushort v4, v[4:5], off
	s_waitcnt vmcnt(1)
	v_lshlrev_b32_e32 v20, 16, v2
	s_waitcnt vmcnt(0)
	v_lshlrev_b32_e32 v12, 16, v4
.LBB103_16:                             ;   in Loop: Header=BB103_5 Depth=1
	;; [unrolled: 19-line block ×7, first 2 shown]
	s_or_b64 exec, exec, s[8:9]
	s_waitcnt vmcnt(1)
	ds_bpermute_b32 v2, v64, v68
	ds_bpermute_b32 v4, v64, v68 offset:4
	s_waitcnt vmcnt(0)
	ds_bpermute_b32 v5, v64, v67
	ds_bpermute_b32 v6, v64, v67 offset:4
	ds_bpermute_b32 v8, v64, v67 offset:12
	s_waitcnt lgkmcnt(4)
	v_sub_f32_e32 v2, v10, v2
	v_mul_f32_e32 v2, v18, v2
	s_waitcnt lgkmcnt(3)
	v_sub_f32_e32 v4, v11, v4
	s_waitcnt lgkmcnt(2)
	v_mul_f32_e32 v5, v2, v5
	ds_bpermute_b32 v2, v64, v68 offset:8
	v_mul_f32_e32 v4, v19, v4
	s_waitcnt lgkmcnt(2)
	v_mul_f32_e32 v7, v4, v6
	ds_bpermute_b32 v4, v64, v67 offset:8
	ds_bpermute_b32 v6, v64, v68 offset:12
	s_waitcnt lgkmcnt(2)
	v_sub_f32_e32 v2, v12, v2
	v_mul_f32_e32 v2, v20, v2
	v_mov_b32_e32 v10, v21
	s_waitcnt lgkmcnt(1)
	v_mul_f32_e32 v9, v2, v4
	s_waitcnt lgkmcnt(0)
	v_sub_f32_e32 v2, v13, v6
	ds_bpermute_b32 v4, v64, v68 offset:16
	v_mul_f32_e32 v2, v21, v2
	v_mul_f32_e32 v11, v2, v8
	ds_bpermute_b32 v2, v64, v67 offset:16
	ds_bpermute_b32 v6, v64, v68 offset:20
	;; [unrolled: 1-line block ×3, first 2 shown]
	s_waitcnt lgkmcnt(3)
	v_sub_f32_e32 v4, v14, v4
	v_mul_f32_e32 v4, v22, v4
	s_waitcnt lgkmcnt(2)
	v_mul_f32_e32 v13, v4, v2
	s_waitcnt lgkmcnt(1)
	v_sub_f32_e32 v2, v15, v6
	v_mul_f32_e32 v2, v23, v2
	s_waitcnt lgkmcnt(0)
	v_mul_f32_e32 v15, v2, v8
	ds_bpermute_b32 v2, v64, v68 offset:24
	v_mov_b32_e32 v4, v18
	v_pk_add_f32 v[4:5], v[26:27], v[4:5]
	v_mov_b32_e32 v6, v19
	v_pk_add_f32 v[4:5], v[6:7], v[4:5]
	ds_bpermute_b32 v7, v64, v67 offset:24
	v_mov_b32_e32 v8, v20
	s_waitcnt lgkmcnt(1)
	v_sub_f32_e32 v2, v16, v2
	v_pk_add_f32 v[4:5], v[8:9], v[4:5]
	v_mul_f32_e32 v8, v24, v2
	ds_bpermute_b32 v2, v64, v67 offset:28
	ds_bpermute_b32 v6, v64, v68 offset:28
	v_pk_add_f32 v[4:5], v[10:11], v[4:5]
	v_mov_b32_e32 v12, v22
	v_pk_add_f32 v[4:5], v[12:13], v[4:5]
	v_mov_b32_e32 v14, v23
	v_pk_add_f32 v[4:5], v[14:15], v[4:5]
	s_waitcnt lgkmcnt(2)
	v_mul_f32_e32 v9, v8, v7
	v_mov_b32_e32 v8, v24
	v_pk_add_f32 v[4:5], v[8:9], v[4:5]
	s_branch .LBB103_4
.LBB103_27:                             ;   in Loop: Header=BB103_5 Depth=1
                                        ; implicit-def: $vgpr4_vgpr5
                                        ; implicit-def: $vgpr2
                                        ; implicit-def: $vgpr10_vgpr11_vgpr12_vgpr13_vgpr14_vgpr15_vgpr16_vgpr17
                                        ; implicit-def: $vgpr18_vgpr19_vgpr20_vgpr21_vgpr22_vgpr23_vgpr24_vgpr25
                                        ; implicit-def: $vgpr6
	s_cbranch_execz .LBB103_4
; %bb.28:                               ;   in Loop: Header=BB103_5 Depth=1
	s_load_dword s8, s[34:35], 0x0
	v_mov_b32_e32 v67, 0
	v_mov_b32_e32 v68, 0
	s_waitcnt lgkmcnt(0)
	s_cmp_lt_u32 s6, s8
	s_cselect_b32 s8, 12, 18
	s_add_u32 s8, s34, s8
	s_addc_u32 s9, s35, 0
	global_load_ushort v2, v3, s[8:9]
	s_waitcnt vmcnt(0)
	v_mad_u32_u24 v2, v63, v2, v61
	v_and_b32_e32 v2, 63, v2
	v_cmp_gt_u32_e32 vcc, 8, v2
	s_and_saveexec_b64 s[8:9], vcc
	s_cbranch_execz .LBB103_32
; %bb.29:                               ;   in Loop: Header=BB103_5 Depth=1
	v_add_co_u32_e32 v2, vcc, v65, v2
	v_addc_co_u32_e32 v5, vcc, 0, v66, vcc
	v_add_co_u32_e32 v4, vcc, 0xffffff81, v2
	v_addc_co_u32_e32 v5, vcc, -1, v5, vcc
	v_cmp_gt_i64_e32 vcc, s[12:13], v[4:5]
	v_mov_b32_e32 v68, 0
	v_mov_b32_e32 v67, 0
	s_and_saveexec_b64 s[22:23], vcc
	s_cbranch_execz .LBB103_31
; %bb.30:                               ;   in Loop: Header=BB103_5 Depth=1
	v_lshlrev_b64 v[4:5], 2, v[4:5]
	v_mov_b32_e32 v2, s31
	v_add_co_u32_e32 v6, vcc, s30, v4
	v_addc_co_u32_e32 v7, vcc, v2, v5, vcc
	v_mov_b32_e32 v2, s29
	v_add_co_u32_e32 v4, vcc, s28, v4
	v_addc_co_u32_e32 v5, vcc, v2, v5, vcc
	global_load_dword v68, v[4:5], off
	global_load_dword v67, v[6:7], off
.LBB103_31:                             ;   in Loop: Header=BB103_5 Depth=1
	s_or_b64 exec, exec, s[22:23]
.LBB103_32:                             ;   in Loop: Header=BB103_5 Depth=1
	s_or_b64 exec, exec, s[8:9]
	s_mov_b32 s21, s20
	s_mov_b32 s22, s20
	;; [unrolled: 1-line block ×7, first 2 shown]
	v_pk_mov_b32 v[10:11], s[20:21], s[20:21] op_sel:[0,1]
	v_pk_mov_b32 v[16:17], s[26:27], s[26:27] op_sel:[0,1]
	;; [unrolled: 1-line block ×8, first 2 shown]
	s_and_saveexec_b64 s[8:9], s[2:3]
	s_cbranch_execnz .LBB103_40
; %bb.33:                               ;   in Loop: Header=BB103_5 Depth=1
	s_or_b64 exec, exec, s[8:9]
	s_and_saveexec_b64 s[8:9], s[2:3]
	s_cbranch_execnz .LBB103_41
.LBB103_34:                             ;   in Loop: Header=BB103_5 Depth=1
	s_or_b64 exec, exec, s[8:9]
	s_and_saveexec_b64 s[8:9], s[2:3]
	s_cbranch_execnz .LBB103_42
.LBB103_35:                             ;   in Loop: Header=BB103_5 Depth=1
	s_or_b64 exec, exec, s[8:9]
	s_and_saveexec_b64 s[8:9], s[2:3]
	s_cbranch_execnz .LBB103_43
.LBB103_36:                             ;   in Loop: Header=BB103_5 Depth=1
	s_or_b64 exec, exec, s[8:9]
	s_and_saveexec_b64 s[8:9], s[2:3]
	s_cbranch_execnz .LBB103_44
.LBB103_37:                             ;   in Loop: Header=BB103_5 Depth=1
	s_or_b64 exec, exec, s[8:9]
	s_and_saveexec_b64 s[8:9], s[2:3]
	s_cbranch_execnz .LBB103_45
.LBB103_38:                             ;   in Loop: Header=BB103_5 Depth=1
	s_or_b64 exec, exec, s[8:9]
	s_and_saveexec_b64 s[8:9], s[2:3]
	s_cbranch_execnz .LBB103_46
.LBB103_39:                             ;   in Loop: Header=BB103_5 Depth=1
	s_or_b64 exec, exec, s[8:9]
	s_and_saveexec_b64 s[8:9], s[2:3]
	s_cbranch_execz .LBB103_3
	s_branch .LBB103_47
.LBB103_40:                             ;   in Loop: Header=BB103_5 Depth=1
	v_add_co_u32_e32 v4, vcc, v60, v30
	v_addc_co_u32_e32 v5, vcc, v57, v31, vcc
	global_load_ushort v2, v[4:5], off
	v_add_co_u32_e32 v4, vcc, v62, v30
	v_addc_co_u32_e32 v5, vcc, v59, v31, vcc
	global_load_ushort v10, v[4:5], off
	v_mov_b32_e32 v8, v3
	v_mov_b32_e32 v9, v3
	;; [unrolled: 1-line block ×13, first 2 shown]
	s_waitcnt vmcnt(1)
	v_lshlrev_b32_e32 v2, 16, v2
	v_pk_mov_b32 v[24:25], v[8:9], v[8:9] op_sel:[0,1]
	v_pk_mov_b32 v[22:23], v[6:7], v[6:7] op_sel:[0,1]
	;; [unrolled: 1-line block ×4, first 2 shown]
	s_waitcnt vmcnt(0)
	v_lshlrev_b32_e32 v10, 16, v10
	s_or_b64 exec, exec, s[8:9]
	s_and_saveexec_b64 s[8:9], s[2:3]
	s_cbranch_execz .LBB103_34
.LBB103_41:                             ;   in Loop: Header=BB103_5 Depth=1
	v_add_co_u32_e32 v4, vcc, v56, v30
	v_addc_co_u32_e32 v5, vcc, v53, v31, vcc
	global_load_ushort v2, v[4:5], off
	v_add_co_u32_e32 v4, vcc, v58, v30
	v_addc_co_u32_e32 v5, vcc, v55, v31, vcc
	global_load_ushort v4, v[4:5], off
	s_waitcnt vmcnt(1)
	v_lshlrev_b32_e32 v19, 16, v2
	s_waitcnt vmcnt(0)
	v_lshlrev_b32_e32 v11, 16, v4
	s_or_b64 exec, exec, s[8:9]
	s_and_saveexec_b64 s[8:9], s[2:3]
	s_cbranch_execz .LBB103_35
.LBB103_42:                             ;   in Loop: Header=BB103_5 Depth=1
	v_add_co_u32_e32 v4, vcc, v52, v30
	v_addc_co_u32_e32 v5, vcc, v49, v31, vcc
	global_load_ushort v2, v[4:5], off
	v_add_co_u32_e32 v4, vcc, v54, v30
	v_addc_co_u32_e32 v5, vcc, v51, v31, vcc
	global_load_ushort v4, v[4:5], off
	s_waitcnt vmcnt(1)
	v_lshlrev_b32_e32 v20, 16, v2
	s_waitcnt vmcnt(0)
	v_lshlrev_b32_e32 v12, 16, v4
	s_or_b64 exec, exec, s[8:9]
	s_and_saveexec_b64 s[8:9], s[2:3]
	s_cbranch_execz .LBB103_36
.LBB103_43:                             ;   in Loop: Header=BB103_5 Depth=1
	v_add_co_u32_e32 v4, vcc, v48, v30
	v_addc_co_u32_e32 v5, vcc, v45, v31, vcc
	global_load_ushort v2, v[4:5], off
	v_add_co_u32_e32 v4, vcc, v50, v30
	v_addc_co_u32_e32 v5, vcc, v47, v31, vcc
	global_load_ushort v4, v[4:5], off
	s_waitcnt vmcnt(1)
	v_lshlrev_b32_e32 v21, 16, v2
	s_waitcnt vmcnt(0)
	v_lshlrev_b32_e32 v13, 16, v4
	s_or_b64 exec, exec, s[8:9]
	s_and_saveexec_b64 s[8:9], s[2:3]
	s_cbranch_execz .LBB103_37
.LBB103_44:                             ;   in Loop: Header=BB103_5 Depth=1
	v_add_co_u32_e32 v4, vcc, v44, v30
	v_addc_co_u32_e32 v5, vcc, v41, v31, vcc
	global_load_ushort v2, v[4:5], off
	v_add_co_u32_e32 v4, vcc, v46, v30
	v_addc_co_u32_e32 v5, vcc, v43, v31, vcc
	global_load_ushort v4, v[4:5], off
	s_waitcnt vmcnt(1)
	v_lshlrev_b32_e32 v22, 16, v2
	s_waitcnt vmcnt(0)
	v_lshlrev_b32_e32 v14, 16, v4
	s_or_b64 exec, exec, s[8:9]
	s_and_saveexec_b64 s[8:9], s[2:3]
	s_cbranch_execz .LBB103_38
.LBB103_45:                             ;   in Loop: Header=BB103_5 Depth=1
	v_add_co_u32_e32 v4, vcc, v40, v30
	v_addc_co_u32_e32 v5, vcc, v37, v31, vcc
	global_load_ushort v2, v[4:5], off
	v_add_co_u32_e32 v4, vcc, v42, v30
	v_addc_co_u32_e32 v5, vcc, v39, v31, vcc
	global_load_ushort v4, v[4:5], off
	s_waitcnt vmcnt(1)
	v_lshlrev_b32_e32 v23, 16, v2
	s_waitcnt vmcnt(0)
	v_lshlrev_b32_e32 v15, 16, v4
	s_or_b64 exec, exec, s[8:9]
	s_and_saveexec_b64 s[8:9], s[2:3]
	s_cbranch_execz .LBB103_39
.LBB103_46:                             ;   in Loop: Header=BB103_5 Depth=1
	v_add_co_u32_e32 v4, vcc, v36, v30
	v_addc_co_u32_e32 v5, vcc, v33, v31, vcc
	global_load_ushort v2, v[4:5], off
	v_add_co_u32_e32 v4, vcc, v38, v30
	v_addc_co_u32_e32 v5, vcc, v35, v31, vcc
	global_load_ushort v4, v[4:5], off
	s_waitcnt vmcnt(1)
	v_lshlrev_b32_e32 v24, 16, v2
	s_waitcnt vmcnt(0)
	v_lshlrev_b32_e32 v16, 16, v4
	s_or_b64 exec, exec, s[8:9]
	s_and_saveexec_b64 s[8:9], s[2:3]
	s_cbranch_execz .LBB103_3
.LBB103_47:                             ;   in Loop: Header=BB103_5 Depth=1
	v_add_co_u32_e32 v4, vcc, v32, v30
	v_addc_co_u32_e32 v5, vcc, v1, v31, vcc
	global_load_ushort v2, v[4:5], off
	v_add_co_u32_e32 v4, vcc, v34, v30
	v_addc_co_u32_e32 v5, vcc, v29, v31, vcc
	global_load_ushort v4, v[4:5], off
	s_waitcnt vmcnt(1)
	v_lshlrev_b32_e32 v25, 16, v2
	s_waitcnt vmcnt(0)
	v_lshlrev_b32_e32 v17, 16, v4
	s_branch .LBB103_3
.LBB103_48:
                                        ; implicit-def: $vgpr27
	s_branch .LBB103_50
.LBB103_49:
	s_cbranch_execnz .LBB103_81
.LBB103_50:
	v_mov_b32_e32 v27, 0
	s_mov_b32 s20, 0
	s_and_b64 vcc, exec, s[0:1]
	v_mov_b32_e32 v26, v27
	s_cbranch_vccnz .LBB103_81
; %bb.51:
	s_load_dword s0, s[4:5], 0x44
	s_add_u32 s2, s4, 64
	s_addc_u32 s3, s5, 0
	v_bfe_u32 v87, v0, 10, 10
	v_lshlrev_b32_e32 v1, 4, v87
	s_waitcnt lgkmcnt(0)
	s_lshl_b32 s7, s0, 7
	s_add_u32 s8, s10, 0x7f
	s_addc_u32 s9, 0, 0
	s_lshl_b64 s[0:1], s[10:11], 1
	v_mov_b32_e32 v2, s1
	v_add_co_u32_e32 v1, vcc, s0, v1
	v_addc_co_u32_e32 v4, vcc, 0, v2, vcc
	v_add_co_u32_e32 v6, vcc, 2, v1
	v_addc_co_u32_e32 v5, vcc, 0, v4, vcc
	v_add_co_u32_e32 v9, vcc, 4, v1
	v_mul_lo_u32 v7, s14, v5
	v_addc_co_u32_e32 v5, vcc, 0, v4, vcc
	v_add_co_u32_e32 v12, vcc, 6, v1
	v_mul_lo_u32 v10, s14, v5
	;; [unrolled: 3-line block ×5, first 2 shown]
	v_addc_co_u32_e32 v5, vcc, 0, v4, vcc
	v_add_co_u32_e32 v24, vcc, 14, v1
	v_lshlrev_b32_e32 v28, 3, v87
	v_addc_co_u32_e32 v1, vcc, 0, v4, vcc
	v_mul_lo_u32 v25, s14, v1
	v_mov_b32_e32 v1, s11
	v_add_co_u32_e32 v27, vcc, s10, v28
	v_pk_mov_b32 v[2:3], s[16:17], s[16:17] op_sel:[0,1]
	v_addc_co_u32_e32 v45, vcc, 0, v1, vcc
	v_mad_u64_u32 v[30:31], s[0:1], s14, v6, v[2:3]
	v_mad_u64_u32 v[32:33], s[0:1], s14, v9, v[2:3]
	v_mad_u64_u32 v[34:35], s[0:1], s14, v12, v[2:3]
	v_mad_u64_u32 v[36:37], s[0:1], s14, v15, v[2:3]
	v_mad_u64_u32 v[38:39], s[0:1], s14, v18, v[2:3]
	v_mad_u64_u32 v[40:41], s[0:1], s14, v21, v[2:3]
	v_mad_u64_u32 v[42:43], s[0:1], s14, v24, v[2:3]
	v_mul_lo_u32 v61, s15, v27
	v_mul_lo_u32 v62, s14, v45
	v_mad_u64_u32 v[2:3], s[0:1], s14, v27, 0
	v_add3_u32 v3, v3, v62, v61
	v_lshlrev_b64 v[2:3], 1, v[2:3]
	v_mul_lo_u32 v22, s14, v5
	v_mov_b32_e32 v83, s17
	v_add_co_u32_e32 v44, vcc, s16, v2
	v_pk_mov_b32 v[4:5], s[18:19], s[18:19] op_sel:[0,1]
	v_mul_lo_u32 v17, s15, v15
	v_addc_co_u32_e32 v1, vcc, v83, v3, vcc
	v_mad_u64_u32 v[52:53], s[0:1], s14, v15, v[4:5]
	v_add3_u32 v37, v17, v37, v16
	v_add3_u32 v53, v17, v53, v16
	v_mov_b32_e32 v16, s19
	v_add_co_u32_e32 v60, vcc, s18, v2
	v_addc_co_u32_e32 v29, vcc, v16, v3, vcc
	v_add_co_u32_e32 v2, vcc, 7, v27
	v_addc_co_u32_e32 v3, vcc, 0, v45, vcc
	v_mad_u64_u32 v[46:47], s[0:1], s14, v6, v[4:5]
	v_mad_u64_u32 v[48:49], s[0:1], s14, v9, v[4:5]
	;; [unrolled: 1-line block ×6, first 2 shown]
	v_mul_lo_u32 v4, s15, v2
	v_mul_lo_u32 v5, s14, v3
	v_mad_u64_u32 v[2:3], s[0:1], s14, v2, 0
	v_add3_u32 v3, v3, v5, v4
	v_add_co_u32_e32 v4, vcc, 6, v27
	v_mul_lo_u32 v8, s15, v6
	v_addc_co_u32_e32 v5, vcc, 0, v45, vcc
	v_add3_u32 v31, v8, v31, v7
	v_add3_u32 v47, v8, v47, v7
	v_mul_lo_u32 v6, s15, v4
	v_mul_lo_u32 v7, s14, v5
	v_mad_u64_u32 v[4:5], s[0:1], s14, v4, 0
	v_add3_u32 v5, v5, v7, v6
	v_add_co_u32_e32 v6, vcc, 5, v27
	v_addc_co_u32_e32 v7, vcc, 0, v45, vcc
	v_mul_lo_u32 v11, s15, v9
	v_mul_lo_u32 v8, s15, v6
	;; [unrolled: 1-line block ×3, first 2 shown]
	v_mad_u64_u32 v[6:7], s[0:1], s14, v6, 0
	v_add3_u32 v7, v7, v9, v8
	v_add_co_u32_e32 v8, vcc, 4, v27
	v_addc_co_u32_e32 v9, vcc, 0, v45, vcc
	v_add3_u32 v33, v11, v33, v10
	v_add3_u32 v49, v11, v49, v10
	v_mul_lo_u32 v10, s15, v8
	v_mul_lo_u32 v11, s14, v9
	v_mad_u64_u32 v[8:9], s[0:1], s14, v8, 0
	v_add3_u32 v9, v9, v11, v10
	v_add_co_u32_e32 v10, vcc, 3, v27
	v_mul_lo_u32 v14, s15, v12
	v_addc_co_u32_e32 v11, vcc, 0, v45, vcc
	v_add3_u32 v35, v14, v35, v13
	v_add3_u32 v51, v14, v51, v13
	v_mul_lo_u32 v12, s15, v10
	v_mul_lo_u32 v13, s14, v11
	v_mad_u64_u32 v[10:11], s[0:1], s14, v10, 0
	v_add3_u32 v11, v11, v13, v12
	v_add_co_u32_e32 v12, vcc, 2, v27
	v_addc_co_u32_e32 v13, vcc, 0, v45, vcc
	v_mul_lo_u32 v14, s15, v12
	v_mul_lo_u32 v15, s14, v13
	v_mad_u64_u32 v[12:13], s[0:1], s14, v12, 0
	v_add3_u32 v13, v13, v15, v14
	v_pk_mov_b32 v[14:15], s[14:15], s[14:15] op_sel:[0,1]
	v_lshlrev_b64 v[2:3], 1, v[2:3]
	v_mad_u64_u32 v[14:15], s[0:1], s14, v27, v[14:15]
	v_add3_u32 v15, v61, v15, v62
	v_add_co_u32_e32 v62, vcc, s16, v2
	v_addc_co_u32_e32 v45, vcc, v83, v3, vcc
	v_add_co_u32_e32 v64, vcc, s18, v2
	v_addc_co_u32_e32 v61, vcc, v16, v3, vcc
	v_lshlrev_b64 v[2:3], 1, v[4:5]
	v_add_co_u32_e32 v66, vcc, s16, v2
	v_addc_co_u32_e32 v63, vcc, v83, v3, vcc
	v_add_co_u32_e32 v68, vcc, s18, v2
	v_addc_co_u32_e32 v65, vcc, v16, v3, vcc
	v_lshlrev_b64 v[2:3], 1, v[6:7]
	;; [unrolled: 5-line block ×6, first 2 shown]
	v_add_co_u32_e32 v86, vcc, s16, v2
	v_addc_co_u32_e32 v83, vcc, v83, v3, vcc
	v_mbcnt_lo_u32_b32 v4, -1, 0
	v_add_co_u32_e32 v88, vcc, s18, v2
	v_and_b32_e32 v89, 0x3ff, v0
	s_mul_i32 s0, s15, s7
	s_mul_hi_u32 s1, s14, s7
	v_mbcnt_hi_u32_b32 v4, -1, v4
	v_mul_lo_u32 v20, s15, v18
	v_mul_lo_u32 v23, s15, v21
	;; [unrolled: 1-line block ×3, first 2 shown]
	v_addc_co_u32_e32 v85, vcc, v16, v3, vcc
	v_add_u32_e32 v2, s33, v89
	v_mov_b32_e32 v3, 0
	s_add_i32 s1, s1, s0
	s_mul_i32 s0, s14, s7
	v_lshlrev_b32_e32 v4, 2, v4
	v_add3_u32 v39, v20, v39, v19
	v_add3_u32 v41, v23, v41, v22
	;; [unrolled: 1-line block ×6, first 2 shown]
	s_lshl_b64 s[16:17], s[0:1], 1
	v_and_b32_e32 v94, 0x100, v4
	v_mov_b32_e32 v26, v3
	v_mov_b32_e32 v27, v3
	v_lshlrev_b64 v[90:91], 1, v[2:3]
	s_branch .LBB103_55
.LBB103_52:                             ;   in Loop: Header=BB103_55 Depth=1
	s_or_b64 exec, exec, s[18:19]
.LBB103_53:                             ;   in Loop: Header=BB103_55 Depth=1
	s_or_b64 exec, exec, s[0:1]
	v_add_co_u32_e32 v4, vcc, v44, v90
	v_addc_co_u32_e32 v5, vcc, v1, v91, vcc
	global_load_ushort v7, v[4:5], off
	v_add_co_u32_e32 v4, vcc, v60, v90
	v_addc_co_u32_e32 v5, vcc, v29, v91, vcc
	global_load_ushort v8, v[4:5], off
	;; [unrolled: 3-line block ×16, first 2 shown]
	s_waitcnt vmcnt(16)
	ds_bpermute_b32 v24, v94, v2 offset:8
	s_waitcnt vmcnt(15)
	v_lshlrev_b32_e32 v4, 16, v7
	s_waitcnt vmcnt(14)
	v_lshlrev_b32_e32 v7, 16, v8
	;; [unrolled: 2-line block ×13, first 2 shown]
	ds_bpermute_b32 v19, v94, v6
	s_waitcnt vmcnt(2)
	v_lshlrev_b32_e32 v22, 16, v20
	s_waitcnt vmcnt(1)
	v_lshlrev_b32_e32 v20, 16, v21
	ds_bpermute_b32 v21, v94, v2
	s_waitcnt vmcnt(0)
	v_lshlrev_b32_e32 v23, 16, v5
	s_waitcnt lgkmcnt(1)
	v_sub_f32_e32 v5, v7, v19
	ds_bpermute_b32 v7, v94, v6 offset:4
	v_mul_f32_e32 v5, v5, v4
	s_waitcnt lgkmcnt(1)
	v_mul_f32_e32 v5, v5, v21
	ds_bpermute_b32 v19, v94, v2 offset:4
	ds_bpermute_b32 v21, v94, v6 offset:8
	s_waitcnt lgkmcnt(2)
	v_sub_f32_e32 v7, v9, v7
	v_mul_f32_e32 v7, v7, v8
	v_pk_add_f32 v[4:5], v[92:93], v[4:5]
	s_waitcnt lgkmcnt(1)
	v_mul_f32_e32 v9, v7, v19
	s_waitcnt lgkmcnt(0)
	v_sub_f32_e32 v7, v11, v21
	ds_bpermute_b32 v19, v94, v6 offset:12
	v_mul_f32_e32 v7, v7, v10
	v_mul_f32_e32 v11, v7, v24
	ds_bpermute_b32 v7, v94, v2 offset:12
	ds_bpermute_b32 v21, v94, v6 offset:16
	s_waitcnt lgkmcnt(2)
	v_sub_f32_e32 v13, v13, v19
	ds_bpermute_b32 v19, v94, v2 offset:16
	v_mul_f32_e32 v13, v13, v12
	s_waitcnt lgkmcnt(2)
	v_mul_f32_e32 v13, v13, v7
	s_waitcnt lgkmcnt(1)
	v_sub_f32_e32 v7, v15, v21
	ds_bpermute_b32 v21, v94, v6 offset:20
	v_mul_f32_e32 v7, v7, v14
	s_waitcnt lgkmcnt(1)
	v_mul_f32_e32 v15, v7, v19
	ds_bpermute_b32 v7, v94, v2 offset:20
	ds_bpermute_b32 v19, v94, v6 offset:24
	;; [unrolled: 1-line block ×3, first 2 shown]
	s_waitcnt lgkmcnt(3)
	v_sub_f32_e32 v17, v17, v21
	ds_bpermute_b32 v21, v94, v2 offset:24
	v_pk_add_f32 v[4:5], v[4:5], v[8:9]
	ds_bpermute_b32 v2, v94, v2 offset:28
	v_mul_f32_e32 v17, v17, v16
	v_pk_add_f32 v[4:5], v[4:5], v[10:11]
	s_waitcnt lgkmcnt(4)
	v_mul_f32_e32 v17, v17, v7
	s_waitcnt lgkmcnt(3)
	v_sub_f32_e32 v7, v22, v19
	v_pk_add_f32 v[4:5], v[4:5], v[12:13]
	v_mul_f32_e32 v7, v7, v18
	v_pk_add_f32 v[4:5], v[4:5], v[14:15]
	s_waitcnt lgkmcnt(2)
	v_sub_f32_e32 v6, v23, v6
	s_waitcnt lgkmcnt(1)
	v_mul_f32_e32 v19, v7, v21
	v_pk_add_f32 v[4:5], v[4:5], v[16:17]
	v_mul_f32_e32 v6, v6, v20
	v_pk_add_f32 v[4:5], v[4:5], v[18:19]
	s_waitcnt lgkmcnt(0)
	v_mul_f32_e32 v21, v6, v2
	v_pk_add_f32 v[26:27], v[4:5], v[20:21]
.LBB103_54:                             ;   in Loop: Header=BB103_55 Depth=1
	v_mov_b32_e32 v2, s17
	v_add_co_u32_e32 v30, vcc, s16, v30
	v_addc_co_u32_e32 v31, vcc, v31, v2, vcc
	v_add_co_u32_e32 v32, vcc, s16, v32
	v_addc_co_u32_e32 v33, vcc, v33, v2, vcc
	;; [unrolled: 2-line block ×29, first 2 shown]
	s_add_u32 s10, s10, s7
	v_add_co_u32_e32 v88, vcc, s16, v88
	s_addc_u32 s11, s11, 0
	v_addc_co_u32_e32 v85, vcc, v85, v2, vcc
	v_pk_mov_b32 v[4:5], s[12:13], s[12:13] op_sel:[0,1]
	s_add_u32 s8, s8, s7
	v_cmp_ge_i64_e32 vcc, s[10:11], v[4:5]
	s_addc_u32 s9, s9, 0
	s_cbranch_vccnz .LBB103_81
.LBB103_55:                             ; =>This Inner Loop Header: Depth=1
	v_pk_mov_b32 v[4:5], s[12:13], s[12:13] op_sel:[0,1]
	v_cmp_ge_i64_e32 vcc, s[8:9], v[4:5]
	v_mov_b32_e32 v2, s9
	v_add_co_u32_e64 v95, s[0:1], s8, v28
	v_mov_b32_e32 v92, v26
	v_mov_b32_e32 v93, v27
	v_addc_co_u32_e64 v96, s[0:1], 0, v2, s[0:1]
	s_cbranch_vccz .LBB103_77
; %bb.56:                               ;   in Loop: Header=BB103_55 Depth=1
	s_load_dword s0, s[2:3], 0xc
	v_mov_b32_e32 v26, 0
	v_mov_b32_e32 v27, 0
	s_waitcnt lgkmcnt(0)
	s_and_b32 s0, s0, 0xffff
	v_mad_u32_u24 v2, v87, s0, v89
	v_and_b32_e32 v2, 63, v2
	v_cmp_gt_u32_e32 vcc, 8, v2
	s_and_saveexec_b64 s[0:1], vcc
	s_cbranch_execz .LBB103_60
; %bb.57:                               ;   in Loop: Header=BB103_55 Depth=1
	v_add_co_u32_e32 v2, vcc, v95, v2
	v_addc_co_u32_e32 v5, vcc, 0, v96, vcc
	v_add_co_u32_e32 v4, vcc, 0xffffff81, v2
	v_addc_co_u32_e32 v5, vcc, -1, v5, vcc
	v_cmp_gt_i64_e32 vcc, s[12:13], v[4:5]
	v_mov_b32_e32 v27, 0
	v_mov_b32_e32 v26, 0
	s_and_saveexec_b64 s[18:19], vcc
	s_cbranch_execz .LBB103_59
; %bb.58:                               ;   in Loop: Header=BB103_55 Depth=1
	v_lshlrev_b64 v[4:5], 2, v[4:5]
	v_mov_b32_e32 v2, s31
	v_add_co_u32_e32 v6, vcc, s30, v4
	v_addc_co_u32_e32 v7, vcc, v2, v5, vcc
	v_mov_b32_e32 v2, s29
	v_add_co_u32_e32 v4, vcc, s28, v4
	v_addc_co_u32_e32 v5, vcc, v2, v5, vcc
	global_load_dword v27, v[4:5], off
	global_load_dword v26, v[6:7], off
.LBB103_59:                             ;   in Loop: Header=BB103_55 Depth=1
	s_or_b64 exec, exec, s[18:19]
.LBB103_60:                             ;   in Loop: Header=BB103_55 Depth=1
	s_or_b64 exec, exec, s[0:1]
	s_mov_b32 s21, s20
	s_mov_b32 s22, s20
	;; [unrolled: 1-line block ×7, first 2 shown]
	v_pk_mov_b32 v[10:11], s[20:21], s[20:21] op_sel:[0,1]
	v_add_co_u32_e32 v4, vcc, 0xffffff81, v95
	v_pk_mov_b32 v[16:17], s[26:27], s[26:27] op_sel:[0,1]
	v_addc_co_u32_e32 v5, vcc, -1, v96, vcc
	v_pk_mov_b32 v[12:13], s[22:23], s[22:23] op_sel:[0,1]
	v_pk_mov_b32 v[14:15], s[24:25], s[24:25] op_sel:[0,1]
	;; [unrolled: 1-line block ×3, first 2 shown]
	v_cmp_gt_i64_e32 vcc, s[12:13], v[4:5]
	v_pk_mov_b32 v[22:23], v[14:15], v[14:15] op_sel:[0,1]
	v_pk_mov_b32 v[20:21], v[12:13], v[12:13] op_sel:[0,1]
	;; [unrolled: 1-line block ×3, first 2 shown]
	s_and_saveexec_b64 s[0:1], vcc
	s_cbranch_execz .LBB103_62
; %bb.61:                               ;   in Loop: Header=BB103_55 Depth=1
	v_add_co_u32_e32 v4, vcc, v44, v90
	v_addc_co_u32_e32 v5, vcc, v1, v91, vcc
	global_load_ushort v2, v[4:5], off
	v_add_co_u32_e32 v4, vcc, v60, v90
	v_addc_co_u32_e32 v5, vcc, v29, v91, vcc
	global_load_ushort v10, v[4:5], off
	v_mov_b32_e32 v8, v3
	v_mov_b32_e32 v9, v3
	;; [unrolled: 1-line block ×13, first 2 shown]
	s_waitcnt vmcnt(1)
	v_lshlrev_b32_e32 v2, 16, v2
	v_pk_mov_b32 v[24:25], v[8:9], v[8:9] op_sel:[0,1]
	v_pk_mov_b32 v[22:23], v[6:7], v[6:7] op_sel:[0,1]
	;; [unrolled: 1-line block ×4, first 2 shown]
	s_waitcnt vmcnt(0)
	v_lshlrev_b32_e32 v10, 16, v10
.LBB103_62:                             ;   in Loop: Header=BB103_55 Depth=1
	s_or_b64 exec, exec, s[0:1]
	v_add_co_u32_e32 v4, vcc, 0xffffff82, v95
	v_addc_co_u32_e32 v5, vcc, -1, v96, vcc
	v_cmp_gt_i64_e32 vcc, s[12:13], v[4:5]
	s_and_saveexec_b64 s[0:1], vcc
	s_cbranch_execz .LBB103_64
; %bb.63:                               ;   in Loop: Header=BB103_55 Depth=1
	v_add_co_u32_e32 v4, vcc, v86, v90
	v_addc_co_u32_e32 v5, vcc, v83, v91, vcc
	global_load_ushort v2, v[4:5], off
	v_add_co_u32_e32 v4, vcc, v88, v90
	v_addc_co_u32_e32 v5, vcc, v85, v91, vcc
	global_load_ushort v4, v[4:5], off
	s_waitcnt vmcnt(1)
	v_lshlrev_b32_e32 v19, 16, v2
	s_waitcnt vmcnt(0)
	v_lshlrev_b32_e32 v11, 16, v4
.LBB103_64:                             ;   in Loop: Header=BB103_55 Depth=1
	s_or_b64 exec, exec, s[0:1]
	v_add_co_u32_e32 v4, vcc, 0xffffff83, v95
	v_addc_co_u32_e32 v5, vcc, -1, v96, vcc
	v_cmp_gt_i64_e32 vcc, s[12:13], v[4:5]
	s_and_saveexec_b64 s[0:1], vcc
	s_cbranch_execz .LBB103_66
; %bb.65:                               ;   in Loop: Header=BB103_55 Depth=1
	v_add_co_u32_e32 v4, vcc, v82, v90
	v_addc_co_u32_e32 v5, vcc, v79, v91, vcc
	global_load_ushort v2, v[4:5], off
	v_add_co_u32_e32 v4, vcc, v84, v90
	v_addc_co_u32_e32 v5, vcc, v81, v91, vcc
	global_load_ushort v4, v[4:5], off
	s_waitcnt vmcnt(1)
	v_lshlrev_b32_e32 v20, 16, v2
	s_waitcnt vmcnt(0)
	v_lshlrev_b32_e32 v12, 16, v4
.LBB103_66:                             ;   in Loop: Header=BB103_55 Depth=1
	s_or_b64 exec, exec, s[0:1]
	v_add_co_u32_e32 v4, vcc, 0xffffff84, v95
	v_addc_co_u32_e32 v5, vcc, -1, v96, vcc
	v_cmp_gt_i64_e32 vcc, s[12:13], v[4:5]
	s_and_saveexec_b64 s[0:1], vcc
	s_cbranch_execz .LBB103_68
; %bb.67:                               ;   in Loop: Header=BB103_55 Depth=1
	v_add_co_u32_e32 v4, vcc, v78, v90
	v_addc_co_u32_e32 v5, vcc, v75, v91, vcc
	global_load_ushort v2, v[4:5], off
	v_add_co_u32_e32 v4, vcc, v80, v90
	v_addc_co_u32_e32 v5, vcc, v77, v91, vcc
	global_load_ushort v4, v[4:5], off
	s_waitcnt vmcnt(1)
	v_lshlrev_b32_e32 v21, 16, v2
	s_waitcnt vmcnt(0)
	v_lshlrev_b32_e32 v13, 16, v4
.LBB103_68:                             ;   in Loop: Header=BB103_55 Depth=1
	s_or_b64 exec, exec, s[0:1]
	v_add_co_u32_e32 v4, vcc, 0xffffff85, v95
	v_addc_co_u32_e32 v5, vcc, -1, v96, vcc
	v_cmp_gt_i64_e32 vcc, s[12:13], v[4:5]
	s_and_saveexec_b64 s[0:1], vcc
	s_cbranch_execz .LBB103_70
; %bb.69:                               ;   in Loop: Header=BB103_55 Depth=1
	v_add_co_u32_e32 v4, vcc, v74, v90
	v_addc_co_u32_e32 v5, vcc, v71, v91, vcc
	global_load_ushort v2, v[4:5], off
	v_add_co_u32_e32 v4, vcc, v76, v90
	v_addc_co_u32_e32 v5, vcc, v73, v91, vcc
	global_load_ushort v4, v[4:5], off
	s_waitcnt vmcnt(1)
	v_lshlrev_b32_e32 v22, 16, v2
	s_waitcnt vmcnt(0)
	v_lshlrev_b32_e32 v14, 16, v4
.LBB103_70:                             ;   in Loop: Header=BB103_55 Depth=1
	s_or_b64 exec, exec, s[0:1]
	v_add_co_u32_e32 v4, vcc, 0xffffff86, v95
	v_addc_co_u32_e32 v5, vcc, -1, v96, vcc
	v_cmp_gt_i64_e32 vcc, s[12:13], v[4:5]
	s_and_saveexec_b64 s[0:1], vcc
	s_cbranch_execz .LBB103_72
; %bb.71:                               ;   in Loop: Header=BB103_55 Depth=1
	v_add_co_u32_e32 v4, vcc, v70, v90
	v_addc_co_u32_e32 v5, vcc, v67, v91, vcc
	global_load_ushort v2, v[4:5], off
	v_add_co_u32_e32 v4, vcc, v72, v90
	v_addc_co_u32_e32 v5, vcc, v69, v91, vcc
	global_load_ushort v4, v[4:5], off
	s_waitcnt vmcnt(1)
	v_lshlrev_b32_e32 v23, 16, v2
	s_waitcnt vmcnt(0)
	v_lshlrev_b32_e32 v15, 16, v4
.LBB103_72:                             ;   in Loop: Header=BB103_55 Depth=1
	s_or_b64 exec, exec, s[0:1]
	v_add_co_u32_e32 v4, vcc, 0xffffff87, v95
	v_addc_co_u32_e32 v5, vcc, -1, v96, vcc
	v_cmp_gt_i64_e32 vcc, s[12:13], v[4:5]
	s_and_saveexec_b64 s[0:1], vcc
	s_cbranch_execz .LBB103_74
; %bb.73:                               ;   in Loop: Header=BB103_55 Depth=1
	v_add_co_u32_e32 v4, vcc, v66, v90
	v_addc_co_u32_e32 v5, vcc, v63, v91, vcc
	global_load_ushort v2, v[4:5], off
	v_add_co_u32_e32 v4, vcc, v68, v90
	v_addc_co_u32_e32 v5, vcc, v65, v91, vcc
	global_load_ushort v4, v[4:5], off
	s_waitcnt vmcnt(1)
	v_lshlrev_b32_e32 v24, 16, v2
	s_waitcnt vmcnt(0)
	v_lshlrev_b32_e32 v16, 16, v4
.LBB103_74:                             ;   in Loop: Header=BB103_55 Depth=1
	s_or_b64 exec, exec, s[0:1]
	v_add_co_u32_e32 v4, vcc, 0xffffff88, v95
	v_addc_co_u32_e32 v5, vcc, -1, v96, vcc
	v_cmp_gt_i64_e32 vcc, s[12:13], v[4:5]
	s_and_saveexec_b64 s[0:1], vcc
	s_cbranch_execz .LBB103_76
; %bb.75:                               ;   in Loop: Header=BB103_55 Depth=1
	v_add_co_u32_e32 v4, vcc, v62, v90
	v_addc_co_u32_e32 v5, vcc, v45, v91, vcc
	global_load_ushort v2, v[4:5], off
	v_add_co_u32_e32 v4, vcc, v64, v90
	v_addc_co_u32_e32 v5, vcc, v61, v91, vcc
	global_load_ushort v4, v[4:5], off
	s_waitcnt vmcnt(1)
	v_lshlrev_b32_e32 v25, 16, v2
	s_waitcnt vmcnt(0)
	v_lshlrev_b32_e32 v17, 16, v4
.LBB103_76:                             ;   in Loop: Header=BB103_55 Depth=1
	s_or_b64 exec, exec, s[0:1]
	s_waitcnt vmcnt(1)
	ds_bpermute_b32 v2, v94, v27
	s_waitcnt vmcnt(0)
	ds_bpermute_b32 v4, v94, v26
	ds_bpermute_b32 v7, v94, v27 offset:4
	ds_bpermute_b32 v6, v94, v26 offset:4
	;; [unrolled: 1-line block ×3, first 2 shown]
	s_waitcnt lgkmcnt(4)
	v_sub_f32_e32 v2, v10, v2
	v_mul_f32_e32 v2, v18, v2
	s_waitcnt lgkmcnt(3)
	v_mul_f32_e32 v5, v2, v4
	ds_bpermute_b32 v4, v94, v26 offset:8
	s_waitcnt lgkmcnt(3)
	v_sub_f32_e32 v2, v11, v7
	v_mul_f32_e32 v2, v19, v2
	s_waitcnt lgkmcnt(2)
	v_mul_f32_e32 v7, v2, v6
	s_waitcnt lgkmcnt(1)
	v_sub_f32_e32 v2, v12, v8
	ds_bpermute_b32 v6, v94, v27 offset:12
	v_mul_f32_e32 v2, v20, v2
	s_waitcnt lgkmcnt(1)
	v_mul_f32_e32 v9, v2, v4
	ds_bpermute_b32 v2, v94, v26 offset:12
	ds_bpermute_b32 v4, v94, v27 offset:16
	;; [unrolled: 1-line block ×3, first 2 shown]
	s_waitcnt lgkmcnt(3)
	v_sub_f32_e32 v6, v13, v6
	v_mul_f32_e32 v6, v21, v6
	s_waitcnt lgkmcnt(2)
	v_mul_f32_e32 v11, v6, v2
	s_waitcnt lgkmcnt(1)
	v_sub_f32_e32 v2, v14, v4
	ds_bpermute_b32 v4, v94, v27 offset:20
	v_mul_f32_e32 v2, v22, v2
	s_waitcnt lgkmcnt(1)
	v_mul_f32_e32 v13, v2, v8
	ds_bpermute_b32 v2, v94, v26 offset:20
	ds_bpermute_b32 v6, v94, v27 offset:24
	;; [unrolled: 1-line block ×3, first 2 shown]
	s_waitcnt lgkmcnt(3)
	v_sub_f32_e32 v4, v15, v4
	v_mul_f32_e32 v4, v23, v4
	s_waitcnt lgkmcnt(2)
	v_mul_f32_e32 v15, v4, v2
	s_waitcnt lgkmcnt(1)
	v_sub_f32_e32 v2, v16, v6
	v_mul_f32_e32 v2, v24, v2
	s_waitcnt lgkmcnt(0)
	v_mul_f32_e32 v99, v2, v8
	v_mov_b32_e32 v4, v18
	ds_bpermute_b32 v2, v94, v27 offset:28
	v_pk_add_f32 v[4:5], v[92:93], v[4:5]
	v_mov_b32_e32 v6, v19
	v_pk_add_f32 v[4:5], v[6:7], v[4:5]
	v_mov_b32_e32 v8, v20
	ds_bpermute_b32 v6, v94, v26 offset:28
	v_pk_add_f32 v[4:5], v[8:9], v[4:5]
	v_mov_b32_e32 v10, v21
	v_pk_add_f32 v[4:5], v[10:11], v[4:5]
	v_mov_b32_e32 v12, v22
	;; [unrolled: 2-line block ×3, first 2 shown]
	s_waitcnt lgkmcnt(1)
	v_sub_f32_e32 v2, v17, v2
	v_pk_add_f32 v[4:5], v[14:15], v[4:5]
	v_mov_b32_e32 v98, v24
	v_mul_f32_e32 v2, v25, v2
	v_pk_add_f32 v[4:5], v[98:99], v[4:5]
	s_waitcnt lgkmcnt(0)
	v_mul_f32_e32 v7, v2, v6
	v_mov_b32_e32 v6, v25
	v_pk_add_f32 v[26:27], v[6:7], v[4:5]
	s_branch .LBB103_54
.LBB103_77:                             ;   in Loop: Header=BB103_55 Depth=1
                                        ; implicit-def: $vgpr27
	s_cbranch_execz .LBB103_54
; %bb.78:                               ;   in Loop: Header=BB103_55 Depth=1
	s_load_dword s0, s[2:3], 0x0
	v_mov_b32_e32 v2, 0
	v_mov_b32_e32 v6, 0
	s_waitcnt lgkmcnt(0)
	s_cmp_lt_u32 s6, s0
	s_cselect_b32 s0, 12, 18
	s_add_u32 s0, s2, s0
	s_addc_u32 s1, s3, 0
	global_load_ushort v4, v3, s[0:1]
	s_waitcnt vmcnt(0)
	v_mad_u32_u24 v4, v87, v4, v89
	v_and_b32_e32 v4, 63, v4
	v_cmp_gt_u32_e32 vcc, 8, v4
	s_and_saveexec_b64 s[0:1], vcc
	s_cbranch_execz .LBB103_53
; %bb.79:                               ;   in Loop: Header=BB103_55 Depth=1
	v_add_co_u32_e32 v2, vcc, v95, v4
	v_addc_co_u32_e32 v5, vcc, 0, v96, vcc
	v_add_co_u32_e32 v4, vcc, 0xffffff81, v2
	v_addc_co_u32_e32 v5, vcc, -1, v5, vcc
	v_cmp_gt_i64_e32 vcc, s[12:13], v[4:5]
	v_mov_b32_e32 v6, 0
	v_mov_b32_e32 v2, 0
	s_and_saveexec_b64 s[18:19], vcc
	s_cbranch_execz .LBB103_52
; %bb.80:                               ;   in Loop: Header=BB103_55 Depth=1
	v_lshlrev_b64 v[4:5], 2, v[4:5]
	v_mov_b32_e32 v2, s31
	v_add_co_u32_e32 v8, vcc, s30, v4
	v_addc_co_u32_e32 v9, vcc, v2, v5, vcc
	v_mov_b32_e32 v2, s29
	v_add_co_u32_e32 v4, vcc, s28, v4
	v_addc_co_u32_e32 v5, vcc, v2, v5, vcc
	global_load_dword v6, v[4:5], off
	global_load_dword v2, v[8:9], off
	s_branch .LBB103_52
.LBB103_81:
	v_bfe_u32 v6, v0, 10, 10
	v_and_b32_e32 v0, 0x3ff, v0
	s_movk_i32 s0, 0x41
	v_mad_u32_u24 v1, v6, s0, v0
	v_lshl_add_u32 v1, v1, 2, 0
	v_lshrrev_b32_e32 v7, 6, v0
	ds_write_b32 v1, v27
	ds_write_b32 v1, v26 offset:4160
	v_add_u32_e32 v1, v7, v6
	s_mov_b32 s7, 0
	v_cmp_gt_u32_e32 vcc, 64, v1
	s_waitcnt lgkmcnt(0)
	s_barrier
	s_and_saveexec_b64 s[0:1], vcc
	s_cbranch_execz .LBB103_91
; %bb.82:
	v_and_b32_e32 v1, 63, v0
	v_cmp_gt_u32_e64 s[0:1], 16, v1
	v_mul_u32_u24_e32 v12, 0x41, v1
	v_mbcnt_lo_u32_b32 v1, -1, 0
	v_mbcnt_hi_u32_b32 v1, -1, v1
	v_and_b32_e32 v2, 64, v1
	v_add_u32_e32 v2, 64, v2
	v_cmp_eq_u32_e64 s[2:3], 0, v0
	v_xor_b32_e32 v0, 8, v1
	v_cmp_lt_i32_e32 vcc, v0, v2
	v_cndmask_b32_e32 v0, v1, v0, vcc
	v_lshlrev_b32_e32 v8, 2, v0
	v_xor_b32_e32 v0, 4, v1
	v_cmp_lt_i32_e32 vcc, v0, v2
	v_cndmask_b32_e32 v0, v1, v0, vcc
	v_lshlrev_b32_e32 v9, 2, v0
	;; [unrolled: 4-line block ×3, first 2 shown]
	v_xor_b32_e32 v0, 1, v1
	s_load_dwordx4 s[8:11], s[4:5], 0x30
	v_cmp_lt_i32_e32 vcc, v0, v2
	v_cndmask_b32_e32 v0, v1, v0, vcc
	s_lshl_b64 s[12:13], s[6:7], 6
	v_lshlrev_b32_e32 v11, 2, v0
	v_add_co_u32_e32 v0, vcc, v7, v6
	v_addc_co_u32_e64 v1, s[6:7], 0, 0, vcc
	v_mov_b32_e32 v3, s13
	v_add_co_u32_e32 v2, vcc, s12, v0
	v_addc_co_u32_e32 v3, vcc, v1, v3, vcc
	s_waitcnt lgkmcnt(0)
	s_cmp_lg_u64 s[8:9], 0
	v_lshlrev_b64 v[4:5], 1, v[2:3]
	s_cselect_b64 s[4:5], -1, 0
	s_cmp_lg_u64 s[10:11], 0
	v_mov_b32_e32 v3, s11
	v_add_co_u32_e32 v2, vcc, s10, v4
	v_add3_u32 v6, v12, v6, v7
	v_addc_co_u32_e32 v3, vcc, v3, v5, vcc
	v_lshl_add_u32 v12, v6, 2, 0
	v_cndmask_b32_e64 v6, 0, 1, s[4:5]
	s_cselect_b64 s[6:7], -1, 0
	v_mov_b32_e32 v13, s9
	v_add_co_u32_e32 v4, vcc, s8, v4
	v_cmp_ne_u32_e64 s[4:5], 1, v6
	v_cndmask_b32_e64 v6, 0, 1, s[6:7]
	s_mov_b64 s[16:17], 0
	v_addc_co_u32_e32 v5, vcc, v13, v5, vcc
	v_mov_b32_e32 v13, s13
	s_movk_i32 s10, 0x7fff
	v_mov_b32_e32 v14, 0x7fc0
	v_cmp_ne_u32_e64 s[6:7], 1, v6
                                        ; implicit-def: $vgpr6
	s_branch .LBB103_84
.LBB103_83:                             ;   in Loop: Header=BB103_84 Depth=1
	s_or_b64 exec, exec, s[8:9]
	v_add_co_u32_e32 v0, vcc, 16, v0
	v_addc_co_u32_e32 v1, vcc, 0, v1, vcc
	v_add_co_u32_e32 v2, vcc, 32, v2
	v_addc_co_u32_e32 v3, vcc, 0, v3, vcc
	v_add_co_u32_e32 v4, vcc, 32, v4
	v_add_u32_e32 v15, -16, v0
	v_addc_co_u32_e32 v5, vcc, 0, v5, vcc
	v_cmp_lt_u32_e32 vcc, 47, v15
	s_or_b64 s[16:17], vcc, s[16:17]
	v_add_u32_e32 v12, 64, v12
	s_andn2_b64 exec, exec, s[16:17]
	s_cbranch_execz .LBB103_91
.LBB103_84:                             ; =>This Inner Loop Header: Depth=1
	s_and_saveexec_b64 s[8:9], s[0:1]
	s_cbranch_execz .LBB103_86
; %bb.85:                               ;   in Loop: Header=BB103_84 Depth=1
	ds_read_b32 v7, v12
	ds_read_b32 v6, v12 offset:4160
.LBB103_86:                             ;   in Loop: Header=BB103_84 Depth=1
	s_or_b64 exec, exec, s[8:9]
	s_waitcnt lgkmcnt(1)
	ds_bpermute_b32 v17, v8, v7
	s_waitcnt lgkmcnt(1)
	ds_bpermute_b32 v16, v8, v6
	v_add_co_u32_e32 v18, vcc, s12, v0
	v_addc_co_u32_e32 v19, vcc, v13, v1, vcc
	s_waitcnt lgkmcnt(0)
	v_pk_add_f32 v[6:7], v[6:7], v[16:17]
	ds_bpermute_b32 v17, v9, v7
	ds_bpermute_b32 v16, v9, v6
	v_cmp_gt_i64_e32 vcc, s[14:15], v[18:19]
	s_and_b64 s[18:19], s[2:3], vcc
	s_waitcnt lgkmcnt(0)
	v_pk_add_f32 v[6:7], v[6:7], v[16:17]
	ds_bpermute_b32 v17, v10, v7
	ds_bpermute_b32 v16, v10, v6
	s_waitcnt lgkmcnt(0)
	v_pk_add_f32 v[6:7], v[6:7], v[16:17]
	ds_bpermute_b32 v17, v11, v7
	ds_bpermute_b32 v16, v11, v6
	s_waitcnt lgkmcnt(0)
	v_pk_add_f32 v[6:7], v[6:7], v[16:17]
	s_and_saveexec_b64 s[8:9], s[18:19]
	s_cbranch_execz .LBB103_83
; %bb.87:                               ;   in Loop: Header=BB103_84 Depth=1
	s_and_b64 vcc, exec, s[4:5]
	s_cbranch_vccnz .LBB103_89
; %bb.88:                               ;   in Loop: Header=BB103_84 Depth=1
	v_bfe_u32 v15, v7, 16, 1
	v_add3_u32 v15, v7, v15, s10
	v_lshrrev_b32_e32 v15, 16, v15
	v_cmp_o_f32_e32 vcc, v7, v7
	v_cndmask_b32_e32 v15, v14, v15, vcc
	global_store_short v[4:5], v15, off
.LBB103_89:                             ;   in Loop: Header=BB103_84 Depth=1
	s_and_b64 vcc, exec, s[6:7]
	s_cbranch_vccnz .LBB103_83
; %bb.90:                               ;   in Loop: Header=BB103_84 Depth=1
	v_bfe_u32 v15, v6, 16, 1
	v_add3_u32 v15, v6, v15, s10
	v_lshrrev_b32_e32 v15, 16, v15
	v_cmp_o_f32_e32 vcc, v6, v6
	v_cndmask_b32_e32 v15, v14, v15, vcc
	global_store_short v[2:3], v15, off
	s_branch .LBB103_83
.LBB103_91:
	s_endpgm
	.section	.rodata,"a",@progbits
	.p2align	6, 0x0
	.amdhsa_kernel _ZN2at6native12_GLOBAL__N_135GammaBetaBackwardCUDAKernelTemplateIN3c108BFloat16EfLj64ELj16ELj128ELb0ELb0ELb0EEEvllPKT_S7_PKT0_SA_PS5_SB_
		.amdhsa_group_segment_fixed_size 0
		.amdhsa_private_segment_fixed_size 0
		.amdhsa_kernarg_size 320
		.amdhsa_user_sgpr_count 6
		.amdhsa_user_sgpr_private_segment_buffer 1
		.amdhsa_user_sgpr_dispatch_ptr 0
		.amdhsa_user_sgpr_queue_ptr 0
		.amdhsa_user_sgpr_kernarg_segment_ptr 1
		.amdhsa_user_sgpr_dispatch_id 0
		.amdhsa_user_sgpr_flat_scratch_init 0
		.amdhsa_user_sgpr_kernarg_preload_length 0
		.amdhsa_user_sgpr_kernarg_preload_offset 0
		.amdhsa_user_sgpr_private_segment_size 0
		.amdhsa_uses_dynamic_stack 0
		.amdhsa_system_sgpr_private_segment_wavefront_offset 0
		.amdhsa_system_sgpr_workgroup_id_x 1
		.amdhsa_system_sgpr_workgroup_id_y 1
		.amdhsa_system_sgpr_workgroup_id_z 0
		.amdhsa_system_sgpr_workgroup_info 0
		.amdhsa_system_vgpr_workitem_id 1
		.amdhsa_next_free_vgpr 100
		.amdhsa_next_free_sgpr 44
		.amdhsa_accum_offset 100
		.amdhsa_reserve_vcc 1
		.amdhsa_reserve_flat_scratch 0
		.amdhsa_float_round_mode_32 0
		.amdhsa_float_round_mode_16_64 0
		.amdhsa_float_denorm_mode_32 3
		.amdhsa_float_denorm_mode_16_64 3
		.amdhsa_dx10_clamp 1
		.amdhsa_ieee_mode 1
		.amdhsa_fp16_overflow 0
		.amdhsa_tg_split 0
		.amdhsa_exception_fp_ieee_invalid_op 0
		.amdhsa_exception_fp_denorm_src 0
		.amdhsa_exception_fp_ieee_div_zero 0
		.amdhsa_exception_fp_ieee_overflow 0
		.amdhsa_exception_fp_ieee_underflow 0
		.amdhsa_exception_fp_ieee_inexact 0
		.amdhsa_exception_int_div_zero 0
	.end_amdhsa_kernel
	.section	.text._ZN2at6native12_GLOBAL__N_135GammaBetaBackwardCUDAKernelTemplateIN3c108BFloat16EfLj64ELj16ELj128ELb0ELb0ELb0EEEvllPKT_S7_PKT0_SA_PS5_SB_,"axG",@progbits,_ZN2at6native12_GLOBAL__N_135GammaBetaBackwardCUDAKernelTemplateIN3c108BFloat16EfLj64ELj16ELj128ELb0ELb0ELb0EEEvllPKT_S7_PKT0_SA_PS5_SB_,comdat
.Lfunc_end103:
	.size	_ZN2at6native12_GLOBAL__N_135GammaBetaBackwardCUDAKernelTemplateIN3c108BFloat16EfLj64ELj16ELj128ELb0ELb0ELb0EEEvllPKT_S7_PKT0_SA_PS5_SB_, .Lfunc_end103-_ZN2at6native12_GLOBAL__N_135GammaBetaBackwardCUDAKernelTemplateIN3c108BFloat16EfLj64ELj16ELj128ELb0ELb0ELb0EEEvllPKT_S7_PKT0_SA_PS5_SB_
                                        ; -- End function
	.section	.AMDGPU.csdata,"",@progbits
; Kernel info:
; codeLenInByte = 7924
; NumSgprs: 48
; NumVgprs: 100
; NumAgprs: 0
; TotalNumVgprs: 100
; ScratchSize: 0
; MemoryBound: 0
; FloatMode: 240
; IeeeMode: 1
; LDSByteSize: 0 bytes/workgroup (compile time only)
; SGPRBlocks: 5
; VGPRBlocks: 12
; NumSGPRsForWavesPerEU: 48
; NumVGPRsForWavesPerEU: 100
; AccumOffset: 100
; Occupancy: 4
; WaveLimiterHint : 0
; COMPUTE_PGM_RSRC2:SCRATCH_EN: 0
; COMPUTE_PGM_RSRC2:USER_SGPR: 6
; COMPUTE_PGM_RSRC2:TRAP_HANDLER: 0
; COMPUTE_PGM_RSRC2:TGID_X_EN: 1
; COMPUTE_PGM_RSRC2:TGID_Y_EN: 1
; COMPUTE_PGM_RSRC2:TGID_Z_EN: 0
; COMPUTE_PGM_RSRC2:TIDIG_COMP_CNT: 1
; COMPUTE_PGM_RSRC3_GFX90A:ACCUM_OFFSET: 24
; COMPUTE_PGM_RSRC3_GFX90A:TG_SPLIT: 0
	.section	.text._ZN2at6native12_GLOBAL__N_135GammaBetaBackwardCUDAKernelTemplateIN3c108BFloat16EfLj64ELj16ELj256ELb0ELb1ELb0EEEvllPKT_S7_PKT0_SA_PS5_SB_,"axG",@progbits,_ZN2at6native12_GLOBAL__N_135GammaBetaBackwardCUDAKernelTemplateIN3c108BFloat16EfLj64ELj16ELj256ELb0ELb1ELb0EEEvllPKT_S7_PKT0_SA_PS5_SB_,comdat
	.globl	_ZN2at6native12_GLOBAL__N_135GammaBetaBackwardCUDAKernelTemplateIN3c108BFloat16EfLj64ELj16ELj256ELb0ELb1ELb0EEEvllPKT_S7_PKT0_SA_PS5_SB_ ; -- Begin function _ZN2at6native12_GLOBAL__N_135GammaBetaBackwardCUDAKernelTemplateIN3c108BFloat16EfLj64ELj16ELj256ELb0ELb1ELb0EEEvllPKT_S7_PKT0_SA_PS5_SB_
	.p2align	8
	.type	_ZN2at6native12_GLOBAL__N_135GammaBetaBackwardCUDAKernelTemplateIN3c108BFloat16EfLj64ELj16ELj256ELb0ELb1ELb0EEEvllPKT_S7_PKT0_SA_PS5_SB_,@function
_ZN2at6native12_GLOBAL__N_135GammaBetaBackwardCUDAKernelTemplateIN3c108BFloat16EfLj64ELj16ELj256ELb0ELb1ELb0EEEvllPKT_S7_PKT0_SA_PS5_SB_: ; @_ZN2at6native12_GLOBAL__N_135GammaBetaBackwardCUDAKernelTemplateIN3c108BFloat16EfLj64ELj16ELj256ELb0ELb1ELb0EEEvllPKT_S7_PKT0_SA_PS5_SB_
; %bb.0:
	s_load_dwordx4 s[20:23], s[4:5], 0x0
	s_lshl_b32 s2, s7, 8
	s_mov_b32 s3, 0
	v_bfe_u32 v22, v0, 10, 10
	s_waitcnt lgkmcnt(0)
	v_pk_mov_b32 v[2:3], s[20:21], s[20:21] op_sel:[0,1]
	v_cmp_lt_i64_e32 vcc, s[2:3], v[2:3]
	s_cbranch_vccnz .LBB104_2
; %bb.1:
	s_mov_b64 s[0:1], 0
	v_bfe_u32 v4, v0, 10, 10
	s_branch .LBB104_3
.LBB104_2:
	s_mov_b64 s[0:1], -1
                                        ; implicit-def: $vgpr4
.LBB104_3:
	s_load_dwordx4 s[16:19], s[4:5], 0x30
	v_and_b32_e32 v20, 0x3ff, v0
	s_andn2_b64 vcc, exec, s[0:1]
	v_mov_b32_e32 v7, s3
	v_mbcnt_lo_u32_b32 v21, -1, 0
	v_mov_b32_e32 v6, s3
	s_cbranch_vccnz .LBB104_11
; %bb.4:
	s_load_dword s0, s[4:5], 0x4c
	s_load_dword s7, s[4:5], 0x44
	s_load_dwordx8 s[8:15], s[4:5], 0x10
	v_mbcnt_hi_u32_b32 v2, -1, v21
	v_lshlrev_b32_e32 v0, 4, v22
	s_waitcnt lgkmcnt(0)
	s_and_b32 s0, s0, 0xffff
	v_lshlrev_b32_e32 v2, 2, v2
	v_mad_u32_u24 v1, v22, s0, v20
	v_and_b32_e32 v23, 0x100, v2
	v_mov_b32_e32 v2, s3
	v_add_co_u32_e32 v4, vcc, s2, v0
	v_and_b32_e32 v1, 63, v1
	v_addc_co_u32_e32 v5, vcc, 0, v2, vcc
	v_add_co_u32_e32 v0, vcc, v4, v1
	v_cmp_gt_u32_e64 s[0:1], 16, v1
	s_lshl_b32 s4, s7, 8
	v_addc_co_u32_e32 v1, vcc, 0, v5, vcc
	v_mul_lo_u32 v8, s23, v4
	v_mul_lo_u32 v9, s22, v5
	v_mad_u64_u32 v[4:5], s[26:27], s22, v4, 0
	v_mov_b32_e32 v7, 0
	v_lshl_add_u32 v6, s6, 6, v20
	v_add3_u32 v5, v5, v9, v8
	s_mul_i32 s7, s23, s4
	s_mul_hi_u32 s26, s22, s4
	s_mov_b32 s5, 0
	v_lshlrev_b64 v[4:5], 1, v[4:5]
	v_lshlrev_b64 v[8:9], 1, v[6:7]
	s_add_i32 s27, s26, s7
	s_mul_i32 s26, s22, s4
	s_lshl_b64 s[24:25], s[4:5], 2
	v_add_co_u32_e32 v4, vcc, v4, v8
	s_lshl_b64 s[26:27], s[26:27], 1
	s_lshl_b64 s[22:23], s[22:23], 1
	v_or_b32_e32 v24, 4, v23
	v_or_b32_e32 v25, 8, v23
	;; [unrolled: 1-line block ×15, first 2 shown]
	v_lshlrev_b64 v[2:3], 2, v[0:1]
	v_addc_co_u32_e32 v5, vcc, v5, v9, vcc
	v_mov_b32_e32 v39, s9
	v_mov_b32_e32 v40, s11
	;; [unrolled: 1-line block ×7, first 2 shown]
	s_branch .LBB104_7
.LBB104_5:                              ;   in Loop: Header=BB104_7 Depth=1
	s_or_b64 exec, exec, s[30:31]
.LBB104_6:                              ;   in Loop: Header=BB104_7 Depth=1
	s_or_b64 exec, exec, s[28:29]
	v_add_co_u32_e32 v8, vcc, s8, v4
	v_addc_co_u32_e32 v9, vcc, v39, v5, vcc
	v_add_co_u32_e32 v10, vcc, s10, v4
	global_load_ushort v14, v[8:9], off
	v_addc_co_u32_e32 v11, vcc, v40, v5, vcc
	global_load_ushort v15, v[10:11], off
	v_add_co_u32_e32 v8, vcc, s22, v8
	v_addc_co_u32_e32 v9, vcc, v9, v41, vcc
	global_load_ushort v17, v[8:9], off
	v_add_co_u32_e32 v10, vcc, s22, v10
	;; [unrolled: 3-line block ×3, first 2 shown]
	v_addc_co_u32_e32 v9, vcc, v9, v41, vcc
	v_add_co_u32_e32 v10, vcc, s22, v10
	v_addc_co_u32_e32 v11, vcc, v11, v41, vcc
	global_load_ushort v54, v[8:9], off
	global_load_ushort v50, v[10:11], off
	v_add_co_u32_e32 v8, vcc, s22, v8
	v_addc_co_u32_e32 v9, vcc, v9, v41, vcc
	v_add_co_u32_e32 v10, vcc, s22, v10
	v_addc_co_u32_e32 v11, vcc, v11, v41, vcc
	global_load_ushort v56, v[8:9], off
	global_load_ushort v57, v[10:11], off
	v_add_co_u32_e32 v8, vcc, s22, v8
	;; [unrolled: 6-line block ×4, first 2 shown]
	v_addc_co_u32_e32 v9, vcc, v9, v41, vcc
	v_add_co_u32_e32 v10, vcc, s22, v10
	v_addc_co_u32_e32 v11, vcc, v11, v41, vcc
	v_add_co_u32_e32 v12, vcc, s22, v8
	v_addc_co_u32_e32 v13, vcc, v9, v41, vcc
	s_waitcnt vmcnt(13)
	ds_bpermute_b32 v55, v23, v46
	v_add_co_u32_e32 v52, vcc, s22, v10
	global_load_ushort v19, v[8:9], off
	global_load_ushort v18, v[10:11], off
	v_addc_co_u32_e32 v53, vcc, v11, v41, vcc
	s_waitcnt vmcnt(14)
	ds_bpermute_b32 v11, v23, v45
	global_load_ushort v16, v[12:13], off
	s_add_u32 s2, s2, s4
	s_addc_u32 s3, s3, 0
	s_waitcnt vmcnt(14)
	v_lshlrev_b32_e32 v10, 16, v14
	v_add_co_u32_e32 v14, vcc, s22, v12
	s_waitcnt vmcnt(13)
	v_lshlrev_b32_e32 v9, 16, v15
	v_addc_co_u32_e32 v15, vcc, v13, v41, vcc
	v_add_co_u32_e32 v12, vcc, s22, v52
	s_waitcnt lgkmcnt(1)
	v_sub_f32_e32 v9, v9, v55
	v_addc_co_u32_e32 v13, vcc, v53, v41, vcc
	v_mul_f32_e32 v9, v9, v10
	s_waitcnt vmcnt(12)
	v_lshlrev_b32_e32 v8, 16, v17
	global_load_ushort v17, v[52:53], off
	v_add_co_u32_e32 v52, vcc, s22, v14
	s_waitcnt lgkmcnt(0)
	v_mul_f32_e32 v11, v9, v11
	ds_bpermute_b32 v9, v24, v46
	v_addc_co_u32_e32 v53, vcc, v15, v41, vcc
	global_load_ushort v59, v[14:15], off
	v_add_co_u32_e32 v14, vcc, s22, v12
	v_addc_co_u32_e32 v15, vcc, v13, v41, vcc
	global_load_ushort v60, v[12:13], off
	ds_bpermute_b32 v13, v25, v46
	s_waitcnt vmcnt(14)
	v_lshlrev_b32_e32 v51, 16, v51
	s_waitcnt lgkmcnt(1)
	v_sub_f32_e32 v9, v51, v9
	ds_bpermute_b32 v51, v25, v45
	ds_bpermute_b32 v55, v24, v45
	s_waitcnt vmcnt(12)
	v_lshlrev_b32_e32 v50, 16, v50
	v_lshlrev_b32_e32 v12, 16, v54
	v_add_co_u32_e32 v54, vcc, s22, v52
	global_load_ushort v61, v[52:53], off
	s_waitcnt lgkmcnt(2)
	v_sub_f32_e32 v13, v50, v13
	ds_bpermute_b32 v52, v26, v46
	v_mul_f32_e32 v13, v13, v12
	s_waitcnt lgkmcnt(2)
	v_mul_f32_e32 v13, v13, v51
	ds_bpermute_b32 v51, v26, v45
	v_mul_f32_e32 v9, v9, v8
	s_waitcnt lgkmcnt(2)
	v_mul_f32_e32 v9, v9, v55
	v_addc_co_u32_e32 v55, vcc, v53, v41, vcc
	s_waitcnt vmcnt(11)
	v_lshlrev_b32_e32 v53, 16, v57
	v_lshlrev_b32_e32 v50, 16, v56
	s_waitcnt lgkmcnt(1)
	v_sub_f32_e32 v52, v53, v52
	v_mul_f32_e32 v52, v52, v50
	ds_bpermute_b32 v56, v27, v46
	s_waitcnt lgkmcnt(1)
	v_mul_f32_e32 v51, v52, v51
	v_add_co_u32_e32 v52, vcc, s22, v14
	v_addc_co_u32_e32 v53, vcc, v15, v41, vcc
	global_load_ushort v62, v[14:15], off
	ds_bpermute_b32 v15, v27, v45
	s_waitcnt vmcnt(10)
	v_lshlrev_b32_e32 v14, 16, v58
	s_waitcnt lgkmcnt(1)
	v_sub_f32_e32 v56, v14, v56
	v_lshlrev_b32_e32 v14, 16, v49
	v_mul_f32_e32 v49, v56, v14
	v_add_co_u32_e32 v56, vcc, s22, v54
	s_waitcnt lgkmcnt(0)
	v_mul_f32_e32 v15, v49, v15
	v_addc_co_u32_e32 v57, vcc, v55, v41, vcc
	global_load_ushort v49, v[54:55], off
	global_load_ushort v58, v[52:53], off
	v_add_co_u32_e32 v54, vcc, s22, v52
	v_addc_co_u32_e32 v55, vcc, v53, v41, vcc
	v_pk_add_f32 v[6:7], v[6:7], v[10:11]
	v_add_co_u32_e32 v10, vcc, s22, v56
	v_addc_co_u32_e32 v11, vcc, v57, v41, vcc
	v_add_co_u32_e32 v52, vcc, s22, v54
	global_load_ushort v54, v[54:55], off
	v_addc_co_u32_e32 v53, vcc, v55, v41, vcc
	global_load_ushort v56, v[56:57], off
	v_pk_add_f32 v[6:7], v[6:7], v[8:9]
	v_add_co_u32_e32 v8, vcc, s22, v10
	v_addc_co_u32_e32 v9, vcc, v11, v41, vcc
	global_load_ushort v55, v[10:11], off
	v_add_co_u32_e32 v10, vcc, s22, v52
	global_load_ushort v52, v[52:53], off
	v_addc_co_u32_e32 v11, vcc, v53, v41, vcc
	v_pk_add_f32 v[6:7], v[6:7], v[12:13]
	v_add_co_u32_e32 v12, vcc, s22, v8
	v_addc_co_u32_e32 v13, vcc, v9, v41, vcc
	global_load_ushort v53, v[8:9], off
	v_add_co_u32_e32 v8, vcc, s22, v10
	global_load_ushort v57, v[10:11], off
	v_addc_co_u32_e32 v9, vcc, v11, v41, vcc
	v_add_co_u32_e32 v10, vcc, s22, v12
	v_addc_co_u32_e32 v11, vcc, v13, v41, vcc
	global_load_ushort v63, v[12:13], off
	v_add_co_u32_e32 v12, vcc, s22, v8
	v_addc_co_u32_e32 v13, vcc, v9, v41, vcc
	global_load_ushort v64, v[8:9], off
	global_load_ushort v65, v[10:11], off
	;; [unrolled: 1-line block ×3, first 2 shown]
	ds_bpermute_b32 v12, v28, v46
	v_pk_add_f32 v[8:9], v[6:7], v[50:51]
	v_pk_add_f32 v[10:11], v[8:9], v[14:15]
	ds_bpermute_b32 v9, v28, v45
	s_waitcnt vmcnt(20)
	v_lshlrev_b32_e32 v7, 16, v48
	v_lshlrev_b32_e32 v6, 16, v47
	s_waitcnt lgkmcnt(1)
	v_sub_f32_e32 v7, v7, v12
	ds_bpermute_b32 v14, v29, v46
	v_mul_f32_e32 v7, v7, v6
	s_waitcnt lgkmcnt(1)
	v_mul_f32_e32 v7, v7, v9
	ds_bpermute_b32 v9, v29, v45
	s_waitcnt vmcnt(18)
	v_lshlrev_b32_e32 v13, 16, v18
	v_lshlrev_b32_e32 v8, 16, v19
	s_waitcnt vmcnt(17)
	v_lshlrev_b32_e32 v12, 16, v16
	s_waitcnt lgkmcnt(1)
	v_sub_f32_e32 v13, v13, v14
	ds_bpermute_b32 v16, v30, v46
	v_mul_f32_e32 v13, v13, v8
	s_waitcnt lgkmcnt(1)
	v_mul_f32_e32 v9, v13, v9
	ds_bpermute_b32 v13, v30, v45
	s_waitcnt vmcnt(16)
	v_lshlrev_b32_e32 v15, 16, v17
	s_waitcnt lgkmcnt(1)
	v_sub_f32_e32 v15, v15, v16
	ds_bpermute_b32 v18, v31, v46
	v_mul_f32_e32 v15, v15, v12
	s_waitcnt lgkmcnt(1)
	v_mul_f32_e32 v13, v15, v13
	ds_bpermute_b32 v15, v31, v45
	s_waitcnt vmcnt(14)
	v_lshlrev_b32_e32 v17, 16, v60
	v_lshlrev_b32_e32 v14, 16, v59
	s_waitcnt lgkmcnt(1)
	v_sub_f32_e32 v17, v17, v18
	ds_bpermute_b32 v47, v32, v46
	v_mul_f32_e32 v17, v17, v14
	s_waitcnt lgkmcnt(1)
	v_mul_f32_e32 v15, v17, v15
	ds_bpermute_b32 v17, v32, v45
	s_waitcnt vmcnt(12)
	v_lshlrev_b32_e32 v19, 16, v62
	;; [unrolled: 10-line block ×3, first 2 shown]
	s_waitcnt vmcnt(10)
	v_lshlrev_b32_e32 v49, 16, v58
	s_waitcnt lgkmcnt(1)
	v_sub_f32_e32 v47, v49, v47
	ds_bpermute_b32 v49, v34, v46
	v_mul_f32_e32 v47, v47, v18
	s_waitcnt lgkmcnt(1)
	v_mul_f32_e32 v19, v47, v19
	ds_bpermute_b32 v47, v34, v45
	s_waitcnt vmcnt(9)
	v_lshlrev_b32_e32 v51, 16, v54
	s_waitcnt vmcnt(8)
	v_lshlrev_b32_e32 v48, 16, v56
	s_waitcnt lgkmcnt(1)
	v_sub_f32_e32 v49, v51, v49
	ds_bpermute_b32 v51, v35, v46
	v_mul_f32_e32 v49, v49, v48
	s_waitcnt lgkmcnt(1)
	v_mul_f32_e32 v49, v49, v47
	ds_bpermute_b32 v47, v35, v45
	s_waitcnt vmcnt(7)
	v_lshlrev_b32_e32 v50, 16, v55
	ds_bpermute_b32 v55, v36, v46
	v_pk_add_f32 v[6:7], v[10:11], v[6:7]
	s_waitcnt vmcnt(6)
	v_lshlrev_b32_e32 v54, 16, v52
	s_waitcnt lgkmcnt(2)
	v_sub_f32_e32 v51, v54, v51
	v_mul_f32_e32 v51, v51, v50
	s_waitcnt lgkmcnt(1)
	v_mul_f32_e32 v51, v51, v47
	ds_bpermute_b32 v47, v36, v45
	v_pk_add_f32 v[6:7], v[6:7], v[8:9]
	ds_bpermute_b32 v8, v38, v46
	v_pk_add_f32 v[6:7], v[6:7], v[12:13]
	s_waitcnt vmcnt(5)
	v_lshlrev_b32_e32 v52, 16, v53
	v_pk_add_f32 v[6:7], v[6:7], v[14:15]
	ds_bpermute_b32 v9, v38, v45
	s_waitcnt vmcnt(4)
	v_lshlrev_b32_e32 v53, 16, v57
	s_waitcnt lgkmcnt(3)
	v_sub_f32_e32 v53, v53, v55
	ds_bpermute_b32 v55, v37, v46
	v_mul_f32_e32 v53, v53, v52
	s_waitcnt lgkmcnt(3)
	v_mul_f32_e32 v53, v53, v47
	ds_bpermute_b32 v47, v37, v45
	v_add_co_u32_e32 v2, vcc, s24, v2
	v_pk_add_f32 v[6:7], v[6:7], v[16:17]
	v_addc_co_u32_e32 v3, vcc, v3, v42, vcc
	s_waitcnt vmcnt(2)
	v_lshlrev_b32_e32 v57, 16, v64
	s_waitcnt vmcnt(0)
	v_lshlrev_b32_e32 v58, 16, v66
	v_pk_add_f32 v[6:7], v[6:7], v[18:19]
	v_add_co_u32_e32 v0, vcc, s4, v0
	v_lshlrev_b32_e32 v54, 16, v63
	v_lshlrev_b32_e32 v56, 16, v65
	s_waitcnt lgkmcnt(1)
	v_sub_f32_e32 v55, v57, v55
	v_pk_add_f32 v[6:7], v[6:7], v[48:49]
	v_sub_f32_e32 v8, v58, v8
	v_addc_co_u32_e32 v1, vcc, v1, v43, vcc
	v_mul_f32_e32 v55, v55, v54
	v_pk_add_f32 v[6:7], v[6:7], v[50:51]
	v_mul_f32_e32 v8, v8, v56
	v_add_co_u32_e32 v4, vcc, s26, v4
	s_waitcnt lgkmcnt(0)
	v_mul_f32_e32 v55, v55, v47
	v_pk_add_f32 v[6:7], v[6:7], v[52:53]
	v_mul_f32_e32 v57, v8, v9
	v_addc_co_u32_e32 v5, vcc, v5, v44, vcc
	v_pk_mov_b32 v[8:9], s[20:21], s[20:21] op_sel:[0,1]
	v_pk_add_f32 v[6:7], v[6:7], v[54:55]
	v_cmp_lt_i64_e32 vcc, s[2:3], v[8:9]
	v_pk_add_f32 v[6:7], v[6:7], v[56:57]
	s_cbranch_vccz .LBB104_10
.LBB104_7:                              ; =>This Inner Loop Header: Depth=1
	v_mov_b32_e32 v45, 0
	v_mov_b32_e32 v46, 0
	s_and_saveexec_b64 s[28:29], s[0:1]
	s_cbranch_execz .LBB104_6
; %bb.8:                                ;   in Loop: Header=BB104_7 Depth=1
	v_cmp_gt_i64_e32 vcc, s[20:21], v[0:1]
	v_mov_b32_e32 v46, 0
	v_mov_b32_e32 v45, 0
	s_and_saveexec_b64 s[30:31], vcc
	s_cbranch_execz .LBB104_5
; %bb.9:                                ;   in Loop: Header=BB104_7 Depth=1
	v_mov_b32_e32 v9, s15
	v_add_co_u32_e32 v8, vcc, s14, v2
	v_addc_co_u32_e32 v9, vcc, v9, v3, vcc
	v_mov_b32_e32 v11, s13
	v_add_co_u32_e32 v10, vcc, s12, v2
	v_addc_co_u32_e32 v11, vcc, v11, v3, vcc
	global_load_dword v46, v[10:11], off
	global_load_dword v45, v[8:9], off
	s_branch .LBB104_5
.LBB104_10:
	v_mov_b32_e32 v4, v22
.LBB104_11:
	s_movk_i32 s0, 0x41
	v_mad_u32_u24 v0, v4, s0, v20
	v_lshl_add_u32 v0, v0, 2, 0
	v_lshrrev_b32_e32 v5, 6, v20
	ds_write_b32 v0, v7
	ds_write_b32 v0, v6 offset:4160
	v_add_u32_e32 v0, v5, v4
	s_mov_b32 s7, 0
	v_cmp_gt_u32_e32 vcc, 64, v0
	s_waitcnt lgkmcnt(0)
	s_barrier
	s_and_saveexec_b64 s[0:1], vcc
	s_cbranch_execz .LBB104_21
; %bb.12:
	v_and_b32_e32 v1, 63, v20
	v_cmp_gt_u32_e64 s[0:1], 16, v1
	v_mul_u32_u24_e32 v11, 0x41, v1
	v_mbcnt_hi_u32_b32 v1, -1, v21
	v_and_b32_e32 v2, 64, v1
	v_add_u32_e32 v2, 64, v2
	v_xor_b32_e32 v3, 8, v1
	v_cmp_lt_i32_e32 vcc, v3, v2
	v_cndmask_b32_e32 v3, v1, v3, vcc
	v_lshlrev_b32_e32 v6, 2, v3
	v_xor_b32_e32 v3, 4, v1
	v_cmp_lt_i32_e32 vcc, v3, v2
	v_cndmask_b32_e32 v3, v1, v3, vcc
	v_lshlrev_b32_e32 v7, 2, v3
	;; [unrolled: 4-line block ×3, first 2 shown]
	v_xor_b32_e32 v3, 1, v1
	s_lshl_b64 s[4:5], s[6:7], 6
	v_cmp_lt_i32_e32 vcc, v3, v2
	v_cndmask_b32_e32 v1, v1, v3, vcc
	v_add_u32_e32 v10, -16, v0
	v_or_b32_e32 v0, s4, v5
	v_lshlrev_b32_e32 v9, 2, v1
	v_mov_b32_e32 v1, s5
	v_add_co_u32_e32 v0, vcc, v0, v4
	v_addc_co_u32_e32 v1, vcc, 0, v1, vcc
	s_cmp_lg_u64 s[16:17], 0
	v_lshlrev_b64 v[2:3], 1, v[0:1]
	s_cselect_b64 s[6:7], -1, 0
	s_cmp_lg_u64 s[18:19], 0
	v_mov_b32_e32 v1, s19
	v_add_co_u32_e32 v0, vcc, s18, v2
	v_add3_u32 v4, v11, v4, v5
	v_addc_co_u32_e32 v1, vcc, v1, v3, vcc
	v_lshl_add_u32 v11, v4, 2, 0
	v_cndmask_b32_e64 v4, 0, 1, s[6:7]
	s_cselect_b64 s[6:7], -1, 0
	v_mov_b32_e32 v12, s17
	v_add_co_u32_e32 v2, vcc, s16, v2
	v_cmp_ne_u32_e64 s[4:5], 1, v4
	v_cndmask_b32_e64 v4, 0, 1, s[6:7]
	v_cmp_eq_u32_e64 s[2:3], 0, v20
	s_mov_b64 s[8:9], 0
	v_addc_co_u32_e32 v3, vcc, v12, v3, vcc
	s_movk_i32 s12, 0x7fff
	v_cmp_ne_u32_e64 s[6:7], 1, v4
	v_mov_b32_e32 v12, 0x7fc0
                                        ; implicit-def: $vgpr4
	s_branch .LBB104_14
.LBB104_13:                             ;   in Loop: Header=BB104_14 Depth=1
	s_or_b64 exec, exec, s[10:11]
	v_add_co_u32_e32 v0, vcc, 32, v0
	v_addc_co_u32_e32 v1, vcc, 0, v1, vcc
	v_add_co_u32_e32 v2, vcc, 32, v2
	v_add_u32_e32 v10, 16, v10
	v_addc_co_u32_e32 v3, vcc, 0, v3, vcc
	v_cmp_lt_u32_e32 vcc, 47, v10
	s_or_b64 s[8:9], vcc, s[8:9]
	v_add_u32_e32 v11, 64, v11
	s_andn2_b64 exec, exec, s[8:9]
	s_cbranch_execz .LBB104_21
.LBB104_14:                             ; =>This Inner Loop Header: Depth=1
	s_and_saveexec_b64 s[10:11], s[0:1]
	s_cbranch_execz .LBB104_16
; %bb.15:                               ;   in Loop: Header=BB104_14 Depth=1
	ds_read_b32 v5, v11
	ds_read_b32 v4, v11 offset:4160
.LBB104_16:                             ;   in Loop: Header=BB104_14 Depth=1
	s_or_b64 exec, exec, s[10:11]
	s_waitcnt lgkmcnt(1)
	ds_bpermute_b32 v15, v6, v5
	s_waitcnt lgkmcnt(1)
	ds_bpermute_b32 v14, v6, v4
	s_waitcnt lgkmcnt(0)
	v_pk_add_f32 v[4:5], v[4:5], v[14:15]
	ds_bpermute_b32 v15, v7, v5
	ds_bpermute_b32 v14, v7, v4
	s_waitcnt lgkmcnt(0)
	v_pk_add_f32 v[4:5], v[4:5], v[14:15]
	ds_bpermute_b32 v15, v8, v5
	;; [unrolled: 4-line block ×3, first 2 shown]
	ds_bpermute_b32 v14, v9, v4
	s_waitcnt lgkmcnt(0)
	v_pk_add_f32 v[4:5], v[4:5], v[14:15]
	s_and_saveexec_b64 s[10:11], s[2:3]
	s_cbranch_execz .LBB104_13
; %bb.17:                               ;   in Loop: Header=BB104_14 Depth=1
	s_and_b64 vcc, exec, s[4:5]
	s_cbranch_vccnz .LBB104_19
; %bb.18:                               ;   in Loop: Header=BB104_14 Depth=1
	v_bfe_u32 v13, v5, 16, 1
	v_add3_u32 v13, v5, v13, s12
	v_lshrrev_b32_e32 v13, 16, v13
	v_cmp_o_f32_e32 vcc, v5, v5
	v_cndmask_b32_e32 v13, v12, v13, vcc
	global_store_short v[2:3], v13, off
.LBB104_19:                             ;   in Loop: Header=BB104_14 Depth=1
	s_and_b64 vcc, exec, s[6:7]
	s_cbranch_vccnz .LBB104_13
; %bb.20:                               ;   in Loop: Header=BB104_14 Depth=1
	v_bfe_u32 v13, v4, 16, 1
	v_add3_u32 v13, v4, v13, s12
	v_lshrrev_b32_e32 v13, 16, v13
	v_cmp_o_f32_e32 vcc, v4, v4
	v_cndmask_b32_e32 v13, v12, v13, vcc
	global_store_short v[0:1], v13, off
	s_branch .LBB104_13
.LBB104_21:
	s_endpgm
	.section	.rodata,"a",@progbits
	.p2align	6, 0x0
	.amdhsa_kernel _ZN2at6native12_GLOBAL__N_135GammaBetaBackwardCUDAKernelTemplateIN3c108BFloat16EfLj64ELj16ELj256ELb0ELb1ELb0EEEvllPKT_S7_PKT0_SA_PS5_SB_
		.amdhsa_group_segment_fixed_size 0
		.amdhsa_private_segment_fixed_size 0
		.amdhsa_kernarg_size 320
		.amdhsa_user_sgpr_count 6
		.amdhsa_user_sgpr_private_segment_buffer 1
		.amdhsa_user_sgpr_dispatch_ptr 0
		.amdhsa_user_sgpr_queue_ptr 0
		.amdhsa_user_sgpr_kernarg_segment_ptr 1
		.amdhsa_user_sgpr_dispatch_id 0
		.amdhsa_user_sgpr_flat_scratch_init 0
		.amdhsa_user_sgpr_kernarg_preload_length 0
		.amdhsa_user_sgpr_kernarg_preload_offset 0
		.amdhsa_user_sgpr_private_segment_size 0
		.amdhsa_uses_dynamic_stack 0
		.amdhsa_system_sgpr_private_segment_wavefront_offset 0
		.amdhsa_system_sgpr_workgroup_id_x 1
		.amdhsa_system_sgpr_workgroup_id_y 1
		.amdhsa_system_sgpr_workgroup_id_z 0
		.amdhsa_system_sgpr_workgroup_info 0
		.amdhsa_system_vgpr_workitem_id 1
		.amdhsa_next_free_vgpr 67
		.amdhsa_next_free_sgpr 32
		.amdhsa_accum_offset 68
		.amdhsa_reserve_vcc 1
		.amdhsa_reserve_flat_scratch 0
		.amdhsa_float_round_mode_32 0
		.amdhsa_float_round_mode_16_64 0
		.amdhsa_float_denorm_mode_32 3
		.amdhsa_float_denorm_mode_16_64 3
		.amdhsa_dx10_clamp 1
		.amdhsa_ieee_mode 1
		.amdhsa_fp16_overflow 0
		.amdhsa_tg_split 0
		.amdhsa_exception_fp_ieee_invalid_op 0
		.amdhsa_exception_fp_denorm_src 0
		.amdhsa_exception_fp_ieee_div_zero 0
		.amdhsa_exception_fp_ieee_overflow 0
		.amdhsa_exception_fp_ieee_underflow 0
		.amdhsa_exception_fp_ieee_inexact 0
		.amdhsa_exception_int_div_zero 0
	.end_amdhsa_kernel
	.section	.text._ZN2at6native12_GLOBAL__N_135GammaBetaBackwardCUDAKernelTemplateIN3c108BFloat16EfLj64ELj16ELj256ELb0ELb1ELb0EEEvllPKT_S7_PKT0_SA_PS5_SB_,"axG",@progbits,_ZN2at6native12_GLOBAL__N_135GammaBetaBackwardCUDAKernelTemplateIN3c108BFloat16EfLj64ELj16ELj256ELb0ELb1ELb0EEEvllPKT_S7_PKT0_SA_PS5_SB_,comdat
.Lfunc_end104:
	.size	_ZN2at6native12_GLOBAL__N_135GammaBetaBackwardCUDAKernelTemplateIN3c108BFloat16EfLj64ELj16ELj256ELb0ELb1ELb0EEEvllPKT_S7_PKT0_SA_PS5_SB_, .Lfunc_end104-_ZN2at6native12_GLOBAL__N_135GammaBetaBackwardCUDAKernelTemplateIN3c108BFloat16EfLj64ELj16ELj256ELb0ELb1ELb0EEEvllPKT_S7_PKT0_SA_PS5_SB_
                                        ; -- End function
	.section	.AMDGPU.csdata,"",@progbits
; Kernel info:
; codeLenInByte = 2596
; NumSgprs: 36
; NumVgprs: 67
; NumAgprs: 0
; TotalNumVgprs: 67
; ScratchSize: 0
; MemoryBound: 0
; FloatMode: 240
; IeeeMode: 1
; LDSByteSize: 0 bytes/workgroup (compile time only)
; SGPRBlocks: 4
; VGPRBlocks: 8
; NumSGPRsForWavesPerEU: 36
; NumVGPRsForWavesPerEU: 67
; AccumOffset: 68
; Occupancy: 7
; WaveLimiterHint : 0
; COMPUTE_PGM_RSRC2:SCRATCH_EN: 0
; COMPUTE_PGM_RSRC2:USER_SGPR: 6
; COMPUTE_PGM_RSRC2:TRAP_HANDLER: 0
; COMPUTE_PGM_RSRC2:TGID_X_EN: 1
; COMPUTE_PGM_RSRC2:TGID_Y_EN: 1
; COMPUTE_PGM_RSRC2:TGID_Z_EN: 0
; COMPUTE_PGM_RSRC2:TIDIG_COMP_CNT: 1
; COMPUTE_PGM_RSRC3_GFX90A:ACCUM_OFFSET: 16
; COMPUTE_PGM_RSRC3_GFX90A:TG_SPLIT: 0
	.section	.text._ZN2at6native12_GLOBAL__N_135GammaBetaBackwardCUDAKernelTemplateIN3c108BFloat16EfLj64ELj16ELj256ELb0ELb0ELb0EEEvllPKT_S7_PKT0_SA_PS5_SB_,"axG",@progbits,_ZN2at6native12_GLOBAL__N_135GammaBetaBackwardCUDAKernelTemplateIN3c108BFloat16EfLj64ELj16ELj256ELb0ELb0ELb0EEEvllPKT_S7_PKT0_SA_PS5_SB_,comdat
	.globl	_ZN2at6native12_GLOBAL__N_135GammaBetaBackwardCUDAKernelTemplateIN3c108BFloat16EfLj64ELj16ELj256ELb0ELb0ELb0EEEvllPKT_S7_PKT0_SA_PS5_SB_ ; -- Begin function _ZN2at6native12_GLOBAL__N_135GammaBetaBackwardCUDAKernelTemplateIN3c108BFloat16EfLj64ELj16ELj256ELb0ELb0ELb0EEEvllPKT_S7_PKT0_SA_PS5_SB_
	.p2align	8
	.type	_ZN2at6native12_GLOBAL__N_135GammaBetaBackwardCUDAKernelTemplateIN3c108BFloat16EfLj64ELj16ELj256ELb0ELb0ELb0EEEvllPKT_S7_PKT0_SA_PS5_SB_,@function
_ZN2at6native12_GLOBAL__N_135GammaBetaBackwardCUDAKernelTemplateIN3c108BFloat16EfLj64ELj16ELj256ELb0ELb0ELb0EEEvllPKT_S7_PKT0_SA_PS5_SB_: ; @_ZN2at6native12_GLOBAL__N_135GammaBetaBackwardCUDAKernelTemplateIN3c108BFloat16EfLj64ELj16ELj256ELb0ELb0ELb0EEEvllPKT_S7_PKT0_SA_PS5_SB_
; %bb.0:
	s_mov_b64 s[54:55], s[2:3]
	s_load_dwordx8 s[36:43], s[4:5], 0x0
	s_load_dwordx4 s[28:31], s[4:5], 0x20
	s_mov_b64 s[52:53], s[0:1]
	s_add_u32 s52, s52, s8
	s_addc_u32 s53, s53, 0
	s_lshl_b32 s33, s6, 6
	s_mov_b32 s12, 0
	v_mov_b32_e32 v122, v0
	s_or_b32 s0, s33, 63
	s_mov_b32 s1, s12
	s_waitcnt lgkmcnt(0)
	v_pk_mov_b32 v[0:1], s[38:39], s[38:39] op_sel:[0,1]
	v_cmp_ge_i64_e32 vcc, s[0:1], v[0:1]
	s_lshl_b32 s34, s7, 8
	s_mov_b32 s35, s12
	v_pk_mov_b32 v[0:1], s[36:37], s[36:37] op_sel:[0,1]
	v_cmp_lt_i64_e64 s[0:1], s[34:35], v[0:1]
	v_cndmask_b32_e64 v0, 0, 1, s[0:1]
	v_cmp_ne_u32_e64 s[0:1], 1, v0
	s_cbranch_vccz .LBB105_80
; %bb.1:
	v_mov_b32_e32 v125, 0
	s_and_b64 vcc, exec, s[0:1]
	v_mov_b32_e32 v124, v125
	s_cbranch_vccnz .LBB105_81
; %bb.2:
	v_bfe_u32 v0, v122, 10, 10
	v_lshlrev_b32_e32 v50, 4, v0
	v_mov_b32_e32 v1, s35
	v_add_co_u32_e32 v2, vcc, s34, v50
	v_addc_co_u32_e32 v8, vcc, 0, v1, vcc
	v_add_co_u32_e32 v1, vcc, 15, v2
	v_addc_co_u32_e32 v3, vcc, 0, v8, vcc
	v_mul_lo_u32 v6, s39, v1
	v_mul_lo_u32 v3, s38, v3
	v_mad_u64_u32 v[4:5], s[2:3], s38, v1, 0
	v_add3_u32 v5, v5, v3, v6
	v_lshlrev_b64 v[6:7], 1, v[4:5]
	v_mov_b32_e32 v3, s41
	v_add_co_u32_e32 v52, vcc, s40, v6
	v_addc_co_u32_e32 v1, vcc, v3, v7, vcc
	v_mov_b32_e32 v4, s43
	v_add_co_u32_e32 v54, vcc, s42, v6
	v_addc_co_u32_e32 v51, vcc, v4, v7, vcc
	v_add_co_u32_e32 v5, vcc, 14, v2
	v_addc_co_u32_e32 v6, vcc, 0, v8, vcc
	v_mul_lo_u32 v9, s39, v5
	v_mul_lo_u32 v10, s38, v6
	v_mad_u64_u32 v[6:7], s[2:3], s38, v5, 0
	v_add3_u32 v7, v7, v10, v9
	v_lshlrev_b64 v[6:7], 1, v[6:7]
	v_add_co_u32_e32 v56, vcc, s40, v6
	v_addc_co_u32_e32 v53, vcc, v3, v7, vcc
	v_add_co_u32_e32 v58, vcc, s42, v6
	v_addc_co_u32_e32 v55, vcc, v4, v7, vcc
	v_add_co_u32_e32 v5, vcc, 13, v2
	v_addc_co_u32_e32 v6, vcc, 0, v8, vcc
	v_mul_lo_u32 v9, s39, v5
	v_mul_lo_u32 v10, s38, v6
	v_mad_u64_u32 v[6:7], s[2:3], s38, v5, 0
	v_add3_u32 v7, v7, v10, v9
	v_lshlrev_b64 v[6:7], 1, v[6:7]
	v_add_co_u32_e32 v60, vcc, s40, v6
	v_addc_co_u32_e32 v57, vcc, v3, v7, vcc
	;; [unrolled: 11-line block ×13, first 2 shown]
	v_add_co_u32_e32 v106, vcc, s42, v6
	v_addc_co_u32_e32 v103, vcc, v4, v7, vcc
	v_pk_mov_b32 v[6:7], s[38:39], s[38:39] op_sel:[0,1]
	v_mad_u64_u32 v[6:7], s[2:3], s38, v2, v[6:7]
	v_mul_lo_u32 v5, s38, v8
	v_mul_lo_u32 v10, s39, v2
	v_add3_u32 v7, v10, v7, v5
	v_lshlrev_b64 v[6:7], 1, v[6:7]
	v_add_co_u32_e32 v108, vcc, s40, v6
	s_load_dword s7, s[4:5], 0x44
	v_mad_u64_u32 v[8:9], s[2:3], s38, v2, 0
	v_addc_co_u32_e32 v105, vcc, v3, v7, vcc
	v_add3_u32 v9, v9, v5, v10
	v_add_co_u32_e32 v110, vcc, s42, v6
	v_addc_co_u32_e32 v107, vcc, v4, v7, vcc
	v_lshlrev_b64 v[6:7], 1, v[8:9]
	v_add_co_u32_e32 v112, vcc, s40, v6
	s_add_u32 s10, s4, 64
	v_addc_co_u32_e32 v109, vcc, v3, v7, vcc
	s_addc_u32 s11, s5, 0
	s_waitcnt lgkmcnt(0)
	s_lshl_b32 s7, s7, 8
	v_add_co_u32_e32 v114, vcc, s42, v6
	s_mul_i32 s8, s39, s7
	s_mul_hi_u32 s9, s38, s7
	v_addc_co_u32_e32 v111, vcc, v4, v7, vcc
	s_add_i32 s9, s9, s8
	s_mul_i32 s8, s38, s7
	v_mbcnt_lo_u32_b32 v4, -1, 0
	v_and_b32_e32 v113, 0x3ff, v122
	s_lshl_b64 s[44:45], s[8:9], 1
	v_mbcnt_hi_u32_b32 v4, -1, v4
	v_add_u32_e32 v2, s33, v113
	v_mov_b32_e32 v3, 0
	s_add_u32 s46, s34, 0xff
	v_lshlrev_b32_e32 v4, 2, v4
	v_cmp_gt_i64_e64 s[2:3], s[38:39], v[2:3]
	s_addc_u32 s47, 0, 0
	v_and_b32_e32 v115, 0x100, v4
	s_mov_b64 s[48:49], s[34:35]
	v_mov_b32_e32 v124, v3
	v_mov_b32_e32 v125, v3
	v_lshlrev_b64 v[116:117], 1, v[2:3]
	s_branch .LBB105_5
.LBB105_3:                              ;   in Loop: Header=BB105_5 Depth=1
	s_or_b64 exec, exec, s[8:9]
	s_waitcnt vmcnt(1)
	ds_bpermute_b32 v2, v115, v121
	ds_bpermute_b32 v4, v115, v121 offset:4
	s_waitcnt vmcnt(0)
	ds_bpermute_b32 v5, v115, v120
	ds_bpermute_b32 v6, v115, v120 offset:4
	ds_bpermute_b32 v8, v115, v120 offset:12
	s_waitcnt lgkmcnt(4)
	v_sub_f32_e32 v2, v18, v2
	v_mul_f32_e32 v2, v34, v2
	s_waitcnt lgkmcnt(3)
	v_sub_f32_e32 v4, v19, v4
	s_waitcnt lgkmcnt(2)
	v_mul_f32_e32 v5, v2, v5
	ds_bpermute_b32 v2, v115, v121 offset:8
	v_mul_f32_e32 v4, v35, v4
	s_waitcnt lgkmcnt(2)
	v_mul_f32_e32 v7, v4, v6
	ds_bpermute_b32 v4, v115, v120 offset:8
	ds_bpermute_b32 v6, v115, v121 offset:12
	s_waitcnt lgkmcnt(2)
	v_sub_f32_e32 v2, v20, v2
	v_mul_f32_e32 v2, v36, v2
	v_mov_b32_e32 v10, v37
	s_waitcnt lgkmcnt(1)
	v_mul_f32_e32 v9, v2, v4
	s_waitcnt lgkmcnt(0)
	v_sub_f32_e32 v2, v21, v6
	ds_bpermute_b32 v4, v115, v121 offset:16
	v_mul_f32_e32 v2, v37, v2
	v_mul_f32_e32 v11, v2, v8
	ds_bpermute_b32 v2, v115, v120 offset:16
	ds_bpermute_b32 v6, v115, v121 offset:20
	;; [unrolled: 1-line block ×3, first 2 shown]
	s_waitcnt lgkmcnt(3)
	v_sub_f32_e32 v4, v22, v4
	v_mul_f32_e32 v4, v38, v4
	s_waitcnt lgkmcnt(2)
	v_mul_f32_e32 v13, v4, v2
	s_waitcnt lgkmcnt(1)
	v_sub_f32_e32 v2, v23, v6
	v_mul_f32_e32 v2, v39, v2
	v_mov_b32_e32 v4, v34
	s_waitcnt lgkmcnt(0)
	v_mul_f32_e32 v15, v2, v8
	v_pk_add_f32 v[4:5], v[124:125], v[4:5]
	v_mov_b32_e32 v6, v35
	ds_bpermute_b32 v2, v115, v121 offset:24
	v_pk_add_f32 v[4:5], v[6:7], v[4:5]
	v_mov_b32_e32 v8, v36
	v_pk_add_f32 v[4:5], v[8:9], v[4:5]
	ds_bpermute_b32 v6, v115, v120 offset:24
	ds_bpermute_b32 v8, v115, v121 offset:28
	;; [unrolled: 1-line block ×3, first 2 shown]
	s_waitcnt lgkmcnt(3)
	v_sub_f32_e32 v2, v24, v2
	v_mul_f32_e32 v2, v40, v2
	s_waitcnt lgkmcnt(2)
	v_mul_f32_e32 v7, v2, v6
	s_waitcnt lgkmcnt(1)
	v_sub_f32_e32 v2, v25, v8
	ds_bpermute_b32 v6, v115, v121 offset:32
	v_mul_f32_e32 v2, v41, v2
	s_waitcnt lgkmcnt(1)
	v_mul_f32_e32 v9, v2, v9
	ds_bpermute_b32 v2, v115, v120 offset:32
	ds_bpermute_b32 v8, v115, v121 offset:36
	v_pk_add_f32 v[4:5], v[10:11], v[4:5]
	ds_bpermute_b32 v10, v115, v120 offset:36
	s_waitcnt lgkmcnt(3)
	v_sub_f32_e32 v6, v26, v6
	v_mul_f32_e32 v6, v42, v6
	s_waitcnt lgkmcnt(2)
	v_mul_f32_e32 v11, v6, v2
	s_waitcnt lgkmcnt(1)
	v_sub_f32_e32 v2, v27, v8
	ds_bpermute_b32 v6, v115, v121 offset:40
	v_mov_b32_e32 v12, v38
	v_mul_f32_e32 v2, v43, v2
	v_pk_add_f32 v[4:5], v[12:13], v[4:5]
	s_waitcnt lgkmcnt(1)
	v_mul_f32_e32 v13, v2, v10
	ds_bpermute_b32 v2, v115, v120 offset:40
	ds_bpermute_b32 v8, v115, v121 offset:44
	;; [unrolled: 1-line block ×3, first 2 shown]
	s_waitcnt lgkmcnt(3)
	v_sub_f32_e32 v6, v28, v6
	v_mov_b32_e32 v14, v39
	v_mul_f32_e32 v6, v44, v6
	v_pk_add_f32 v[4:5], v[14:15], v[4:5]
	s_waitcnt lgkmcnt(2)
	v_mul_f32_e32 v15, v6, v2
	s_waitcnt lgkmcnt(1)
	v_sub_f32_e32 v2, v29, v8
	ds_bpermute_b32 v6, v115, v121 offset:48
	v_mul_f32_e32 v2, v45, v2
	s_waitcnt lgkmcnt(1)
	v_mul_f32_e32 v17, v2, v10
	ds_bpermute_b32 v2, v115, v120 offset:48
	ds_bpermute_b32 v8, v115, v121 offset:52
	;; [unrolled: 1-line block ×3, first 2 shown]
	s_waitcnt lgkmcnt(3)
	v_sub_f32_e32 v6, v30, v6
	v_mul_f32_e32 v6, v46, v6
	s_waitcnt lgkmcnt(2)
	v_mul_f32_e32 v19, v6, v2
	s_waitcnt lgkmcnt(1)
	v_sub_f32_e32 v2, v31, v8
	v_mul_f32_e32 v2, v47, v2
	v_mov_b32_e32 v6, v40
	s_waitcnt lgkmcnt(0)
	v_mul_f32_e32 v21, v2, v10
	v_pk_add_f32 v[4:5], v[6:7], v[4:5]
	v_mov_b32_e32 v8, v41
	ds_bpermute_b32 v2, v115, v121 offset:56
	v_pk_add_f32 v[4:5], v[8:9], v[4:5]
	v_mov_b32_e32 v10, v42
	v_pk_add_f32 v[4:5], v[10:11], v[4:5]
	v_mov_b32_e32 v12, v43
	ds_bpermute_b32 v7, v115, v120 offset:56
	v_pk_add_f32 v[4:5], v[12:13], v[4:5]
	v_mov_b32_e32 v14, v44
	v_pk_add_f32 v[4:5], v[14:15], v[4:5]
	v_mov_b32_e32 v16, v45
	;; [unrolled: 2-line block ×3, first 2 shown]
	s_waitcnt lgkmcnt(1)
	v_sub_f32_e32 v8, v32, v2
	v_pk_add_f32 v[4:5], v[18:19], v[4:5]
	v_mov_b32_e32 v20, v47
	v_mul_f32_e32 v8, v48, v8
	v_pk_add_f32 v[4:5], v[20:21], v[4:5]
	s_waitcnt lgkmcnt(0)
	v_mul_f32_e32 v9, v8, v7
	v_mov_b32_e32 v8, v48
	ds_bpermute_b32 v2, v115, v120 offset:60
	ds_bpermute_b32 v6, v115, v121 offset:60
	v_pk_add_f32 v[4:5], v[8:9], v[4:5]
.LBB105_4:                              ;   in Loop: Header=BB105_5 Depth=1
	s_waitcnt lgkmcnt(0)
	v_sub_f32_e32 v6, v33, v6
	v_mul_f32_e32 v7, v49, v6
	v_mul_f32_e32 v7, v7, v2
	v_mov_b32_e32 v2, s45
	v_add_co_u32_e64 v52, s[8:9], s44, v52
	v_addc_co_u32_e64 v1, s[8:9], v1, v2, s[8:9]
	v_add_co_u32_e64 v54, s[8:9], s44, v54
	v_addc_co_u32_e64 v51, s[8:9], v51, v2, s[8:9]
	;; [unrolled: 2-line block ×30, first 2 shown]
	v_mov_b32_e32 v6, v49
	s_add_u32 s48, s48, s7
	v_add_co_u32_e64 v112, s[8:9], s44, v112
	v_pk_add_f32 v[124:125], v[4:5], v[6:7]
	s_addc_u32 s49, s49, 0
	v_pk_mov_b32 v[4:5], s[36:37], s[36:37] op_sel:[0,1]
	v_addc_co_u32_e64 v109, s[8:9], v109, v2, s[8:9]
	v_cmp_lt_i64_e32 vcc, s[48:49], v[4:5]
	v_add_co_u32_e64 v114, s[8:9], s44, v114
	s_add_u32 s46, s46, s7
	v_addc_co_u32_e64 v111, s[8:9], v111, v2, s[8:9]
	s_addc_u32 s47, s47, 0
	s_cbranch_vccz .LBB105_81
.LBB105_5:                              ; =>This Inner Loop Header: Depth=1
	v_pk_mov_b32 v[4:5], s[36:37], s[36:37] op_sel:[0,1]
	v_cmp_ge_i64_e32 vcc, s[46:47], v[4:5]
	v_mov_b32_e32 v2, s47
	v_add_co_u32_e64 v118, s[8:9], s46, v50
	v_addc_co_u32_e64 v119, s[8:9], 0, v2, s[8:9]
	s_cbranch_vccz .LBB105_43
; %bb.6:                                ;   in Loop: Header=BB105_5 Depth=1
	s_load_dword s8, s[10:11], 0xc
	v_mov_b32_e32 v120, 0
	v_mov_b32_e32 v121, 0
	s_waitcnt lgkmcnt(0)
	s_and_b32 s8, s8, 0xffff
	v_mad_u32_u24 v2, v0, s8, v113
	v_and_b32_e32 v2, 63, v2
	v_cmp_gt_u32_e32 vcc, 16, v2
	s_and_saveexec_b64 s[8:9], vcc
	s_cbranch_execz .LBB105_10
; %bb.7:                                ;   in Loop: Header=BB105_5 Depth=1
	v_add_co_u32_e32 v2, vcc, v118, v2
	v_addc_co_u32_e32 v5, vcc, 0, v119, vcc
	v_add_co_u32_e32 v4, vcc, 0xffffff01, v2
	v_addc_co_u32_e32 v5, vcc, -1, v5, vcc
	v_cmp_gt_i64_e32 vcc, s[36:37], v[4:5]
	v_mov_b32_e32 v121, 0
	v_mov_b32_e32 v120, 0
	s_and_saveexec_b64 s[14:15], vcc
	s_cbranch_execz .LBB105_9
; %bb.8:                                ;   in Loop: Header=BB105_5 Depth=1
	v_lshlrev_b64 v[4:5], 2, v[4:5]
	v_mov_b32_e32 v2, s31
	v_add_co_u32_e32 v6, vcc, s30, v4
	v_addc_co_u32_e32 v7, vcc, v2, v5, vcc
	v_mov_b32_e32 v2, s29
	v_add_co_u32_e32 v4, vcc, s28, v4
	v_addc_co_u32_e32 v5, vcc, v2, v5, vcc
	global_load_dword v121, v[4:5], off
	global_load_dword v120, v[6:7], off
.LBB105_9:                              ;   in Loop: Header=BB105_5 Depth=1
	s_or_b64 exec, exec, s[14:15]
.LBB105_10:                             ;   in Loop: Header=BB105_5 Depth=1
	s_or_b64 exec, exec, s[8:9]
	v_add_co_u32_e32 v4, vcc, 0xffffff01, v118
	s_mov_b32 s26, s12
	s_mov_b32 s27, s12
	v_addc_co_u32_e32 v5, vcc, -1, v119, vcc
	s_mov_b32 s13, s12
	s_mov_b32 s14, s12
	;; [unrolled: 1-line block ×13, first 2 shown]
	v_pk_mov_b32 v[32:33], s[26:27], s[26:27] op_sel:[0,1]
	v_cmp_gt_i64_e32 vcc, s[36:37], v[4:5]
	v_pk_mov_b32 v[30:31], s[24:25], s[24:25] op_sel:[0,1]
	v_pk_mov_b32 v[28:29], s[22:23], s[22:23] op_sel:[0,1]
	;; [unrolled: 1-line block ×8, first 2 shown]
	s_and_b64 s[50:51], s[2:3], vcc
	v_pk_mov_b32 v[46:47], v[30:31], v[30:31] op_sel:[0,1]
	v_pk_mov_b32 v[44:45], v[28:29], v[28:29] op_sel:[0,1]
	;; [unrolled: 1-line block ×7, first 2 shown]
	s_and_saveexec_b64 s[8:9], s[50:51]
	s_cbranch_execz .LBB105_12
; %bb.11:                               ;   in Loop: Header=BB105_5 Depth=1
	v_add_co_u32_e32 v4, vcc, v112, v116
	v_addc_co_u32_e32 v5, vcc, v109, v117, vcc
	global_load_ushort v2, v[4:5], off
	v_add_co_u32_e32 v4, vcc, v114, v116
	v_addc_co_u32_e32 v5, vcc, v111, v117, vcc
	global_load_ushort v18, v[4:5], off
	v_mov_b32_e32 v16, v3
	v_mov_b32_e32 v17, v3
	;; [unrolled: 1-line block ×29, first 2 shown]
	s_waitcnt vmcnt(1)
	v_lshlrev_b32_e32 v2, 16, v2
	v_pk_mov_b32 v[48:49], v[16:17], v[16:17] op_sel:[0,1]
	v_pk_mov_b32 v[46:47], v[14:15], v[14:15] op_sel:[0,1]
	;; [unrolled: 1-line block ×4, first 2 shown]
	s_waitcnt vmcnt(0)
	v_lshlrev_b32_e32 v18, 16, v18
	v_pk_mov_b32 v[40:41], v[8:9], v[8:9] op_sel:[0,1]
	v_pk_mov_b32 v[38:39], v[6:7], v[6:7] op_sel:[0,1]
	;; [unrolled: 1-line block ×4, first 2 shown]
.LBB105_12:                             ;   in Loop: Header=BB105_5 Depth=1
	s_or_b64 exec, exec, s[8:9]
	v_add_co_u32_e32 v4, vcc, 0xffffff02, v118
	v_addc_co_u32_e32 v5, vcc, -1, v119, vcc
	v_cmp_gt_i64_e32 vcc, s[36:37], v[4:5]
	s_and_b64 s[14:15], s[2:3], vcc
	s_and_saveexec_b64 s[8:9], s[14:15]
	s_cbranch_execz .LBB105_14
; %bb.13:                               ;   in Loop: Header=BB105_5 Depth=1
	v_add_co_u32_e32 v4, vcc, v108, v116
	v_addc_co_u32_e32 v5, vcc, v105, v117, vcc
	global_load_ushort v2, v[4:5], off
	v_add_co_u32_e32 v4, vcc, v110, v116
	v_addc_co_u32_e32 v5, vcc, v107, v117, vcc
	global_load_ushort v4, v[4:5], off
	s_waitcnt vmcnt(1)
	v_lshlrev_b32_e32 v35, 16, v2
	s_waitcnt vmcnt(0)
	v_lshlrev_b32_e32 v19, 16, v4
.LBB105_14:                             ;   in Loop: Header=BB105_5 Depth=1
	s_or_b64 exec, exec, s[8:9]
	v_add_co_u32_e32 v4, vcc, 0xffffff03, v118
	v_addc_co_u32_e32 v5, vcc, -1, v119, vcc
	v_cmp_gt_i64_e32 vcc, s[36:37], v[4:5]
	s_and_b64 s[14:15], s[2:3], vcc
	s_and_saveexec_b64 s[8:9], s[14:15]
	s_cbranch_execz .LBB105_16
; %bb.15:                               ;   in Loop: Header=BB105_5 Depth=1
	v_add_co_u32_e32 v4, vcc, v104, v116
	v_addc_co_u32_e32 v5, vcc, v101, v117, vcc
	global_load_ushort v2, v[4:5], off
	v_add_co_u32_e32 v4, vcc, v106, v116
	v_addc_co_u32_e32 v5, vcc, v103, v117, vcc
	global_load_ushort v4, v[4:5], off
	s_waitcnt vmcnt(1)
	v_lshlrev_b32_e32 v36, 16, v2
	s_waitcnt vmcnt(0)
	v_lshlrev_b32_e32 v20, 16, v4
.LBB105_16:                             ;   in Loop: Header=BB105_5 Depth=1
	;; [unrolled: 19-line block ×15, first 2 shown]
	s_or_b64 exec, exec, s[8:9]
	s_waitcnt vmcnt(1)
	ds_bpermute_b32 v2, v115, v121
	ds_bpermute_b32 v4, v115, v121 offset:4
	s_waitcnt vmcnt(0)
	ds_bpermute_b32 v5, v115, v120
	ds_bpermute_b32 v6, v115, v120 offset:4
	ds_bpermute_b32 v8, v115, v120 offset:12
	s_waitcnt lgkmcnt(4)
	v_sub_f32_e32 v2, v18, v2
	v_mul_f32_e32 v2, v34, v2
	s_waitcnt lgkmcnt(3)
	v_sub_f32_e32 v4, v19, v4
	s_waitcnt lgkmcnt(2)
	v_mul_f32_e32 v5, v2, v5
	ds_bpermute_b32 v2, v115, v121 offset:8
	v_mul_f32_e32 v4, v35, v4
	s_waitcnt lgkmcnt(2)
	v_mul_f32_e32 v7, v4, v6
	ds_bpermute_b32 v4, v115, v120 offset:8
	ds_bpermute_b32 v6, v115, v121 offset:12
	s_waitcnt lgkmcnt(2)
	v_sub_f32_e32 v2, v20, v2
	v_mul_f32_e32 v2, v36, v2
	v_mov_b32_e32 v10, v37
	s_waitcnt lgkmcnt(1)
	v_mul_f32_e32 v9, v2, v4
	s_waitcnt lgkmcnt(0)
	v_sub_f32_e32 v2, v21, v6
	ds_bpermute_b32 v4, v115, v121 offset:16
	v_mul_f32_e32 v2, v37, v2
	v_mul_f32_e32 v11, v2, v8
	ds_bpermute_b32 v2, v115, v120 offset:16
	ds_bpermute_b32 v6, v115, v121 offset:20
	;; [unrolled: 1-line block ×3, first 2 shown]
	s_waitcnt lgkmcnt(3)
	v_sub_f32_e32 v4, v22, v4
	v_mul_f32_e32 v4, v38, v4
	s_waitcnt lgkmcnt(2)
	v_mul_f32_e32 v13, v4, v2
	s_waitcnt lgkmcnt(1)
	v_sub_f32_e32 v2, v23, v6
	v_mul_f32_e32 v2, v39, v2
	v_mov_b32_e32 v4, v34
	s_waitcnt lgkmcnt(0)
	v_mul_f32_e32 v15, v2, v8
	v_pk_add_f32 v[4:5], v[124:125], v[4:5]
	v_mov_b32_e32 v6, v35
	ds_bpermute_b32 v2, v115, v121 offset:24
	v_pk_add_f32 v[4:5], v[6:7], v[4:5]
	v_mov_b32_e32 v8, v36
	v_pk_add_f32 v[4:5], v[8:9], v[4:5]
	ds_bpermute_b32 v6, v115, v120 offset:24
	ds_bpermute_b32 v8, v115, v121 offset:28
	;; [unrolled: 1-line block ×3, first 2 shown]
	s_waitcnt lgkmcnt(3)
	v_sub_f32_e32 v2, v24, v2
	v_mul_f32_e32 v2, v40, v2
	s_waitcnt lgkmcnt(2)
	v_mul_f32_e32 v7, v2, v6
	s_waitcnt lgkmcnt(1)
	v_sub_f32_e32 v2, v25, v8
	ds_bpermute_b32 v6, v115, v121 offset:32
	v_mul_f32_e32 v2, v41, v2
	s_waitcnt lgkmcnt(1)
	v_mul_f32_e32 v9, v2, v9
	ds_bpermute_b32 v2, v115, v120 offset:32
	ds_bpermute_b32 v8, v115, v121 offset:36
	v_pk_add_f32 v[4:5], v[10:11], v[4:5]
	ds_bpermute_b32 v10, v115, v120 offset:36
	s_waitcnt lgkmcnt(3)
	v_sub_f32_e32 v6, v26, v6
	v_mul_f32_e32 v6, v42, v6
	s_waitcnt lgkmcnt(2)
	v_mul_f32_e32 v11, v6, v2
	s_waitcnt lgkmcnt(1)
	v_sub_f32_e32 v2, v27, v8
	ds_bpermute_b32 v6, v115, v121 offset:40
	v_mov_b32_e32 v12, v38
	v_mul_f32_e32 v2, v43, v2
	v_pk_add_f32 v[4:5], v[12:13], v[4:5]
	s_waitcnt lgkmcnt(1)
	v_mul_f32_e32 v13, v2, v10
	ds_bpermute_b32 v2, v115, v120 offset:40
	ds_bpermute_b32 v8, v115, v121 offset:44
	;; [unrolled: 1-line block ×3, first 2 shown]
	s_waitcnt lgkmcnt(3)
	v_sub_f32_e32 v6, v28, v6
	v_mov_b32_e32 v14, v39
	v_mul_f32_e32 v6, v44, v6
	v_pk_add_f32 v[4:5], v[14:15], v[4:5]
	s_waitcnt lgkmcnt(2)
	v_mul_f32_e32 v15, v6, v2
	s_waitcnt lgkmcnt(1)
	v_sub_f32_e32 v2, v29, v8
	ds_bpermute_b32 v6, v115, v121 offset:48
	v_mul_f32_e32 v2, v45, v2
	s_waitcnt lgkmcnt(1)
	v_mul_f32_e32 v17, v2, v10
	ds_bpermute_b32 v2, v115, v120 offset:48
	ds_bpermute_b32 v8, v115, v121 offset:52
	;; [unrolled: 1-line block ×3, first 2 shown]
	s_waitcnt lgkmcnt(3)
	v_sub_f32_e32 v6, v30, v6
	v_mul_f32_e32 v6, v46, v6
	s_waitcnt lgkmcnt(2)
	v_mul_f32_e32 v19, v6, v2
	s_waitcnt lgkmcnt(1)
	v_sub_f32_e32 v2, v31, v8
	v_mul_f32_e32 v2, v47, v2
	s_waitcnt lgkmcnt(0)
	v_mul_f32_e32 v21, v2, v10
	ds_bpermute_b32 v2, v115, v121 offset:56
	v_mov_b32_e32 v6, v40
	v_pk_add_f32 v[4:5], v[6:7], v[4:5]
	v_mov_b32_e32 v8, v41
	v_pk_add_f32 v[4:5], v[8:9], v[4:5]
	;; [unrolled: 2-line block ×3, first 2 shown]
	v_mov_b32_e32 v12, v43
	ds_bpermute_b32 v7, v115, v120 offset:56
	v_pk_add_f32 v[4:5], v[12:13], v[4:5]
	v_mov_b32_e32 v14, v44
	s_waitcnt lgkmcnt(1)
	v_sub_f32_e32 v2, v32, v2
	v_pk_add_f32 v[4:5], v[14:15], v[4:5]
	v_mov_b32_e32 v16, v45
	v_mul_f32_e32 v8, v48, v2
	ds_bpermute_b32 v2, v115, v120 offset:60
	ds_bpermute_b32 v6, v115, v121 offset:60
	v_pk_add_f32 v[4:5], v[16:17], v[4:5]
	v_mov_b32_e32 v18, v46
	v_pk_add_f32 v[4:5], v[18:19], v[4:5]
	v_mov_b32_e32 v20, v47
	v_pk_add_f32 v[4:5], v[20:21], v[4:5]
	s_waitcnt lgkmcnt(2)
	v_mul_f32_e32 v9, v8, v7
	v_mov_b32_e32 v8, v48
	v_pk_add_f32 v[4:5], v[8:9], v[4:5]
	s_branch .LBB105_4
.LBB105_43:                             ;   in Loop: Header=BB105_5 Depth=1
                                        ; implicit-def: $vgpr4_vgpr5
                                        ; implicit-def: $vgpr2
                                        ; implicit-def: $vgpr18_vgpr19_vgpr20_vgpr21_vgpr22_vgpr23_vgpr24_vgpr25_vgpr26_vgpr27_vgpr28_vgpr29_vgpr30_vgpr31_vgpr32_vgpr33
                                        ; implicit-def: $vgpr34_vgpr35_vgpr36_vgpr37_vgpr38_vgpr39_vgpr40_vgpr41_vgpr42_vgpr43_vgpr44_vgpr45_vgpr46_vgpr47_vgpr48_vgpr49
                                        ; implicit-def: $vgpr6
	s_cbranch_execz .LBB105_4
; %bb.44:                               ;   in Loop: Header=BB105_5 Depth=1
	s_load_dword s8, s[10:11], 0x0
	v_mov_b32_e32 v120, 0
	v_mov_b32_e32 v121, 0
	s_waitcnt lgkmcnt(0)
	s_cmp_lt_u32 s6, s8
	s_cselect_b32 s8, 12, 18
	s_add_u32 s8, s10, s8
	s_addc_u32 s9, s11, 0
	global_load_ushort v2, v3, s[8:9]
	s_waitcnt vmcnt(0)
	v_mad_u32_u24 v2, v0, v2, v113
	v_and_b32_e32 v2, 63, v2
	v_cmp_gt_u32_e32 vcc, 16, v2
	s_and_saveexec_b64 s[8:9], vcc
	s_cbranch_execz .LBB105_48
; %bb.45:                               ;   in Loop: Header=BB105_5 Depth=1
	v_add_co_u32_e32 v2, vcc, v118, v2
	v_addc_co_u32_e32 v5, vcc, 0, v119, vcc
	v_add_co_u32_e32 v4, vcc, 0xffffff01, v2
	v_addc_co_u32_e32 v5, vcc, -1, v5, vcc
	v_cmp_gt_i64_e32 vcc, s[36:37], v[4:5]
	v_mov_b32_e32 v121, 0
	v_mov_b32_e32 v120, 0
	s_and_saveexec_b64 s[14:15], vcc
	s_cbranch_execz .LBB105_47
; %bb.46:                               ;   in Loop: Header=BB105_5 Depth=1
	v_lshlrev_b64 v[4:5], 2, v[4:5]
	v_mov_b32_e32 v2, s31
	v_add_co_u32_e32 v6, vcc, s30, v4
	v_addc_co_u32_e32 v7, vcc, v2, v5, vcc
	v_mov_b32_e32 v2, s29
	v_add_co_u32_e32 v4, vcc, s28, v4
	v_addc_co_u32_e32 v5, vcc, v2, v5, vcc
	global_load_dword v121, v[4:5], off
	global_load_dword v120, v[6:7], off
.LBB105_47:                             ;   in Loop: Header=BB105_5 Depth=1
	s_or_b64 exec, exec, s[14:15]
.LBB105_48:                             ;   in Loop: Header=BB105_5 Depth=1
	s_or_b64 exec, exec, s[8:9]
	s_mov_b32 s26, s12
	s_mov_b32 s27, s12
	;; [unrolled: 1-line block ×15, first 2 shown]
	v_pk_mov_b32 v[32:33], s[26:27], s[26:27] op_sel:[0,1]
	v_pk_mov_b32 v[30:31], s[24:25], s[24:25] op_sel:[0,1]
	;; [unrolled: 1-line block ×16, first 2 shown]
	s_and_saveexec_b64 s[8:9], s[2:3]
	s_cbranch_execnz .LBB105_64
; %bb.49:                               ;   in Loop: Header=BB105_5 Depth=1
	s_or_b64 exec, exec, s[8:9]
	s_and_saveexec_b64 s[8:9], s[2:3]
	s_cbranch_execnz .LBB105_65
.LBB105_50:                             ;   in Loop: Header=BB105_5 Depth=1
	s_or_b64 exec, exec, s[8:9]
	s_and_saveexec_b64 s[8:9], s[2:3]
	s_cbranch_execnz .LBB105_66
.LBB105_51:                             ;   in Loop: Header=BB105_5 Depth=1
	s_or_b64 exec, exec, s[8:9]
	s_and_saveexec_b64 s[8:9], s[2:3]
	s_cbranch_execnz .LBB105_67
.LBB105_52:                             ;   in Loop: Header=BB105_5 Depth=1
	s_or_b64 exec, exec, s[8:9]
	s_and_saveexec_b64 s[8:9], s[2:3]
	s_cbranch_execnz .LBB105_68
.LBB105_53:                             ;   in Loop: Header=BB105_5 Depth=1
	s_or_b64 exec, exec, s[8:9]
	s_and_saveexec_b64 s[8:9], s[2:3]
	s_cbranch_execnz .LBB105_69
.LBB105_54:                             ;   in Loop: Header=BB105_5 Depth=1
	s_or_b64 exec, exec, s[8:9]
	s_and_saveexec_b64 s[8:9], s[2:3]
	s_cbranch_execnz .LBB105_70
.LBB105_55:                             ;   in Loop: Header=BB105_5 Depth=1
	s_or_b64 exec, exec, s[8:9]
	s_and_saveexec_b64 s[8:9], s[2:3]
	s_cbranch_execnz .LBB105_71
.LBB105_56:                             ;   in Loop: Header=BB105_5 Depth=1
	s_or_b64 exec, exec, s[8:9]
	s_and_saveexec_b64 s[8:9], s[2:3]
	s_cbranch_execnz .LBB105_72
.LBB105_57:                             ;   in Loop: Header=BB105_5 Depth=1
	s_or_b64 exec, exec, s[8:9]
	s_and_saveexec_b64 s[8:9], s[2:3]
	s_cbranch_execnz .LBB105_73
.LBB105_58:                             ;   in Loop: Header=BB105_5 Depth=1
	s_or_b64 exec, exec, s[8:9]
	s_and_saveexec_b64 s[8:9], s[2:3]
	s_cbranch_execnz .LBB105_74
.LBB105_59:                             ;   in Loop: Header=BB105_5 Depth=1
	s_or_b64 exec, exec, s[8:9]
	s_and_saveexec_b64 s[8:9], s[2:3]
	s_cbranch_execnz .LBB105_75
.LBB105_60:                             ;   in Loop: Header=BB105_5 Depth=1
	s_or_b64 exec, exec, s[8:9]
	s_and_saveexec_b64 s[8:9], s[2:3]
	s_cbranch_execnz .LBB105_76
.LBB105_61:                             ;   in Loop: Header=BB105_5 Depth=1
	s_or_b64 exec, exec, s[8:9]
	s_and_saveexec_b64 s[8:9], s[2:3]
	s_cbranch_execnz .LBB105_77
.LBB105_62:                             ;   in Loop: Header=BB105_5 Depth=1
	s_or_b64 exec, exec, s[8:9]
	s_and_saveexec_b64 s[8:9], s[2:3]
	s_cbranch_execnz .LBB105_78
.LBB105_63:                             ;   in Loop: Header=BB105_5 Depth=1
	s_or_b64 exec, exec, s[8:9]
	s_and_saveexec_b64 s[8:9], s[2:3]
	s_cbranch_execz .LBB105_3
	s_branch .LBB105_79
.LBB105_64:                             ;   in Loop: Header=BB105_5 Depth=1
	v_add_co_u32_e32 v4, vcc, v112, v116
	v_addc_co_u32_e32 v5, vcc, v109, v117, vcc
	global_load_ushort v2, v[4:5], off
	v_add_co_u32_e32 v4, vcc, v114, v116
	v_addc_co_u32_e32 v5, vcc, v111, v117, vcc
	global_load_ushort v18, v[4:5], off
	v_mov_b32_e32 v16, v3
	v_mov_b32_e32 v17, v3
	;; [unrolled: 1-line block ×29, first 2 shown]
	s_waitcnt vmcnt(1)
	v_lshlrev_b32_e32 v2, 16, v2
	v_pk_mov_b32 v[48:49], v[16:17], v[16:17] op_sel:[0,1]
	v_pk_mov_b32 v[46:47], v[14:15], v[14:15] op_sel:[0,1]
	;; [unrolled: 1-line block ×4, first 2 shown]
	s_waitcnt vmcnt(0)
	v_lshlrev_b32_e32 v18, 16, v18
	v_pk_mov_b32 v[40:41], v[8:9], v[8:9] op_sel:[0,1]
	v_pk_mov_b32 v[38:39], v[6:7], v[6:7] op_sel:[0,1]
	;; [unrolled: 1-line block ×4, first 2 shown]
	s_or_b64 exec, exec, s[8:9]
	s_and_saveexec_b64 s[8:9], s[2:3]
	s_cbranch_execz .LBB105_50
.LBB105_65:                             ;   in Loop: Header=BB105_5 Depth=1
	v_add_co_u32_e32 v4, vcc, v108, v116
	v_addc_co_u32_e32 v5, vcc, v105, v117, vcc
	global_load_ushort v2, v[4:5], off
	v_add_co_u32_e32 v4, vcc, v110, v116
	v_addc_co_u32_e32 v5, vcc, v107, v117, vcc
	global_load_ushort v4, v[4:5], off
	s_waitcnt vmcnt(1)
	v_lshlrev_b32_e32 v35, 16, v2
	s_waitcnt vmcnt(0)
	v_lshlrev_b32_e32 v19, 16, v4
	s_or_b64 exec, exec, s[8:9]
	s_and_saveexec_b64 s[8:9], s[2:3]
	s_cbranch_execz .LBB105_51
.LBB105_66:                             ;   in Loop: Header=BB105_5 Depth=1
	v_add_co_u32_e32 v4, vcc, v104, v116
	v_addc_co_u32_e32 v5, vcc, v101, v117, vcc
	global_load_ushort v2, v[4:5], off
	v_add_co_u32_e32 v4, vcc, v106, v116
	v_addc_co_u32_e32 v5, vcc, v103, v117, vcc
	global_load_ushort v4, v[4:5], off
	s_waitcnt vmcnt(1)
	v_lshlrev_b32_e32 v36, 16, v2
	s_waitcnt vmcnt(0)
	v_lshlrev_b32_e32 v20, 16, v4
	s_or_b64 exec, exec, s[8:9]
	s_and_saveexec_b64 s[8:9], s[2:3]
	s_cbranch_execz .LBB105_52
.LBB105_67:                             ;   in Loop: Header=BB105_5 Depth=1
	v_add_co_u32_e32 v4, vcc, v100, v116
	v_addc_co_u32_e32 v5, vcc, v97, v117, vcc
	global_load_ushort v2, v[4:5], off
	v_add_co_u32_e32 v4, vcc, v102, v116
	v_addc_co_u32_e32 v5, vcc, v99, v117, vcc
	global_load_ushort v4, v[4:5], off
	s_waitcnt vmcnt(1)
	v_lshlrev_b32_e32 v37, 16, v2
	s_waitcnt vmcnt(0)
	v_lshlrev_b32_e32 v21, 16, v4
	s_or_b64 exec, exec, s[8:9]
	s_and_saveexec_b64 s[8:9], s[2:3]
	s_cbranch_execz .LBB105_53
.LBB105_68:                             ;   in Loop: Header=BB105_5 Depth=1
	v_add_co_u32_e32 v4, vcc, v96, v116
	v_addc_co_u32_e32 v5, vcc, v93, v117, vcc
	global_load_ushort v2, v[4:5], off
	v_add_co_u32_e32 v4, vcc, v98, v116
	v_addc_co_u32_e32 v5, vcc, v95, v117, vcc
	global_load_ushort v4, v[4:5], off
	s_waitcnt vmcnt(1)
	v_lshlrev_b32_e32 v38, 16, v2
	s_waitcnt vmcnt(0)
	v_lshlrev_b32_e32 v22, 16, v4
	s_or_b64 exec, exec, s[8:9]
	s_and_saveexec_b64 s[8:9], s[2:3]
	s_cbranch_execz .LBB105_54
.LBB105_69:                             ;   in Loop: Header=BB105_5 Depth=1
	v_add_co_u32_e32 v4, vcc, v92, v116
	v_addc_co_u32_e32 v5, vcc, v89, v117, vcc
	global_load_ushort v2, v[4:5], off
	v_add_co_u32_e32 v4, vcc, v94, v116
	v_addc_co_u32_e32 v5, vcc, v91, v117, vcc
	global_load_ushort v4, v[4:5], off
	s_waitcnt vmcnt(1)
	v_lshlrev_b32_e32 v39, 16, v2
	s_waitcnt vmcnt(0)
	v_lshlrev_b32_e32 v23, 16, v4
	s_or_b64 exec, exec, s[8:9]
	s_and_saveexec_b64 s[8:9], s[2:3]
	s_cbranch_execz .LBB105_55
.LBB105_70:                             ;   in Loop: Header=BB105_5 Depth=1
	v_add_co_u32_e32 v4, vcc, v88, v116
	v_addc_co_u32_e32 v5, vcc, v85, v117, vcc
	global_load_ushort v2, v[4:5], off
	v_add_co_u32_e32 v4, vcc, v90, v116
	v_addc_co_u32_e32 v5, vcc, v87, v117, vcc
	global_load_ushort v4, v[4:5], off
	s_waitcnt vmcnt(1)
	v_lshlrev_b32_e32 v40, 16, v2
	s_waitcnt vmcnt(0)
	v_lshlrev_b32_e32 v24, 16, v4
	s_or_b64 exec, exec, s[8:9]
	s_and_saveexec_b64 s[8:9], s[2:3]
	s_cbranch_execz .LBB105_56
.LBB105_71:                             ;   in Loop: Header=BB105_5 Depth=1
	v_add_co_u32_e32 v4, vcc, v84, v116
	v_addc_co_u32_e32 v5, vcc, v81, v117, vcc
	global_load_ushort v2, v[4:5], off
	v_add_co_u32_e32 v4, vcc, v86, v116
	v_addc_co_u32_e32 v5, vcc, v83, v117, vcc
	global_load_ushort v4, v[4:5], off
	s_waitcnt vmcnt(1)
	v_lshlrev_b32_e32 v41, 16, v2
	s_waitcnt vmcnt(0)
	v_lshlrev_b32_e32 v25, 16, v4
	s_or_b64 exec, exec, s[8:9]
	s_and_saveexec_b64 s[8:9], s[2:3]
	s_cbranch_execz .LBB105_57
.LBB105_72:                             ;   in Loop: Header=BB105_5 Depth=1
	v_add_co_u32_e32 v4, vcc, v80, v116
	v_addc_co_u32_e32 v5, vcc, v77, v117, vcc
	global_load_ushort v2, v[4:5], off
	v_add_co_u32_e32 v4, vcc, v82, v116
	v_addc_co_u32_e32 v5, vcc, v79, v117, vcc
	global_load_ushort v4, v[4:5], off
	s_waitcnt vmcnt(1)
	v_lshlrev_b32_e32 v42, 16, v2
	s_waitcnt vmcnt(0)
	v_lshlrev_b32_e32 v26, 16, v4
	s_or_b64 exec, exec, s[8:9]
	s_and_saveexec_b64 s[8:9], s[2:3]
	s_cbranch_execz .LBB105_58
.LBB105_73:                             ;   in Loop: Header=BB105_5 Depth=1
	v_add_co_u32_e32 v4, vcc, v76, v116
	v_addc_co_u32_e32 v5, vcc, v73, v117, vcc
	global_load_ushort v2, v[4:5], off
	v_add_co_u32_e32 v4, vcc, v78, v116
	v_addc_co_u32_e32 v5, vcc, v75, v117, vcc
	global_load_ushort v4, v[4:5], off
	s_waitcnt vmcnt(1)
	v_lshlrev_b32_e32 v43, 16, v2
	s_waitcnt vmcnt(0)
	v_lshlrev_b32_e32 v27, 16, v4
	s_or_b64 exec, exec, s[8:9]
	s_and_saveexec_b64 s[8:9], s[2:3]
	s_cbranch_execz .LBB105_59
.LBB105_74:                             ;   in Loop: Header=BB105_5 Depth=1
	v_add_co_u32_e32 v4, vcc, v72, v116
	v_addc_co_u32_e32 v5, vcc, v69, v117, vcc
	global_load_ushort v2, v[4:5], off
	v_add_co_u32_e32 v4, vcc, v74, v116
	v_addc_co_u32_e32 v5, vcc, v71, v117, vcc
	global_load_ushort v4, v[4:5], off
	s_waitcnt vmcnt(1)
	v_lshlrev_b32_e32 v44, 16, v2
	s_waitcnt vmcnt(0)
	v_lshlrev_b32_e32 v28, 16, v4
	s_or_b64 exec, exec, s[8:9]
	s_and_saveexec_b64 s[8:9], s[2:3]
	s_cbranch_execz .LBB105_60
.LBB105_75:                             ;   in Loop: Header=BB105_5 Depth=1
	v_add_co_u32_e32 v4, vcc, v68, v116
	v_addc_co_u32_e32 v5, vcc, v65, v117, vcc
	global_load_ushort v2, v[4:5], off
	v_add_co_u32_e32 v4, vcc, v70, v116
	v_addc_co_u32_e32 v5, vcc, v67, v117, vcc
	global_load_ushort v4, v[4:5], off
	s_waitcnt vmcnt(1)
	v_lshlrev_b32_e32 v45, 16, v2
	s_waitcnt vmcnt(0)
	v_lshlrev_b32_e32 v29, 16, v4
	s_or_b64 exec, exec, s[8:9]
	s_and_saveexec_b64 s[8:9], s[2:3]
	s_cbranch_execz .LBB105_61
.LBB105_76:                             ;   in Loop: Header=BB105_5 Depth=1
	v_add_co_u32_e32 v4, vcc, v64, v116
	v_addc_co_u32_e32 v5, vcc, v61, v117, vcc
	global_load_ushort v2, v[4:5], off
	v_add_co_u32_e32 v4, vcc, v66, v116
	v_addc_co_u32_e32 v5, vcc, v63, v117, vcc
	global_load_ushort v4, v[4:5], off
	s_waitcnt vmcnt(1)
	v_lshlrev_b32_e32 v46, 16, v2
	s_waitcnt vmcnt(0)
	v_lshlrev_b32_e32 v30, 16, v4
	s_or_b64 exec, exec, s[8:9]
	s_and_saveexec_b64 s[8:9], s[2:3]
	s_cbranch_execz .LBB105_62
.LBB105_77:                             ;   in Loop: Header=BB105_5 Depth=1
	v_add_co_u32_e32 v4, vcc, v60, v116
	v_addc_co_u32_e32 v5, vcc, v57, v117, vcc
	global_load_ushort v2, v[4:5], off
	v_add_co_u32_e32 v4, vcc, v62, v116
	v_addc_co_u32_e32 v5, vcc, v59, v117, vcc
	global_load_ushort v4, v[4:5], off
	s_waitcnt vmcnt(1)
	v_lshlrev_b32_e32 v47, 16, v2
	s_waitcnt vmcnt(0)
	v_lshlrev_b32_e32 v31, 16, v4
	s_or_b64 exec, exec, s[8:9]
	s_and_saveexec_b64 s[8:9], s[2:3]
	s_cbranch_execz .LBB105_63
.LBB105_78:                             ;   in Loop: Header=BB105_5 Depth=1
	v_add_co_u32_e32 v4, vcc, v56, v116
	v_addc_co_u32_e32 v5, vcc, v53, v117, vcc
	global_load_ushort v2, v[4:5], off
	v_add_co_u32_e32 v4, vcc, v58, v116
	v_addc_co_u32_e32 v5, vcc, v55, v117, vcc
	global_load_ushort v4, v[4:5], off
	s_waitcnt vmcnt(1)
	v_lshlrev_b32_e32 v48, 16, v2
	s_waitcnt vmcnt(0)
	v_lshlrev_b32_e32 v32, 16, v4
	s_or_b64 exec, exec, s[8:9]
	s_and_saveexec_b64 s[8:9], s[2:3]
	s_cbranch_execz .LBB105_3
.LBB105_79:                             ;   in Loop: Header=BB105_5 Depth=1
	v_add_co_u32_e32 v4, vcc, v52, v116
	v_addc_co_u32_e32 v5, vcc, v1, v117, vcc
	global_load_ushort v2, v[4:5], off
	v_add_co_u32_e32 v4, vcc, v54, v116
	v_addc_co_u32_e32 v5, vcc, v51, v117, vcc
	global_load_ushort v4, v[4:5], off
	s_waitcnt vmcnt(1)
	v_lshlrev_b32_e32 v49, 16, v2
	s_waitcnt vmcnt(0)
	v_lshlrev_b32_e32 v33, 16, v4
	s_branch .LBB105_3
.LBB105_80:
                                        ; implicit-def: $vgpr125
	s_branch .LBB105_82
.LBB105_81:
	s_cbranch_execnz .LBB105_130
.LBB105_82:
	v_mov_b32_e32 v125, 0
	s_mov_b32 s8, 0
	s_and_b64 vcc, exec, s[0:1]
	v_mov_b32_e32 v124, v125
	s_cbranch_vccnz .LBB105_130
; %bb.83:
	s_load_dword s0, s[4:5], 0x44
	s_add_u32 s2, s4, 64
	s_addc_u32 s3, s5, 0
	v_bfe_u32 v36, v122, 10, 10
	v_lshlrev_b32_e32 v0, 5, v36
	s_waitcnt lgkmcnt(0)
	s_lshl_b32 s7, s0, 8
	s_add_u32 s24, s34, 0xff
	s_addc_u32 s25, 0, 0
	s_lshl_b64 s[0:1], s[34:35], 1
	v_mov_b32_e32 v1, s1
	v_add_co_u32_e32 v4, vcc, s0, v0
	v_addc_co_u32_e32 v5, vcc, 0, v1, vcc
	v_add_co_u32_e32 v6, vcc, 2, v4
	v_addc_co_u32_e32 v0, vcc, 0, v5, vcc
	v_add_co_u32_e32 v9, vcc, 4, v4
	v_mul_lo_u32 v7, s38, v0
	v_addc_co_u32_e32 v0, vcc, 0, v5, vcc
	v_add_co_u32_e32 v12, vcc, 6, v4
	v_mul_lo_u32 v10, s38, v0
	;; [unrolled: 3-line block ×9, first 2 shown]
	v_addc_co_u32_e32 v0, vcc, 0, v5, vcc
	v_pk_mov_b32 v[2:3], s[40:41], s[40:41] op_sel:[0,1]
	v_mul_lo_u32 v34, s38, v0
	v_pk_mov_b32 v[0:1], s[42:43], s[42:43] op_sel:[0,1]
	v_mad_u64_u32 v[50:51], s[0:1], s38, v6, v[2:3]
	v_mul_lo_u32 v8, s39, v6
	v_mad_u64_u32 v[70:71], s[0:1], s38, v6, v[0:1]
	v_add_co_u32_e32 v6, vcc, 22, v4
	v_add3_u32 v51, v8, v51, v7
	v_add3_u32 v71, v8, v71, v7
	v_addc_co_u32_e32 v7, vcc, 0, v5, vcc
	v_mad_u64_u32 v[52:53], s[0:1], s38, v9, v[2:3]
	v_mul_lo_u32 v11, s39, v9
	v_mad_u64_u32 v[72:73], s[0:1], s38, v9, v[0:1]
	v_add_co_u32_e32 v9, vcc, 24, v4
	v_add3_u32 v53, v11, v53, v10
	v_add3_u32 v73, v11, v73, v10
	v_addc_co_u32_e32 v10, vcc, 0, v5, vcc
	v_mad_u64_u32 v[76:77], s[0:1], s38, v6, v[2:3]
	v_mul_lo_u32 v7, s38, v7
	v_mul_lo_u32 v8, s39, v6
	v_mad_u64_u32 v[94:95], s[0:1], s38, v6, v[0:1]
	v_add_co_u32_e32 v6, vcc, 26, v4
	v_add3_u32 v77, v8, v77, v7
	v_add3_u32 v95, v8, v95, v7
	v_addc_co_u32_e32 v7, vcc, 0, v5, vcc
	v_mad_u64_u32 v[98:99], s[0:1], s38, v6, v[2:3]
	v_mul_lo_u32 v7, s38, v7
	v_mul_lo_u32 v8, s39, v6
	v_mad_u64_u32 v[100:101], s[0:1], s38, v6, v[0:1]
	v_add_co_u32_e32 v6, vcc, 28, v4
	v_add3_u32 v99, v8, v99, v7
	v_add3_u32 v101, v8, v101, v7
	v_addc_co_u32_e32 v7, vcc, 0, v5, vcc
	v_add_co_u32_e32 v4, vcc, 30, v4
	v_addc_co_u32_e32 v5, vcc, 0, v5, vcc
	v_mad_u64_u32 v[54:55], s[0:1], s38, v12, v[2:3]
	v_mad_u64_u32 v[56:57], s[0:1], s38, v15, v[2:3]
	;; [unrolled: 1-line block ×21, first 2 shown]
	v_mul_lo_u32 v2, s38, v5
	v_mad_u64_u32 v[108:109], s[0:1], s38, v4, v[0:1]
	v_mul_lo_u32 v0, s39, v4
	v_add3_u32 v107, v0, v107, v2
	v_add3_u32 v109, v0, v109, v2
	v_lshlrev_b32_e32 v2, 4, v36
	v_mov_b32_e32 v1, s35
	v_mov_b32_e32 v0, v2
	buffer_store_dword v36, off, s[52:55], 0 offset:424 ; 4-byte Folded Spill
	buffer_store_dword v0, off, s[52:55], 0 offset:428 ; 4-byte Folded Spill
	s_nop 0
	buffer_store_dword v1, off, s[52:55], 0 offset:432 ; 4-byte Folded Spill
	v_add_co_u32_e32 v0, vcc, s34, v2
	v_mul_lo_u32 v7, s38, v7
	v_mul_lo_u32 v8, s39, v6
	v_add3_u32 v103, v8, v103, v7
	v_add3_u32 v105, v8, v105, v7
	v_mul_lo_u32 v11, s39, v9
	v_mul_lo_u32 v10, s38, v10
	v_add3_u32 v89, v11, v89, v10
	v_add3_u32 v97, v11, v97, v10
	v_mul_lo_u32 v14, s39, v12
	v_add3_u32 v55, v14, v55, v13
	v_add3_u32 v75, v14, v75, v13
	v_mul_lo_u32 v17, s39, v15
	v_add3_u32 v57, v17, v57, v16
	v_add3_u32 v79, v17, v79, v16
	v_mul_lo_u32 v20, s39, v18
	v_add3_u32 v59, v20, v59, v19
	v_add3_u32 v81, v20, v81, v19
	v_mul_lo_u32 v23, s39, v21
	v_add3_u32 v61, v23, v61, v22
	v_add3_u32 v83, v23, v83, v22
	v_mul_lo_u32 v26, s39, v24
	v_add3_u32 v63, v26, v63, v25
	v_add3_u32 v85, v26, v85, v25
	v_mul_lo_u32 v29, s39, v27
	v_add3_u32 v65, v29, v65, v28
	v_add3_u32 v87, v29, v87, v28
	v_mul_lo_u32 v32, s39, v30
	v_add3_u32 v67, v32, v67, v31
	v_add3_u32 v91, v32, v91, v31
	v_mul_lo_u32 v35, s39, v33
	v_mul_lo_u32 v33, s39, v0
	v_add3_u32 v69, v35, v69, v34
	v_add3_u32 v93, v35, v93, v34
	v_mov_b32_e32 v34, s43
	v_addc_co_u32_e32 v1, vcc, 0, v1, vcc
	v_add_co_u32_e32 v2, vcc, 15, v0
	v_addc_co_u32_e32 v3, vcc, 0, v1, vcc
	v_mul_lo_u32 v4, s38, v3
	v_mul_lo_u32 v5, s39, v2
	v_mad_u64_u32 v[2:3], s[0:1], s38, v2, 0
	v_add3_u32 v3, v3, v4, v5
	v_add_co_u32_e32 v4, vcc, 14, v0
	v_addc_co_u32_e32 v5, vcc, 0, v1, vcc
	v_mul_lo_u32 v6, s38, v5
	v_mul_lo_u32 v7, s39, v4
	v_mad_u64_u32 v[4:5], s[0:1], s38, v4, 0
	v_add3_u32 v5, v5, v6, v7
	;; [unrolled: 6-line block ×14, first 2 shown]
	v_pk_mov_b32 v[30:31], s[38:39], s[38:39] op_sel:[0,1]
	v_mul_lo_u32 v32, s38, v1
	v_mad_u64_u32 v[30:31], s[0:1], s38, v0, v[30:31]
	v_mad_u64_u32 v[0:1], s[0:1], s38, v0, 0
	v_add3_u32 v1, v1, v32, v33
	v_add3_u32 v31, v33, v31, v32
	v_lshlrev_b64 v[32:33], 1, v[0:1]
	v_mov_b32_e32 v0, s41
	v_add_co_u32_e32 v112, vcc, s40, v32
	v_addc_co_u32_e32 v1, vcc, v0, v33, vcc
	v_add_co_u32_e32 v114, vcc, s42, v32
	v_addc_co_u32_e32 v111, vcc, v34, v33, vcc
	v_lshlrev_b64 v[2:3], 1, v[2:3]
	v_add_co_u32_e32 v32, vcc, s40, v2
	buffer_store_dword v32, off, s[52:55], 0 ; 4-byte Folded Spill
	s_nop 0
	buffer_store_dword v33, off, s[52:55], 0 offset:4 ; 4-byte Folded Spill
	v_addc_co_u32_e32 v33, vcc, v0, v3, vcc
	v_add_co_u32_e32 v2, vcc, s42, v2
	buffer_store_dword v32, off, s[52:55], 0 offset:8 ; 4-byte Folded Spill
	s_nop 0
	buffer_store_dword v33, off, s[52:55], 0 offset:12 ; 4-byte Folded Spill
	buffer_store_dword v2, off, s[52:55], 0 offset:16 ; 4-byte Folded Spill
	s_nop 0
	buffer_store_dword v3, off, s[52:55], 0 offset:20 ; 4-byte Folded Spill
	s_mul_i32 s0, s39, s7
	s_mul_hi_u32 s1, s38, s7
	s_add_i32 s1, s1, s0
	s_mul_i32 s0, s38, s7
	s_lshl_b64 s[26:27], s[0:1], 1
	v_addc_co_u32_e32 v115, vcc, v34, v3, vcc
	v_lshlrev_b64 v[2:3], 1, v[4:5]
	v_add_co_u32_e32 v4, vcc, s40, v2
	buffer_store_dword v4, off, s[52:55], 0 offset:24 ; 4-byte Folded Spill
	s_nop 0
	buffer_store_dword v5, off, s[52:55], 0 offset:28 ; 4-byte Folded Spill
	v_addc_co_u32_e32 v5, vcc, v0, v3, vcc
	buffer_store_dword v4, off, s[52:55], 0 offset:32 ; 4-byte Folded Spill
	s_nop 0
	buffer_store_dword v5, off, s[52:55], 0 offset:36 ; 4-byte Folded Spill
	v_mov_b32_e32 v4, v122
	v_add_co_u32_e32 v122, vcc, s42, v2
	v_addc_co_u32_e32 v3, vcc, v34, v3, vcc
	buffer_store_dword v2, off, s[52:55], 0 offset:40 ; 4-byte Folded Spill
	s_nop 0
	buffer_store_dword v3, off, s[52:55], 0 offset:44 ; 4-byte Folded Spill
	v_lshlrev_b64 v[2:3], 1, v[6:7]
	v_add_co_u32_e32 v6, vcc, s40, v2
	buffer_store_dword v6, off, s[52:55], 0 offset:48 ; 4-byte Folded Spill
	s_nop 0
	buffer_store_dword v7, off, s[52:55], 0 offset:52 ; 4-byte Folded Spill
	v_addc_co_u32_e32 v121, vcc, v0, v3, vcc
	v_add_co_u32_e32 v126, vcc, s42, v2
	v_addc_co_u32_e32 v3, vcc, v34, v3, vcc
	buffer_store_dword v2, off, s[52:55], 0 offset:56 ; 4-byte Folded Spill
	s_nop 0
	buffer_store_dword v3, off, s[52:55], 0 offset:60 ; 4-byte Folded Spill
	v_lshlrev_b64 v[2:3], 1, v[8:9]
	v_add_co_u32_e32 v6, vcc, s40, v2
	v_addc_co_u32_e32 v5, vcc, v0, v3, vcc
	v_add_co_u32_e32 v2, vcc, s42, v2
	buffer_store_dword v6, off, s[52:55], 0 offset:64 ; 4-byte Folded Spill
	s_nop 0
	buffer_store_dword v7, off, s[52:55], 0 offset:68 ; 4-byte Folded Spill
	buffer_store_dword v4, off, s[52:55], 0 offset:72 ; 4-byte Folded Spill
	s_nop 0
	buffer_store_dword v5, off, s[52:55], 0 offset:76 ; 4-byte Folded Spill
	buffer_store_dword v2, off, s[52:55], 0 offset:80 ; 4-byte Folded Spill
	s_nop 0
	buffer_store_dword v3, off, s[52:55], 0 offset:84 ; 4-byte Folded Spill
	v_addc_co_u32_e32 v3, vcc, v34, v3, vcc
	buffer_store_dword v2, off, s[52:55], 0 offset:88 ; 4-byte Folded Spill
	s_nop 0
	buffer_store_dword v3, off, s[52:55], 0 offset:92 ; 4-byte Folded Spill
	v_lshlrev_b64 v[2:3], 1, v[10:11]
	v_add_co_u32_e32 v6, vcc, s40, v2
	v_addc_co_u32_e32 v5, vcc, v0, v3, vcc
	v_add_co_u32_e32 v2, vcc, s42, v2
	buffer_store_dword v6, off, s[52:55], 0 offset:96 ; 4-byte Folded Spill
	s_nop 0
	buffer_store_dword v7, off, s[52:55], 0 offset:100 ; 4-byte Folded Spill
	buffer_store_dword v4, off, s[52:55], 0 offset:104 ; 4-byte Folded Spill
	s_nop 0
	buffer_store_dword v5, off, s[52:55], 0 offset:108 ; 4-byte Folded Spill
	buffer_store_dword v2, off, s[52:55], 0 offset:112 ; 4-byte Folded Spill
	s_nop 0
	buffer_store_dword v3, off, s[52:55], 0 offset:116 ; 4-byte Folded Spill
	;; [unrolled: 17-line block ×11, first 2 shown]
	v_addc_co_u32_e32 v3, vcc, v34, v3, vcc
	buffer_store_dword v2, off, s[52:55], 0 offset:408 ; 4-byte Folded Spill
	s_nop 0
	buffer_store_dword v3, off, s[52:55], 0 offset:412 ; 4-byte Folded Spill
	v_lshlrev_b64 v[2:3], 1, v[30:31]
	v_add_co_u32_e32 v6, vcc, s40, v2
	v_addc_co_u32_e32 v127, vcc, v0, v3, vcc
	v_and_b32_e32 v0, 0x3ff, v4
	buffer_store_dword v6, off, s[52:55], 0 offset:416 ; 4-byte Folded Spill
	s_nop 0
	buffer_store_dword v7, off, s[52:55], 0 offset:420 ; 4-byte Folded Spill
	v_add_co_u32_e32 v120, vcc, s42, v2
	buffer_store_dword v0, off, s[52:55], 0 offset:436 ; 4-byte Folded Spill
	v_add_u32_e32 v2, s33, v0
	v_mbcnt_lo_u32_b32 v0, -1, 0
	v_mbcnt_hi_u32_b32 v0, -1, v0
	v_addc_co_u32_e32 v123, vcc, v34, v3, vcc
	v_mov_b32_e32 v3, 0
	v_lshlrev_b32_e32 v0, 2, v0
	v_and_b32_e32 v110, 0x100, v0
	v_mov_b32_e32 v124, v3
	v_mov_b32_e32 v125, v3
	v_lshlrev_b64 v[116:117], 1, v[2:3]
	buffer_store_dword v4, off, s[52:55], 0 offset:440 ; 4-byte Folded Spill
	s_branch .LBB105_87
.LBB105_84:                             ;   in Loop: Header=BB105_87 Depth=1
	s_or_b64 exec, exec, s[10:11]
.LBB105_85:                             ;   in Loop: Header=BB105_87 Depth=1
	s_or_b64 exec, exec, s[0:1]
	v_add_co_u32_e32 v4, vcc, v112, v116
	v_addc_co_u32_e32 v5, vcc, v1, v117, vcc
	global_load_ushort v0, v[4:5], off
	v_add_co_u32_e32 v4, vcc, v114, v116
	v_addc_co_u32_e32 v5, vcc, v111, v117, vcc
	s_waitcnt vmcnt(0)
	v_lshlrev_b32_e32 v24, 16, v0
	global_load_ushort v0, v[4:5], off
	v_add_co_u32_e32 v4, vcc, v50, v116
	v_addc_co_u32_e32 v5, vcc, v51, v117, vcc
	s_waitcnt vmcnt(0)
	v_lshlrev_b32_e32 v25, 16, v0
	;; [unrolled: 5-line block ×11, first 2 shown]
	global_load_ushort v0, v[4:5], off
	v_add_co_u32_e32 v4, vcc, v60, v116
	v_addc_co_u32_e32 v5, vcc, v61, v117, vcc
	v_add_co_u32_e32 v6, vcc, v82, v116
	v_addc_co_u32_e32 v7, vcc, v83, v117, vcc
	s_waitcnt vmcnt(0)
	v_lshlrev_b32_e32 v35, 16, v0
	global_load_ushort v0, v[4:5], off
	s_waitcnt vmcnt(0)
	v_lshlrev_b32_e32 v4, 16, v0
	global_load_ushort v0, v[6:7], off
	v_add_co_u32_e32 v6, vcc, v62, v116
	v_addc_co_u32_e32 v7, vcc, v63, v117, vcc
	v_add_co_u32_e32 v8, vcc, v84, v116
	v_addc_co_u32_e32 v9, vcc, v85, v117, vcc
	s_waitcnt vmcnt(0)
	v_lshlrev_b32_e32 v5, 16, v0
	global_load_ushort v0, v[6:7], off
	s_waitcnt vmcnt(0)
	v_lshlrev_b32_e32 v6, 16, v0
	;; [unrolled: 10-line block ×9, first 2 shown]
	global_load_ushort v0, v[36:37], off
	v_add_co_u32_e32 v36, vcc, v106, v116
	v_addc_co_u32_e32 v37, vcc, v107, v117, vcc
	s_waitcnt vmcnt(0)
	v_lshlrev_b32_e32 v23, 16, v0
	global_load_ushort v0, v[36:37], off
	v_add_co_u32_e32 v36, vcc, v108, v116
	v_addc_co_u32_e32 v37, vcc, v109, v117, vcc
	s_waitcnt vmcnt(0)
	v_lshlrev_b32_e32 v18, 16, v0
	global_load_ushort v0, v[36:37], off
	ds_bpermute_b32 v37, v110, v2
	ds_bpermute_b32 v36, v110, v19
	s_waitcnt lgkmcnt(1)
	v_sub_f32_e32 v25, v25, v37
	ds_bpermute_b32 v37, v110, v2 offset:4
	v_mul_f32_e32 v25, v25, v24
	s_waitcnt lgkmcnt(1)
	v_mul_f32_e32 v25, v25, v36
	ds_bpermute_b32 v36, v110, v19 offset:4
	v_pk_add_f32 v[24:25], v[118:119], v[24:25]
	s_waitcnt lgkmcnt(1)
	v_sub_f32_e32 v27, v27, v37
	v_mul_f32_e32 v27, v27, v26
	ds_bpermute_b32 v37, v110, v2 offset:8
	s_waitcnt lgkmcnt(1)
	v_mul_f32_e32 v27, v27, v36
	v_pk_add_f32 v[24:25], v[24:25], v[26:27]
	ds_bpermute_b32 v27, v110, v2 offset:24
	ds_bpermute_b32 v26, v110, v19 offset:24
	;; [unrolled: 1-line block ×3, first 2 shown]
	s_waitcnt lgkmcnt(3)
	v_sub_f32_e32 v29, v29, v37
	ds_bpermute_b32 v37, v110, v2 offset:12
	s_waitcnt lgkmcnt(3)
	v_sub_f32_e32 v5, v5, v27
	ds_bpermute_b32 v27, v110, v2 offset:28
	v_mul_f32_e32 v5, v5, v4
	s_waitcnt lgkmcnt(3)
	v_mul_f32_e32 v5, v5, v26
	ds_bpermute_b32 v26, v110, v19 offset:28
	v_mul_f32_e32 v29, v29, v28
	s_waitcnt lgkmcnt(1)
	v_sub_f32_e32 v7, v7, v27
	ds_bpermute_b32 v27, v110, v2 offset:32
	v_mul_f32_e32 v7, v7, v6
	s_waitcnt lgkmcnt(1)
	v_mul_f32_e32 v7, v7, v26
	ds_bpermute_b32 v26, v110, v19 offset:32
	v_mul_f32_e32 v29, v29, v36
	s_waitcnt lgkmcnt(1)
	v_sub_f32_e32 v9, v9, v27
	ds_bpermute_b32 v27, v110, v2 offset:36
	v_mul_f32_e32 v9, v9, v8
	s_waitcnt lgkmcnt(1)
	v_mul_f32_e32 v9, v9, v26
	ds_bpermute_b32 v26, v110, v19 offset:36
	ds_bpermute_b32 v36, v110, v19 offset:12
	s_waitcnt lgkmcnt(2)
	v_sub_f32_e32 v11, v11, v27
	ds_bpermute_b32 v27, v110, v2 offset:40
	v_mul_f32_e32 v11, v11, v10
	s_waitcnt lgkmcnt(2)
	v_mul_f32_e32 v11, v11, v26
	ds_bpermute_b32 v26, v110, v19 offset:40
	v_sub_f32_e32 v31, v31, v37
	s_waitcnt lgkmcnt(1)
	v_sub_f32_e32 v13, v13, v27
	ds_bpermute_b32 v27, v110, v2 offset:44
	ds_bpermute_b32 v37, v110, v2 offset:16
	v_mul_f32_e32 v13, v13, v12
	v_mul_f32_e32 v31, v31, v30
	s_waitcnt lgkmcnt(2)
	v_mul_f32_e32 v13, v13, v26
	ds_bpermute_b32 v26, v110, v19 offset:44
	v_mul_f32_e32 v31, v31, v36
	ds_bpermute_b32 v36, v110, v19 offset:16
	s_waitcnt lgkmcnt(3)
	v_sub_f32_e32 v15, v15, v27
	ds_bpermute_b32 v27, v110, v2 offset:48
	s_waitcnt lgkmcnt(3)
	v_sub_f32_e32 v33, v33, v37
	ds_bpermute_b32 v37, v110, v2 offset:20
	v_mul_f32_e32 v15, v15, v14
	v_mul_f32_e32 v33, v33, v32
	s_waitcnt lgkmcnt(3)
	v_mul_f32_e32 v15, v15, v26
	ds_bpermute_b32 v26, v110, v19 offset:48
	s_waitcnt lgkmcnt(3)
	v_mul_f32_e32 v33, v33, v36
	ds_bpermute_b32 v36, v110, v19 offset:20
	s_waitcnt lgkmcnt(3)
	v_sub_f32_e32 v17, v17, v27
	ds_bpermute_b32 v27, v110, v2 offset:52
	s_waitcnt lgkmcnt(3)
	v_sub_f32_e32 v35, v35, v37
	v_pk_add_f32 v[24:25], v[24:25], v[28:29]
	v_mul_f32_e32 v17, v17, v16
	v_mul_f32_e32 v35, v35, v34
	v_pk_add_f32 v[24:25], v[24:25], v[30:31]
	s_waitcnt lgkmcnt(2)
	v_mul_f32_e32 v17, v17, v26
	ds_bpermute_b32 v26, v110, v19 offset:52
	s_waitcnt lgkmcnt(2)
	v_mul_f32_e32 v35, v35, v36
	v_pk_add_f32 v[24:25], v[24:25], v[32:33]
	v_pk_add_f32 v[24:25], v[24:25], v[34:35]
	s_waitcnt lgkmcnt(1)
	v_sub_f32_e32 v21, v21, v27
	ds_bpermute_b32 v27, v110, v2 offset:56
	v_pk_add_f32 v[4:5], v[24:25], v[4:5]
	v_mul_f32_e32 v21, v21, v20
	v_pk_add_f32 v[4:5], v[4:5], v[6:7]
	ds_bpermute_b32 v2, v110, v2 offset:60
	s_waitcnt lgkmcnt(2)
	v_mul_f32_e32 v21, v21, v26
	ds_bpermute_b32 v26, v110, v19 offset:56
	v_pk_add_f32 v[4:5], v[4:5], v[8:9]
	v_pk_add_f32 v[4:5], v[4:5], v[10:11]
	ds_bpermute_b32 v6, v110, v19 offset:60
	v_pk_add_f32 v[4:5], v[4:5], v[12:13]
	s_waitcnt vmcnt(0)
	v_lshlrev_b32_e32 v0, 16, v0
	s_waitcnt lgkmcnt(3)
	v_sub_f32_e32 v23, v23, v27
	v_pk_add_f32 v[4:5], v[4:5], v[14:15]
	v_mul_f32_e32 v23, v23, v22
	v_pk_add_f32 v[4:5], v[4:5], v[16:17]
	s_waitcnt lgkmcnt(2)
	v_sub_f32_e32 v0, v0, v2
	s_waitcnt lgkmcnt(1)
	v_mul_f32_e32 v23, v23, v26
	v_pk_add_f32 v[4:5], v[4:5], v[20:21]
	v_mul_f32_e32 v0, v0, v18
	v_pk_add_f32 v[4:5], v[4:5], v[22:23]
	s_waitcnt lgkmcnt(0)
	v_mul_f32_e32 v19, v0, v6
	v_pk_add_f32 v[124:125], v[4:5], v[18:19]
.LBB105_86:                             ;   in Loop: Header=BB105_87 Depth=1
	buffer_load_dword v4, off, s[52:55], 0  ; 4-byte Folded Reload
	buffer_load_dword v5, off, s[52:55], 0 offset:4 ; 4-byte Folded Reload
	v_add_co_u32_e32 v50, vcc, s26, v50
	v_mov_b32_e32 v0, s27
	v_addc_co_u32_e32 v51, vcc, v51, v0, vcc
	v_add_co_u32_e32 v52, vcc, s26, v52
	v_addc_co_u32_e32 v53, vcc, v53, v0, vcc
	v_add_co_u32_e32 v54, vcc, s26, v54
	;; [unrolled: 2-line block ×31, first 2 shown]
	v_addc_co_u32_e32 v111, vcc, v111, v0, vcc
	s_waitcnt vmcnt(1)
	v_add_co_u32_e32 v4, vcc, s26, v4
	s_waitcnt vmcnt(0)
	buffer_store_dword v4, off, s[52:55], 0 ; 4-byte Folded Spill
	s_nop 0
	buffer_store_dword v5, off, s[52:55], 0 offset:4 ; 4-byte Folded Spill
	buffer_load_dword v4, off, s[52:55], 0 offset:8 ; 4-byte Folded Reload
	s_nop 0
	buffer_load_dword v5, off, s[52:55], 0 offset:12 ; 4-byte Folded Reload
	s_add_u32 s34, s34, s7
	s_addc_u32 s35, s35, 0
	s_add_u32 s24, s24, s7
	s_addc_u32 s25, s25, 0
	s_waitcnt vmcnt(0)
	v_addc_co_u32_e32 v5, vcc, v5, v0, vcc
	buffer_store_dword v4, off, s[52:55], 0 offset:8 ; 4-byte Folded Spill
	s_nop 0
	buffer_store_dword v5, off, s[52:55], 0 offset:12 ; 4-byte Folded Spill
	buffer_load_dword v4, off, s[52:55], 0 offset:16 ; 4-byte Folded Reload
	s_nop 0
	buffer_load_dword v5, off, s[52:55], 0 offset:20 ; 4-byte Folded Reload
	s_waitcnt vmcnt(1)
	v_add_co_u32_e32 v4, vcc, s26, v4
	s_waitcnt vmcnt(0)
	buffer_store_dword v4, off, s[52:55], 0 offset:16 ; 4-byte Folded Spill
	s_nop 0
	buffer_store_dword v5, off, s[52:55], 0 offset:20 ; 4-byte Folded Spill
	buffer_load_dword v4, off, s[52:55], 0 offset:24 ; 4-byte Folded Reload
	s_nop 0
	buffer_load_dword v5, off, s[52:55], 0 offset:28 ; 4-byte Folded Reload
	v_addc_co_u32_e32 v115, vcc, v115, v0, vcc
	s_waitcnt vmcnt(1)
	v_add_co_u32_e32 v4, vcc, s26, v4
	s_waitcnt vmcnt(0)
	buffer_store_dword v4, off, s[52:55], 0 offset:24 ; 4-byte Folded Spill
	s_nop 0
	buffer_store_dword v5, off, s[52:55], 0 offset:28 ; 4-byte Folded Spill
	buffer_load_dword v4, off, s[52:55], 0 offset:32 ; 4-byte Folded Reload
	s_nop 0
	buffer_load_dword v5, off, s[52:55], 0 offset:36 ; 4-byte Folded Reload
	s_waitcnt vmcnt(0)
	v_addc_co_u32_e32 v5, vcc, v5, v0, vcc
	buffer_store_dword v4, off, s[52:55], 0 offset:32 ; 4-byte Folded Spill
	s_nop 0
	buffer_store_dword v5, off, s[52:55], 0 offset:36 ; 4-byte Folded Spill
	buffer_load_dword v4, off, s[52:55], 0 offset:40 ; 4-byte Folded Reload
	s_nop 0
	buffer_load_dword v5, off, s[52:55], 0 offset:44 ; 4-byte Folded Reload
	v_add_co_u32_e32 v122, vcc, s26, v122
	s_waitcnt vmcnt(0)
	v_addc_co_u32_e32 v5, vcc, v5, v0, vcc
	buffer_store_dword v4, off, s[52:55], 0 offset:40 ; 4-byte Folded Spill
	s_nop 0
	buffer_store_dword v5, off, s[52:55], 0 offset:44 ; 4-byte Folded Spill
	buffer_load_dword v4, off, s[52:55], 0 offset:48 ; 4-byte Folded Reload
	s_nop 0
	buffer_load_dword v5, off, s[52:55], 0 offset:52 ; 4-byte Folded Reload
	s_waitcnt vmcnt(1)
	v_add_co_u32_e32 v4, vcc, s26, v4
	s_waitcnt vmcnt(0)
	buffer_store_dword v4, off, s[52:55], 0 offset:48 ; 4-byte Folded Spill
	s_nop 0
	buffer_store_dword v5, off, s[52:55], 0 offset:52 ; 4-byte Folded Spill
	buffer_load_dword v4, off, s[52:55], 0 offset:56 ; 4-byte Folded Reload
	s_nop 0
	buffer_load_dword v5, off, s[52:55], 0 offset:60 ; 4-byte Folded Reload
	v_addc_co_u32_e32 v121, vcc, v121, v0, vcc
	v_add_co_u32_e32 v126, vcc, s26, v126
	s_waitcnt vmcnt(0)
	v_addc_co_u32_e32 v5, vcc, v5, v0, vcc
	buffer_store_dword v4, off, s[52:55], 0 offset:56 ; 4-byte Folded Spill
	s_nop 0
	buffer_store_dword v5, off, s[52:55], 0 offset:60 ; 4-byte Folded Spill
	buffer_load_dword v4, off, s[52:55], 0 offset:64 ; 4-byte Folded Reload
	s_nop 0
	buffer_load_dword v5, off, s[52:55], 0 offset:68 ; 4-byte Folded Reload
	s_waitcnt vmcnt(1)
	v_add_co_u32_e32 v4, vcc, s26, v4
	s_waitcnt vmcnt(0)
	buffer_store_dword v4, off, s[52:55], 0 offset:64 ; 4-byte Folded Spill
	s_nop 0
	buffer_store_dword v5, off, s[52:55], 0 offset:68 ; 4-byte Folded Spill
	buffer_load_dword v4, off, s[52:55], 0 offset:72 ; 4-byte Folded Reload
	s_nop 0
	buffer_load_dword v5, off, s[52:55], 0 offset:76 ; 4-byte Folded Reload
	s_waitcnt vmcnt(0)
	v_addc_co_u32_e32 v5, vcc, v5, v0, vcc
	buffer_store_dword v4, off, s[52:55], 0 offset:72 ; 4-byte Folded Spill
	s_nop 0
	buffer_store_dword v5, off, s[52:55], 0 offset:76 ; 4-byte Folded Spill
	buffer_load_dword v4, off, s[52:55], 0 offset:80 ; 4-byte Folded Reload
	s_nop 0
	buffer_load_dword v5, off, s[52:55], 0 offset:84 ; 4-byte Folded Reload
	s_waitcnt vmcnt(1)
	v_add_co_u32_e32 v4, vcc, s26, v4
	s_waitcnt vmcnt(0)
	buffer_store_dword v4, off, s[52:55], 0 offset:80 ; 4-byte Folded Spill
	s_nop 0
	buffer_store_dword v5, off, s[52:55], 0 offset:84 ; 4-byte Folded Spill
	buffer_load_dword v4, off, s[52:55], 0 offset:88 ; 4-byte Folded Reload
	s_nop 0
	buffer_load_dword v5, off, s[52:55], 0 offset:92 ; 4-byte Folded Reload
	;; [unrolled: 17-line block ×22, first 2 shown]
	s_waitcnt vmcnt(0)
	v_addc_co_u32_e32 v5, vcc, v5, v0, vcc
	buffer_store_dword v4, off, s[52:55], 0 offset:408 ; 4-byte Folded Spill
	s_nop 0
	buffer_store_dword v5, off, s[52:55], 0 offset:412 ; 4-byte Folded Spill
	buffer_load_dword v4, off, s[52:55], 0 offset:416 ; 4-byte Folded Reload
	s_nop 0
	buffer_load_dword v5, off, s[52:55], 0 offset:420 ; 4-byte Folded Reload
	s_waitcnt vmcnt(1)
	v_add_co_u32_e32 v4, vcc, s26, v4
	v_addc_co_u32_e32 v127, vcc, v127, v0, vcc
	s_waitcnt vmcnt(0)
	buffer_store_dword v4, off, s[52:55], 0 offset:416 ; 4-byte Folded Spill
	s_nop 0
	buffer_store_dword v5, off, s[52:55], 0 offset:420 ; 4-byte Folded Spill
	v_add_co_u32_e32 v120, vcc, s26, v120
	v_addc_co_u32_e32 v123, vcc, v123, v0, vcc
	v_pk_mov_b32 v[4:5], s[36:37], s[36:37] op_sel:[0,1]
	v_cmp_ge_i64_e32 vcc, s[34:35], v[4:5]
	s_cbranch_vccnz .LBB105_129
.LBB105_87:                             ; =>This Inner Loop Header: Depth=1
	v_pk_mov_b32 v[4:5], s[36:37], s[36:37] op_sel:[0,1]
	v_cmp_ge_i64_e32 vcc, s[24:25], v[4:5]
	buffer_load_dword v4, off, s[52:55], 0 offset:428 ; 4-byte Folded Reload
	buffer_load_dword v5, off, s[52:55], 0 offset:432 ; 4-byte Folded Reload
	v_mov_b32_e32 v2, s25
	v_mov_b32_e32 v118, v124
	;; [unrolled: 1-line block ×3, first 2 shown]
	s_waitcnt vmcnt(1)
	v_add_co_u32_e64 v0, s[0:1], s24, v4
	v_addc_co_u32_e64 v113, s[0:1], 0, v2, s[0:1]
	s_cbranch_vccz .LBB105_125
; %bb.88:                               ;   in Loop: Header=BB105_87 Depth=1
	s_load_dword s0, s[2:3], 0xc
	buffer_load_dword v2, off, s[52:55], 0 offset:424 ; 4-byte Folded Reload
	buffer_load_dword v4, off, s[52:55], 0 offset:436 ; 4-byte Folded Reload
	v_mov_b32_e32 v125, 0
	v_mov_b32_e32 v124, 0
	s_waitcnt lgkmcnt(0)
	s_and_b32 s0, s0, 0xffff
	s_waitcnt vmcnt(0)
	v_mad_u32_u24 v2, v2, s0, v4
	v_and_b32_e32 v2, 63, v2
	v_cmp_gt_u32_e32 vcc, 16, v2
	s_and_saveexec_b64 s[0:1], vcc
	s_cbranch_execz .LBB105_92
; %bb.89:                               ;   in Loop: Header=BB105_87 Depth=1
	v_add_co_u32_e32 v2, vcc, v0, v2
	v_addc_co_u32_e32 v5, vcc, 0, v113, vcc
	v_add_co_u32_e32 v4, vcc, 0xffffff01, v2
	v_addc_co_u32_e32 v5, vcc, -1, v5, vcc
	v_cmp_gt_i64_e32 vcc, s[36:37], v[4:5]
	v_mov_b32_e32 v124, 0
	v_mov_b32_e32 v125, 0
	s_and_saveexec_b64 s[10:11], vcc
	s_cbranch_execz .LBB105_91
; %bb.90:                               ;   in Loop: Header=BB105_87 Depth=1
	v_lshlrev_b64 v[4:5], 2, v[4:5]
	v_mov_b32_e32 v2, s31
	v_add_co_u32_e32 v6, vcc, s30, v4
	v_addc_co_u32_e32 v7, vcc, v2, v5, vcc
	v_mov_b32_e32 v2, s29
	v_add_co_u32_e32 v4, vcc, s28, v4
	v_addc_co_u32_e32 v5, vcc, v2, v5, vcc
	global_load_dword v124, v[4:5], off
	global_load_dword v125, v[6:7], off
.LBB105_91:                             ;   in Loop: Header=BB105_87 Depth=1
	s_or_b64 exec, exec, s[10:11]
.LBB105_92:                             ;   in Loop: Header=BB105_87 Depth=1
	s_or_b64 exec, exec, s[0:1]
	s_mov_b32 s22, s8
	s_mov_b32 s23, s8
	v_add_co_u32_e32 v4, vcc, 0xffffff01, v0
	s_mov_b32 s9, s8
	s_mov_b32 s10, s8
	;; [unrolled: 1-line block ×13, first 2 shown]
	v_pk_mov_b32 v[32:33], s[22:23], s[22:23] op_sel:[0,1]
	v_addc_co_u32_e32 v5, vcc, -1, v113, vcc
	v_pk_mov_b32 v[30:31], s[20:21], s[20:21] op_sel:[0,1]
	v_pk_mov_b32 v[28:29], s[18:19], s[18:19] op_sel:[0,1]
	;; [unrolled: 1-line block ×8, first 2 shown]
	v_cmp_gt_i64_e32 vcc, s[36:37], v[4:5]
	v_pk_mov_b32 v[46:47], v[30:31], v[30:31] op_sel:[0,1]
	v_pk_mov_b32 v[44:45], v[28:29], v[28:29] op_sel:[0,1]
	;; [unrolled: 1-line block ×7, first 2 shown]
	s_and_saveexec_b64 s[0:1], vcc
	s_cbranch_execz .LBB105_94
; %bb.93:                               ;   in Loop: Header=BB105_87 Depth=1
	v_add_co_u32_e32 v4, vcc, v112, v116
	v_addc_co_u32_e32 v5, vcc, v1, v117, vcc
	global_load_ushort v2, v[4:5], off
	v_add_co_u32_e32 v4, vcc, v114, v116
	v_addc_co_u32_e32 v5, vcc, v111, v117, vcc
	global_load_ushort v18, v[4:5], off
	v_mov_b32_e32 v16, v3
	v_mov_b32_e32 v17, v3
	;; [unrolled: 1-line block ×29, first 2 shown]
	s_waitcnt vmcnt(1)
	v_lshlrev_b32_e32 v2, 16, v2
	v_pk_mov_b32 v[48:49], v[16:17], v[16:17] op_sel:[0,1]
	v_pk_mov_b32 v[46:47], v[14:15], v[14:15] op_sel:[0,1]
	;; [unrolled: 1-line block ×4, first 2 shown]
	s_waitcnt vmcnt(0)
	v_lshlrev_b32_e32 v18, 16, v18
	v_pk_mov_b32 v[40:41], v[8:9], v[8:9] op_sel:[0,1]
	v_pk_mov_b32 v[38:39], v[6:7], v[6:7] op_sel:[0,1]
	;; [unrolled: 1-line block ×4, first 2 shown]
.LBB105_94:                             ;   in Loop: Header=BB105_87 Depth=1
	s_or_b64 exec, exec, s[0:1]
	v_add_co_u32_e32 v4, vcc, 0xffffff02, v0
	v_addc_co_u32_e32 v5, vcc, -1, v113, vcc
	v_cmp_gt_i64_e32 vcc, s[36:37], v[4:5]
	s_and_saveexec_b64 s[0:1], vcc
	s_cbranch_execz .LBB105_96
; %bb.95:                               ;   in Loop: Header=BB105_87 Depth=1
	buffer_load_dword v4, off, s[52:55], 0 offset:416 ; 4-byte Folded Reload
	buffer_load_dword v5, off, s[52:55], 0 offset:420 ; 4-byte Folded Reload
	s_waitcnt vmcnt(1)
	v_add_co_u32_e32 v4, vcc, v4, v116
	s_waitcnt vmcnt(0)
	v_addc_co_u32_e32 v5, vcc, v127, v117, vcc
	global_load_ushort v2, v[4:5], off
	v_add_co_u32_e32 v4, vcc, v120, v116
	v_addc_co_u32_e32 v5, vcc, v123, v117, vcc
	global_load_ushort v4, v[4:5], off
	s_waitcnt vmcnt(1)
	v_lshlrev_b32_e32 v35, 16, v2
	s_waitcnt vmcnt(0)
	v_lshlrev_b32_e32 v19, 16, v4
.LBB105_96:                             ;   in Loop: Header=BB105_87 Depth=1
	s_or_b64 exec, exec, s[0:1]
	v_add_co_u32_e32 v4, vcc, 0xffffff03, v0
	v_addc_co_u32_e32 v5, vcc, -1, v113, vcc
	v_cmp_gt_i64_e32 vcc, s[36:37], v[4:5]
	s_and_saveexec_b64 s[0:1], vcc
	s_cbranch_execz .LBB105_98
; %bb.97:                               ;   in Loop: Header=BB105_87 Depth=1
	buffer_load_dword v4, off, s[52:55], 0 offset:384 ; 4-byte Folded Reload
	buffer_load_dword v5, off, s[52:55], 0 offset:388 ; 4-byte Folded Reload
	;; [unrolled: 1-line block ×4, first 2 shown]
	s_waitcnt vmcnt(3)
	v_add_co_u32_e32 v4, vcc, v4, v116
	s_waitcnt vmcnt(0)
	v_addc_co_u32_e32 v5, vcc, v7, v117, vcc
	global_load_ushort v2, v[4:5], off
	s_nop 0
	buffer_load_dword v4, off, s[52:55], 0 offset:400 ; 4-byte Folded Reload
	buffer_load_dword v5, off, s[52:55], 0 offset:404 ; 4-byte Folded Reload
	;; [unrolled: 1-line block ×4, first 2 shown]
	s_waitcnt vmcnt(4)
	v_lshlrev_b32_e32 v36, 16, v2
	s_waitcnt vmcnt(3)
	v_add_co_u32_e32 v4, vcc, v4, v116
	s_waitcnt vmcnt(0)
	v_addc_co_u32_e32 v5, vcc, v7, v117, vcc
	global_load_ushort v4, v[4:5], off
	s_waitcnt vmcnt(0)
	v_lshlrev_b32_e32 v20, 16, v4
.LBB105_98:                             ;   in Loop: Header=BB105_87 Depth=1
	s_or_b64 exec, exec, s[0:1]
	v_add_co_u32_e32 v4, vcc, 0xffffff04, v0
	v_addc_co_u32_e32 v5, vcc, -1, v113, vcc
	v_cmp_gt_i64_e32 vcc, s[36:37], v[4:5]
	s_and_saveexec_b64 s[0:1], vcc
	s_cbranch_execz .LBB105_100
; %bb.99:                               ;   in Loop: Header=BB105_87 Depth=1
	buffer_load_dword v4, off, s[52:55], 0 offset:352 ; 4-byte Folded Reload
	buffer_load_dword v5, off, s[52:55], 0 offset:356 ; 4-byte Folded Reload
	;; [unrolled: 1-line block ×4, first 2 shown]
	s_waitcnt vmcnt(3)
	v_add_co_u32_e32 v4, vcc, v4, v116
	s_waitcnt vmcnt(0)
	v_addc_co_u32_e32 v5, vcc, v7, v117, vcc
	global_load_ushort v2, v[4:5], off
	s_nop 0
	buffer_load_dword v4, off, s[52:55], 0 offset:368 ; 4-byte Folded Reload
	buffer_load_dword v5, off, s[52:55], 0 offset:372 ; 4-byte Folded Reload
	;; [unrolled: 1-line block ×4, first 2 shown]
	s_waitcnt vmcnt(4)
	v_lshlrev_b32_e32 v37, 16, v2
	s_waitcnt vmcnt(3)
	v_add_co_u32_e32 v4, vcc, v4, v116
	s_waitcnt vmcnt(0)
	v_addc_co_u32_e32 v5, vcc, v7, v117, vcc
	global_load_ushort v4, v[4:5], off
	s_waitcnt vmcnt(0)
	v_lshlrev_b32_e32 v21, 16, v4
.LBB105_100:                            ;   in Loop: Header=BB105_87 Depth=1
	s_or_b64 exec, exec, s[0:1]
	v_add_co_u32_e32 v4, vcc, 0xffffff05, v0
	v_addc_co_u32_e32 v5, vcc, -1, v113, vcc
	v_cmp_gt_i64_e32 vcc, s[36:37], v[4:5]
	s_and_saveexec_b64 s[0:1], vcc
	s_cbranch_execz .LBB105_102
; %bb.101:                              ;   in Loop: Header=BB105_87 Depth=1
	buffer_load_dword v4, off, s[52:55], 0 offset:320 ; 4-byte Folded Reload
	buffer_load_dword v5, off, s[52:55], 0 offset:324 ; 4-byte Folded Reload
	buffer_load_dword v6, off, s[52:55], 0 offset:328 ; 4-byte Folded Reload
	buffer_load_dword v7, off, s[52:55], 0 offset:332 ; 4-byte Folded Reload
	s_waitcnt vmcnt(3)
	v_add_co_u32_e32 v4, vcc, v4, v116
	s_waitcnt vmcnt(0)
	v_addc_co_u32_e32 v5, vcc, v7, v117, vcc
	global_load_ushort v2, v[4:5], off
	s_nop 0
	buffer_load_dword v4, off, s[52:55], 0 offset:336 ; 4-byte Folded Reload
	buffer_load_dword v5, off, s[52:55], 0 offset:340 ; 4-byte Folded Reload
	buffer_load_dword v6, off, s[52:55], 0 offset:344 ; 4-byte Folded Reload
	buffer_load_dword v7, off, s[52:55], 0 offset:348 ; 4-byte Folded Reload
	s_waitcnt vmcnt(4)
	v_lshlrev_b32_e32 v38, 16, v2
	s_waitcnt vmcnt(3)
	v_add_co_u32_e32 v4, vcc, v4, v116
	s_waitcnt vmcnt(0)
	v_addc_co_u32_e32 v5, vcc, v7, v117, vcc
	global_load_ushort v4, v[4:5], off
	s_waitcnt vmcnt(0)
	v_lshlrev_b32_e32 v22, 16, v4
.LBB105_102:                            ;   in Loop: Header=BB105_87 Depth=1
	s_or_b64 exec, exec, s[0:1]
	v_add_co_u32_e32 v4, vcc, 0xffffff06, v0
	v_addc_co_u32_e32 v5, vcc, -1, v113, vcc
	v_cmp_gt_i64_e32 vcc, s[36:37], v[4:5]
	s_and_saveexec_b64 s[0:1], vcc
	s_cbranch_execz .LBB105_104
; %bb.103:                              ;   in Loop: Header=BB105_87 Depth=1
	buffer_load_dword v4, off, s[52:55], 0 offset:288 ; 4-byte Folded Reload
	buffer_load_dword v5, off, s[52:55], 0 offset:292 ; 4-byte Folded Reload
	buffer_load_dword v6, off, s[52:55], 0 offset:296 ; 4-byte Folded Reload
	buffer_load_dword v7, off, s[52:55], 0 offset:300 ; 4-byte Folded Reload
	s_waitcnt vmcnt(3)
	v_add_co_u32_e32 v4, vcc, v4, v116
	s_waitcnt vmcnt(0)
	v_addc_co_u32_e32 v5, vcc, v7, v117, vcc
	global_load_ushort v2, v[4:5], off
	s_nop 0
	buffer_load_dword v4, off, s[52:55], 0 offset:304 ; 4-byte Folded Reload
	buffer_load_dword v5, off, s[52:55], 0 offset:308 ; 4-byte Folded Reload
	buffer_load_dword v6, off, s[52:55], 0 offset:312 ; 4-byte Folded Reload
	buffer_load_dword v7, off, s[52:55], 0 offset:316 ; 4-byte Folded Reload
	s_waitcnt vmcnt(4)
	v_lshlrev_b32_e32 v39, 16, v2
	s_waitcnt vmcnt(3)
	v_add_co_u32_e32 v4, vcc, v4, v116
	s_waitcnt vmcnt(0)
	v_addc_co_u32_e32 v5, vcc, v7, v117, vcc
	global_load_ushort v4, v[4:5], off
	s_waitcnt vmcnt(0)
	v_lshlrev_b32_e32 v23, 16, v4
.LBB105_104:                            ;   in Loop: Header=BB105_87 Depth=1
	;; [unrolled: 31-line block ×9, first 2 shown]
	s_or_b64 exec, exec, s[0:1]
	v_add_co_u32_e32 v4, vcc, 0xffffff0e, v0
	v_addc_co_u32_e32 v5, vcc, -1, v113, vcc
	v_cmp_gt_i64_e32 vcc, s[36:37], v[4:5]
	s_and_saveexec_b64 s[0:1], vcc
	s_cbranch_execz .LBB105_120
; %bb.119:                              ;   in Loop: Header=BB105_87 Depth=1
	buffer_load_dword v4, off, s[52:55], 0 offset:48 ; 4-byte Folded Reload
	buffer_load_dword v5, off, s[52:55], 0 offset:52 ; 4-byte Folded Reload
	s_waitcnt vmcnt(1)
	v_add_co_u32_e32 v4, vcc, v4, v116
	s_waitcnt vmcnt(0)
	v_addc_co_u32_e32 v5, vcc, v121, v117, vcc
	global_load_ushort v2, v[4:5], off
	buffer_load_dword v6, off, s[52:55], 0 offset:56 ; 4-byte Folded Reload
	buffer_load_dword v7, off, s[52:55], 0 offset:60 ; 4-byte Folded Reload
	v_add_co_u32_e32 v4, vcc, v126, v116
	s_waitcnt vmcnt(2)
	v_lshlrev_b32_e32 v47, 16, v2
	s_waitcnt vmcnt(0)
	v_addc_co_u32_e32 v5, vcc, v7, v117, vcc
	global_load_ushort v4, v[4:5], off
	s_waitcnt vmcnt(0)
	v_lshlrev_b32_e32 v31, 16, v4
.LBB105_120:                            ;   in Loop: Header=BB105_87 Depth=1
	s_or_b64 exec, exec, s[0:1]
	v_add_co_u32_e32 v4, vcc, 0xffffff0f, v0
	v_addc_co_u32_e32 v5, vcc, -1, v113, vcc
	v_cmp_gt_i64_e32 vcc, s[36:37], v[4:5]
	s_and_saveexec_b64 s[0:1], vcc
	s_cbranch_execz .LBB105_122
; %bb.121:                              ;   in Loop: Header=BB105_87 Depth=1
	buffer_load_dword v4, off, s[52:55], 0 offset:24 ; 4-byte Folded Reload
	buffer_load_dword v5, off, s[52:55], 0 offset:28 ; 4-byte Folded Reload
	;; [unrolled: 1-line block ×4, first 2 shown]
	s_waitcnt vmcnt(3)
	v_add_co_u32_e32 v4, vcc, v4, v116
	s_waitcnt vmcnt(0)
	v_addc_co_u32_e32 v5, vcc, v7, v117, vcc
	global_load_ushort v2, v[4:5], off
	buffer_load_dword v6, off, s[52:55], 0 offset:40 ; 4-byte Folded Reload
	buffer_load_dword v7, off, s[52:55], 0 offset:44 ; 4-byte Folded Reload
	v_add_co_u32_e32 v4, vcc, v122, v116
	s_waitcnt vmcnt(2)
	v_lshlrev_b32_e32 v48, 16, v2
	s_waitcnt vmcnt(0)
	v_addc_co_u32_e32 v5, vcc, v7, v117, vcc
	global_load_ushort v4, v[4:5], off
	s_waitcnt vmcnt(0)
	v_lshlrev_b32_e32 v32, 16, v4
.LBB105_122:                            ;   in Loop: Header=BB105_87 Depth=1
	s_or_b64 exec, exec, s[0:1]
	v_add_co_u32_e32 v4, vcc, 0xffffff10, v0
	v_addc_co_u32_e32 v5, vcc, -1, v113, vcc
	v_cmp_gt_i64_e32 vcc, s[36:37], v[4:5]
	s_and_saveexec_b64 s[0:1], vcc
	s_cbranch_execz .LBB105_124
; %bb.123:                              ;   in Loop: Header=BB105_87 Depth=1
	buffer_load_dword v4, off, s[52:55], 0  ; 4-byte Folded Reload
	buffer_load_dword v5, off, s[52:55], 0 offset:4 ; 4-byte Folded Reload
	buffer_load_dword v6, off, s[52:55], 0 offset:8 ; 4-byte Folded Reload
	;; [unrolled: 1-line block ×3, first 2 shown]
	s_waitcnt vmcnt(3)
	v_add_co_u32_e32 v4, vcc, v4, v116
	s_waitcnt vmcnt(0)
	v_addc_co_u32_e32 v5, vcc, v7, v117, vcc
	global_load_ushort v2, v[4:5], off
	s_nop 0
	buffer_load_dword v4, off, s[52:55], 0 offset:16 ; 4-byte Folded Reload
	buffer_load_dword v5, off, s[52:55], 0 offset:20 ; 4-byte Folded Reload
	s_waitcnt vmcnt(2)
	v_lshlrev_b32_e32 v49, 16, v2
	s_waitcnt vmcnt(1)
	v_add_co_u32_e32 v4, vcc, v4, v116
	s_waitcnt vmcnt(0)
	v_addc_co_u32_e32 v5, vcc, v115, v117, vcc
	global_load_ushort v4, v[4:5], off
	s_waitcnt vmcnt(0)
	v_lshlrev_b32_e32 v33, 16, v4
.LBB105_124:                            ;   in Loop: Header=BB105_87 Depth=1
	s_or_b64 exec, exec, s[0:1]
	s_waitcnt vmcnt(1)
	ds_bpermute_b32 v4, v110, v124
	s_waitcnt vmcnt(0)
	ds_bpermute_b32 v2, v110, v125
	v_mov_b32_e32 v6, v35
	v_mov_b32_e32 v8, v36
	;; [unrolled: 1-line block ×3, first 2 shown]
	s_waitcnt lgkmcnt(1)
	v_sub_f32_e32 v4, v18, v4
	v_mul_f32_e32 v4, v34, v4
	s_waitcnt lgkmcnt(0)
	v_mul_f32_e32 v5, v4, v2
	ds_bpermute_b32 v4, v110, v124 offset:4
	ds_bpermute_b32 v2, v110, v125 offset:4
	v_mov_b32_e32 v12, v38
	v_mov_b32_e32 v14, v39
	;; [unrolled: 1-line block ×3, first 2 shown]
	s_waitcnt lgkmcnt(1)
	v_sub_f32_e32 v4, v19, v4
	v_mul_f32_e32 v4, v35, v4
	s_waitcnt lgkmcnt(0)
	v_mul_f32_e32 v7, v4, v2
	ds_bpermute_b32 v4, v110, v124 offset:8
	ds_bpermute_b32 v2, v110, v125 offset:8
	v_mov_b32_e32 v18, v46
	s_waitcnt lgkmcnt(1)
	v_sub_f32_e32 v4, v20, v4
	v_mul_f32_e32 v4, v36, v4
	s_waitcnt lgkmcnt(0)
	v_mul_f32_e32 v9, v4, v2
	ds_bpermute_b32 v4, v110, v124 offset:12
	ds_bpermute_b32 v2, v110, v125 offset:12
	v_mov_b32_e32 v20, v47
	s_waitcnt lgkmcnt(1)
	v_sub_f32_e32 v4, v21, v4
	v_mul_f32_e32 v4, v37, v4
	s_waitcnt lgkmcnt(0)
	v_mul_f32_e32 v11, v4, v2
	ds_bpermute_b32 v4, v110, v124 offset:16
	ds_bpermute_b32 v2, v110, v125 offset:16
	s_waitcnt lgkmcnt(1)
	v_sub_f32_e32 v4, v22, v4
	v_mul_f32_e32 v4, v38, v4
	s_waitcnt lgkmcnt(0)
	v_mul_f32_e32 v13, v4, v2
	ds_bpermute_b32 v4, v110, v124 offset:20
	ds_bpermute_b32 v2, v110, v125 offset:20
	v_mov_b32_e32 v22, v48
	s_waitcnt lgkmcnt(1)
	v_sub_f32_e32 v4, v23, v4
	v_mul_f32_e32 v4, v39, v4
	s_waitcnt lgkmcnt(0)
	v_mul_f32_e32 v15, v4, v2
	v_mov_b32_e32 v4, v34
	v_pk_add_f32 v[4:5], v[118:119], v[4:5]
	v_pk_add_f32 v[4:5], v[6:7], v[4:5]
	ds_bpermute_b32 v6, v110, v124 offset:24
	ds_bpermute_b32 v2, v110, v125 offset:24
	v_pk_add_f32 v[4:5], v[8:9], v[4:5]
	v_pk_add_f32 v[4:5], v[10:11], v[4:5]
	;; [unrolled: 1-line block ×3, first 2 shown]
	s_waitcnt lgkmcnt(1)
	v_sub_f32_e32 v6, v24, v6
	v_mul_f32_e32 v6, v40, v6
	s_waitcnt lgkmcnt(0)
	v_mul_f32_e32 v7, v6, v2
	ds_bpermute_b32 v6, v110, v124 offset:28
	ds_bpermute_b32 v2, v110, v125 offset:28
	v_pk_add_f32 v[4:5], v[14:15], v[4:5]
	v_mov_b32_e32 v8, v41
	v_mov_b32_e32 v10, v42
	s_waitcnt lgkmcnt(1)
	v_sub_f32_e32 v6, v25, v6
	v_mul_f32_e32 v6, v41, v6
	s_waitcnt lgkmcnt(0)
	v_mul_f32_e32 v9, v6, v2
	ds_bpermute_b32 v6, v110, v124 offset:32
	ds_bpermute_b32 v2, v110, v125 offset:32
	v_mov_b32_e32 v12, v43
	v_mov_b32_e32 v14, v44
	s_waitcnt lgkmcnt(1)
	v_sub_f32_e32 v6, v26, v6
	v_mul_f32_e32 v6, v42, v6
	s_waitcnt lgkmcnt(0)
	v_mul_f32_e32 v11, v6, v2
	ds_bpermute_b32 v6, v110, v124 offset:36
	ds_bpermute_b32 v2, v110, v125 offset:36
	s_waitcnt lgkmcnt(1)
	v_sub_f32_e32 v6, v27, v6
	v_mul_f32_e32 v6, v43, v6
	s_waitcnt lgkmcnt(0)
	v_mul_f32_e32 v13, v6, v2
	ds_bpermute_b32 v6, v110, v124 offset:40
	ds_bpermute_b32 v2, v110, v125 offset:40
	;; [unrolled: 7-line block ×6, first 2 shown]
	s_waitcnt lgkmcnt(1)
	v_sub_f32_e32 v6, v32, v6
	v_mul_f32_e32 v6, v48, v6
	s_waitcnt lgkmcnt(0)
	v_mul_f32_e32 v23, v6, v2
	v_mov_b32_e32 v6, v40
	v_pk_add_f32 v[4:5], v[6:7], v[4:5]
	v_pk_add_f32 v[4:5], v[8:9], v[4:5]
	ds_bpermute_b32 v6, v110, v124 offset:60
	v_pk_add_f32 v[4:5], v[10:11], v[4:5]
	v_pk_add_f32 v[4:5], v[12:13], v[4:5]
	ds_bpermute_b32 v2, v110, v125 offset:60
	v_pk_add_f32 v[4:5], v[14:15], v[4:5]
	v_pk_add_f32 v[4:5], v[16:17], v[4:5]
	;; [unrolled: 1-line block ×3, first 2 shown]
	s_waitcnt lgkmcnt(1)
	v_sub_f32_e32 v6, v33, v6
	v_pk_add_f32 v[4:5], v[20:21], v[4:5]
	v_mul_f32_e32 v6, v49, v6
	v_pk_add_f32 v[4:5], v[22:23], v[4:5]
	s_waitcnt lgkmcnt(0)
	v_mul_f32_e32 v7, v6, v2
	v_mov_b32_e32 v6, v49
	v_pk_add_f32 v[124:125], v[6:7], v[4:5]
	s_branch .LBB105_86
.LBB105_125:                            ;   in Loop: Header=BB105_87 Depth=1
                                        ; implicit-def: $vgpr125
	s_cbranch_execz .LBB105_86
; %bb.126:                              ;   in Loop: Header=BB105_87 Depth=1
	s_load_dword s0, s[2:3], 0x0
	v_mov_b32_e32 v19, 0
	s_waitcnt lgkmcnt(0)
	s_cmp_lt_u32 s6, s0
	s_cselect_b32 s0, 12, 18
	s_add_u32 s0, s2, s0
	s_addc_u32 s1, s3, 0
	global_load_ushort v2, v3, s[0:1]
	buffer_load_dword v4, off, s[52:55], 0 offset:424 ; 4-byte Folded Reload
	buffer_load_dword v5, off, s[52:55], 0 offset:436 ; 4-byte Folded Reload
	s_waitcnt vmcnt(0)
	v_mad_u32_u24 v2, v4, v2, v5
	v_and_b32_e32 v4, 63, v2
	v_cmp_gt_u32_e32 vcc, 16, v4
	v_mov_b32_e32 v2, 0
	s_and_saveexec_b64 s[0:1], vcc
	s_cbranch_execz .LBB105_85
; %bb.127:                              ;   in Loop: Header=BB105_87 Depth=1
	v_add_co_u32_e32 v0, vcc, v0, v4
	v_addc_co_u32_e32 v2, vcc, 0, v113, vcc
	v_add_co_u32_e32 v4, vcc, 0xffffff01, v0
	v_addc_co_u32_e32 v5, vcc, -1, v2, vcc
	v_cmp_gt_i64_e32 vcc, s[36:37], v[4:5]
	v_mov_b32_e32 v2, 0
	v_mov_b32_e32 v19, 0
	s_and_saveexec_b64 s[10:11], vcc
	s_cbranch_execz .LBB105_84
; %bb.128:                              ;   in Loop: Header=BB105_87 Depth=1
	v_lshlrev_b64 v[4:5], 2, v[4:5]
	v_mov_b32_e32 v0, s31
	v_add_co_u32_e32 v6, vcc, s30, v4
	v_addc_co_u32_e32 v7, vcc, v0, v5, vcc
	v_mov_b32_e32 v0, s29
	v_add_co_u32_e32 v4, vcc, s28, v4
	v_addc_co_u32_e32 v5, vcc, v0, v5, vcc
	global_load_dword v2, v[4:5], off
	global_load_dword v19, v[6:7], off
	s_branch .LBB105_84
.LBB105_129:
	buffer_load_dword v122, off, s[52:55], 0 offset:440 ; 4-byte Folded Reload
.LBB105_130:
	s_waitcnt vmcnt(0)
	v_bfe_u32 v6, v122, 10, 10
	v_and_b32_e32 v0, 0x3ff, v122
	s_movk_i32 s0, 0x41
	v_mad_u32_u24 v1, v6, s0, v0
	v_lshl_add_u32 v1, v1, 2, 0
	v_lshrrev_b32_e32 v7, 6, v0
	ds_write_b32 v1, v125
	ds_write_b32 v1, v124 offset:4160
	v_add_u32_e32 v1, v7, v6
	s_mov_b32 s7, 0
	v_cmp_gt_u32_e32 vcc, 64, v1
	s_waitcnt lgkmcnt(0)
	s_barrier
	s_and_saveexec_b64 s[0:1], vcc
	s_cbranch_execz .LBB105_140
; %bb.131:
	v_and_b32_e32 v1, 63, v0
	v_cmp_gt_u32_e64 s[0:1], 16, v1
	v_mul_u32_u24_e32 v12, 0x41, v1
	v_mbcnt_lo_u32_b32 v1, -1, 0
	v_mbcnt_hi_u32_b32 v1, -1, v1
	v_and_b32_e32 v2, 64, v1
	v_add_u32_e32 v2, 64, v2
	v_cmp_eq_u32_e64 s[2:3], 0, v0
	v_xor_b32_e32 v0, 8, v1
	v_cmp_lt_i32_e32 vcc, v0, v2
	v_cndmask_b32_e32 v0, v1, v0, vcc
	v_lshlrev_b32_e32 v8, 2, v0
	v_xor_b32_e32 v0, 4, v1
	v_cmp_lt_i32_e32 vcc, v0, v2
	v_cndmask_b32_e32 v0, v1, v0, vcc
	v_lshlrev_b32_e32 v9, 2, v0
	;; [unrolled: 4-line block ×3, first 2 shown]
	v_xor_b32_e32 v0, 1, v1
	s_load_dwordx4 s[8:11], s[4:5], 0x30
	v_cmp_lt_i32_e32 vcc, v0, v2
	v_cndmask_b32_e32 v0, v1, v0, vcc
	s_lshl_b64 s[12:13], s[6:7], 6
	v_lshlrev_b32_e32 v11, 2, v0
	v_add_co_u32_e32 v0, vcc, v7, v6
	v_addc_co_u32_e64 v1, s[6:7], 0, 0, vcc
	v_mov_b32_e32 v3, s13
	v_add_co_u32_e32 v2, vcc, s12, v0
	v_addc_co_u32_e32 v3, vcc, v1, v3, vcc
	s_waitcnt lgkmcnt(0)
	s_cmp_lg_u64 s[8:9], 0
	v_lshlrev_b64 v[4:5], 1, v[2:3]
	s_cselect_b64 s[4:5], -1, 0
	s_cmp_lg_u64 s[10:11], 0
	v_mov_b32_e32 v3, s11
	v_add_co_u32_e32 v2, vcc, s10, v4
	v_add3_u32 v6, v12, v6, v7
	v_addc_co_u32_e32 v3, vcc, v3, v5, vcc
	v_lshl_add_u32 v12, v6, 2, 0
	v_cndmask_b32_e64 v6, 0, 1, s[4:5]
	s_cselect_b64 s[6:7], -1, 0
	v_mov_b32_e32 v13, s9
	v_add_co_u32_e32 v4, vcc, s8, v4
	v_cmp_ne_u32_e64 s[4:5], 1, v6
	v_cndmask_b32_e64 v6, 0, 1, s[6:7]
	s_mov_b64 s[14:15], 0
	v_addc_co_u32_e32 v5, vcc, v13, v5, vcc
	v_mov_b32_e32 v13, s13
	s_movk_i32 s10, 0x7fff
	v_mov_b32_e32 v14, 0x7fc0
	v_cmp_ne_u32_e64 s[6:7], 1, v6
                                        ; implicit-def: $vgpr6
	s_branch .LBB105_133
.LBB105_132:                            ;   in Loop: Header=BB105_133 Depth=1
	s_or_b64 exec, exec, s[8:9]
	v_add_co_u32_e32 v0, vcc, 16, v0
	v_addc_co_u32_e32 v1, vcc, 0, v1, vcc
	v_add_co_u32_e32 v2, vcc, 32, v2
	v_addc_co_u32_e32 v3, vcc, 0, v3, vcc
	v_add_co_u32_e32 v4, vcc, 32, v4
	v_add_u32_e32 v15, -16, v0
	v_addc_co_u32_e32 v5, vcc, 0, v5, vcc
	v_cmp_lt_u32_e32 vcc, 47, v15
	s_or_b64 s[14:15], vcc, s[14:15]
	v_add_u32_e32 v12, 64, v12
	s_andn2_b64 exec, exec, s[14:15]
	s_cbranch_execz .LBB105_140
.LBB105_133:                            ; =>This Inner Loop Header: Depth=1
	s_and_saveexec_b64 s[8:9], s[0:1]
	s_cbranch_execz .LBB105_135
; %bb.134:                              ;   in Loop: Header=BB105_133 Depth=1
	ds_read_b32 v7, v12
	ds_read_b32 v6, v12 offset:4160
.LBB105_135:                            ;   in Loop: Header=BB105_133 Depth=1
	s_or_b64 exec, exec, s[8:9]
	s_waitcnt lgkmcnt(1)
	ds_bpermute_b32 v17, v8, v7
	s_waitcnt lgkmcnt(1)
	ds_bpermute_b32 v16, v8, v6
	v_add_co_u32_e32 v18, vcc, s12, v0
	v_addc_co_u32_e32 v19, vcc, v13, v1, vcc
	s_waitcnt lgkmcnt(0)
	v_pk_add_f32 v[6:7], v[6:7], v[16:17]
	ds_bpermute_b32 v17, v9, v7
	ds_bpermute_b32 v16, v9, v6
	v_cmp_gt_i64_e32 vcc, s[38:39], v[18:19]
	s_and_b64 s[16:17], s[2:3], vcc
	s_waitcnt lgkmcnt(0)
	v_pk_add_f32 v[6:7], v[6:7], v[16:17]
	ds_bpermute_b32 v17, v10, v7
	ds_bpermute_b32 v16, v10, v6
	s_waitcnt lgkmcnt(0)
	v_pk_add_f32 v[6:7], v[6:7], v[16:17]
	ds_bpermute_b32 v17, v11, v7
	ds_bpermute_b32 v16, v11, v6
	s_waitcnt lgkmcnt(0)
	v_pk_add_f32 v[6:7], v[6:7], v[16:17]
	s_and_saveexec_b64 s[8:9], s[16:17]
	s_cbranch_execz .LBB105_132
; %bb.136:                              ;   in Loop: Header=BB105_133 Depth=1
	s_and_b64 vcc, exec, s[4:5]
	s_cbranch_vccnz .LBB105_138
; %bb.137:                              ;   in Loop: Header=BB105_133 Depth=1
	v_bfe_u32 v15, v7, 16, 1
	v_add3_u32 v15, v7, v15, s10
	v_lshrrev_b32_e32 v15, 16, v15
	v_cmp_o_f32_e32 vcc, v7, v7
	v_cndmask_b32_e32 v15, v14, v15, vcc
	global_store_short v[4:5], v15, off
.LBB105_138:                            ;   in Loop: Header=BB105_133 Depth=1
	s_and_b64 vcc, exec, s[6:7]
	s_cbranch_vccnz .LBB105_132
; %bb.139:                              ;   in Loop: Header=BB105_133 Depth=1
	v_bfe_u32 v15, v6, 16, 1
	v_add3_u32 v15, v6, v15, s10
	v_lshrrev_b32_e32 v15, 16, v15
	v_cmp_o_f32_e32 vcc, v6, v6
	v_cndmask_b32_e32 v15, v14, v15, vcc
	global_store_short v[2:3], v15, off
	s_branch .LBB105_132
.LBB105_140:
	s_endpgm
	.section	.rodata,"a",@progbits
	.p2align	6, 0x0
	.amdhsa_kernel _ZN2at6native12_GLOBAL__N_135GammaBetaBackwardCUDAKernelTemplateIN3c108BFloat16EfLj64ELj16ELj256ELb0ELb0ELb0EEEvllPKT_S7_PKT0_SA_PS5_SB_
		.amdhsa_group_segment_fixed_size 0
		.amdhsa_private_segment_fixed_size 448
		.amdhsa_kernarg_size 320
		.amdhsa_user_sgpr_count 6
		.amdhsa_user_sgpr_private_segment_buffer 1
		.amdhsa_user_sgpr_dispatch_ptr 0
		.amdhsa_user_sgpr_queue_ptr 0
		.amdhsa_user_sgpr_kernarg_segment_ptr 1
		.amdhsa_user_sgpr_dispatch_id 0
		.amdhsa_user_sgpr_flat_scratch_init 0
		.amdhsa_user_sgpr_kernarg_preload_length 0
		.amdhsa_user_sgpr_kernarg_preload_offset 0
		.amdhsa_user_sgpr_private_segment_size 0
		.amdhsa_uses_dynamic_stack 0
		.amdhsa_system_sgpr_private_segment_wavefront_offset 1
		.amdhsa_system_sgpr_workgroup_id_x 1
		.amdhsa_system_sgpr_workgroup_id_y 1
		.amdhsa_system_sgpr_workgroup_id_z 0
		.amdhsa_system_sgpr_workgroup_info 0
		.amdhsa_system_vgpr_workitem_id 1
		.amdhsa_next_free_vgpr 128
		.amdhsa_next_free_sgpr 56
		.amdhsa_accum_offset 128
		.amdhsa_reserve_vcc 1
		.amdhsa_reserve_flat_scratch 0
		.amdhsa_float_round_mode_32 0
		.amdhsa_float_round_mode_16_64 0
		.amdhsa_float_denorm_mode_32 3
		.amdhsa_float_denorm_mode_16_64 3
		.amdhsa_dx10_clamp 1
		.amdhsa_ieee_mode 1
		.amdhsa_fp16_overflow 0
		.amdhsa_tg_split 0
		.amdhsa_exception_fp_ieee_invalid_op 0
		.amdhsa_exception_fp_denorm_src 0
		.amdhsa_exception_fp_ieee_div_zero 0
		.amdhsa_exception_fp_ieee_overflow 0
		.amdhsa_exception_fp_ieee_underflow 0
		.amdhsa_exception_fp_ieee_inexact 0
		.amdhsa_exception_int_div_zero 0
	.end_amdhsa_kernel
	.section	.text._ZN2at6native12_GLOBAL__N_135GammaBetaBackwardCUDAKernelTemplateIN3c108BFloat16EfLj64ELj16ELj256ELb0ELb0ELb0EEEvllPKT_S7_PKT0_SA_PS5_SB_,"axG",@progbits,_ZN2at6native12_GLOBAL__N_135GammaBetaBackwardCUDAKernelTemplateIN3c108BFloat16EfLj64ELj16ELj256ELb0ELb0ELb0EEEvllPKT_S7_PKT0_SA_PS5_SB_,comdat
.Lfunc_end105:
	.size	_ZN2at6native12_GLOBAL__N_135GammaBetaBackwardCUDAKernelTemplateIN3c108BFloat16EfLj64ELj16ELj256ELb0ELb0ELb0EEEvllPKT_S7_PKT0_SA_PS5_SB_, .Lfunc_end105-_ZN2at6native12_GLOBAL__N_135GammaBetaBackwardCUDAKernelTemplateIN3c108BFloat16EfLj64ELj16ELj256ELb0ELb0ELb0EEEvllPKT_S7_PKT0_SA_PS5_SB_
                                        ; -- End function
	.section	.AMDGPU.csdata,"",@progbits
; Kernel info:
; codeLenInByte = 19068
; NumSgprs: 60
; NumVgprs: 128
; NumAgprs: 0
; TotalNumVgprs: 128
; ScratchSize: 448
; MemoryBound: 0
; FloatMode: 240
; IeeeMode: 1
; LDSByteSize: 0 bytes/workgroup (compile time only)
; SGPRBlocks: 7
; VGPRBlocks: 15
; NumSGPRsForWavesPerEU: 60
; NumVGPRsForWavesPerEU: 128
; AccumOffset: 128
; Occupancy: 4
; WaveLimiterHint : 0
; COMPUTE_PGM_RSRC2:SCRATCH_EN: 1
; COMPUTE_PGM_RSRC2:USER_SGPR: 6
; COMPUTE_PGM_RSRC2:TRAP_HANDLER: 0
; COMPUTE_PGM_RSRC2:TGID_X_EN: 1
; COMPUTE_PGM_RSRC2:TGID_Y_EN: 1
; COMPUTE_PGM_RSRC2:TGID_Z_EN: 0
; COMPUTE_PGM_RSRC2:TIDIG_COMP_CNT: 1
; COMPUTE_PGM_RSRC3_GFX90A:ACCUM_OFFSET: 31
; COMPUTE_PGM_RSRC3_GFX90A:TG_SPLIT: 0
	.section	.text._ZN2at6native12_GLOBAL__N_135GammaBetaBackwardCUDAKernelTemplateIN3c108BFloat16EfLj32ELj1ELj32ELb1ELb1ELb0EEEvllPKT_S7_PKT0_SA_PS5_SB_,"axG",@progbits,_ZN2at6native12_GLOBAL__N_135GammaBetaBackwardCUDAKernelTemplateIN3c108BFloat16EfLj32ELj1ELj32ELb1ELb1ELb0EEEvllPKT_S7_PKT0_SA_PS5_SB_,comdat
	.globl	_ZN2at6native12_GLOBAL__N_135GammaBetaBackwardCUDAKernelTemplateIN3c108BFloat16EfLj32ELj1ELj32ELb1ELb1ELb0EEEvllPKT_S7_PKT0_SA_PS5_SB_ ; -- Begin function _ZN2at6native12_GLOBAL__N_135GammaBetaBackwardCUDAKernelTemplateIN3c108BFloat16EfLj32ELj1ELj32ELb1ELb1ELb0EEEvllPKT_S7_PKT0_SA_PS5_SB_
	.p2align	8
	.type	_ZN2at6native12_GLOBAL__N_135GammaBetaBackwardCUDAKernelTemplateIN3c108BFloat16EfLj32ELj1ELj32ELb1ELb1ELb0EEEvllPKT_S7_PKT0_SA_PS5_SB_,@function
_ZN2at6native12_GLOBAL__N_135GammaBetaBackwardCUDAKernelTemplateIN3c108BFloat16EfLj32ELj1ELj32ELb1ELb1ELb0EEEvllPKT_S7_PKT0_SA_PS5_SB_: ; @_ZN2at6native12_GLOBAL__N_135GammaBetaBackwardCUDAKernelTemplateIN3c108BFloat16EfLj32ELj1ELj32ELb1ELb1ELb0EEEvllPKT_S7_PKT0_SA_PS5_SB_
; %bb.0:
	s_load_dwordx4 s[16:19], s[4:5], 0x0
	s_lshl_b32 s24, s7, 5
	s_mov_b32 s25, 0
	s_mov_b32 s2, s7
	v_bfe_u32 v12, v0, 10, 10
	s_waitcnt lgkmcnt(0)
	v_pk_mov_b32 v[2:3], s[16:17], s[16:17] op_sel:[0,1]
	v_cmp_lt_i64_e32 vcc, s[24:25], v[2:3]
	s_cbranch_vccnz .LBB106_2
; %bb.1:
	s_add_u32 s26, s4, 64
	s_addc_u32 s27, s5, 0
	s_mov_b64 s[0:1], 0
	v_bfe_u32 v2, v0, 10, 10
	s_branch .LBB106_3
.LBB106_2:
	s_mov_b64 s[0:1], -1
                                        ; implicit-def: $sgpr26_sgpr27
                                        ; implicit-def: $vgpr2
.LBB106_3:
	s_load_dwordx4 s[20:23], s[4:5], 0x30
	v_and_b32_e32 v13, 0x3ff, v0
	s_andn2_b64 vcc, exec, s[0:1]
	v_mov_b32_e32 v7, s25
	v_mov_b32_e32 v6, s25
	s_cbranch_vccnz .LBB106_11
; %bb.4:
	s_load_dword s0, s[4:5], 0x4c
	s_load_dword s3, s[4:5], 0x44
	s_load_dwordx8 s[8:15], s[4:5], 0x10
	v_mbcnt_lo_u32_b32 v2, -1, 0
	s_add_u32 s26, s4, 64
	v_mbcnt_hi_u32_b32 v2, -1, v2
	s_addc_u32 s27, s5, 0
	s_waitcnt lgkmcnt(0)
	s_and_b32 s0, s0, 0xffff
	v_lshlrev_b32_e32 v1, 5, v12
	v_lshlrev_b32_e32 v2, 2, v2
	v_mad_u32_u24 v0, v12, s0, v13
	v_and_b32_e32 v14, 0x100, v2
	v_mov_b32_e32 v2, s25
	v_add_co_u32_e32 v4, vcc, s24, v1
	v_and_b32_e32 v0, 63, v0
	v_addc_co_u32_e32 v5, vcc, 0, v2, vcc
	v_cmp_gt_u32_e64 s[0:1], 32, v0
	v_add_co_u32_e32 v0, vcc, v4, v0
	v_addc_co_u32_e32 v1, vcc, 0, v5, vcc
	v_mul_lo_u32 v8, s19, v4
	v_mul_lo_u32 v9, s18, v5
	v_mad_u64_u32 v[4:5], s[30:31], s18, v4, 0
	v_mov_b32_e32 v7, 0
	v_lshl_add_u32 v6, s6, 5, v13
	s_lshl_b32 s4, s3, 5
	v_add3_u32 v5, v5, v9, v8
	v_lshlrev_b64 v[4:5], 1, v[4:5]
	v_lshlrev_b64 v[8:9], 1, v[6:7]
	s_mul_i32 s3, s19, s4
	s_mul_hi_u32 s7, s18, s4
	s_mov_b32 s5, 0
	v_add_co_u32_e32 v4, vcc, v4, v8
	s_add_i32 s31, s7, s3
	s_mul_i32 s30, s18, s4
	v_or_b32_e32 v15, 4, v14
	v_or_b32_e32 v16, 8, v14
	;; [unrolled: 1-line block ×31, first 2 shown]
	v_lshlrev_b64 v[2:3], 2, v[0:1]
	s_lshl_b64 s[28:29], s[4:5], 2
	v_addc_co_u32_e32 v5, vcc, v5, v9, vcc
	s_lshl_b64 s[30:31], s[30:31], 1
	s_lshl_b64 s[34:35], s[18:19], 1
	v_mov_b32_e32 v6, v7
	s_branch .LBB106_7
.LBB106_5:                              ;   in Loop: Header=BB106_7 Depth=1
	s_or_b64 exec, exec, s[38:39]
.LBB106_6:                              ;   in Loop: Header=BB106_7 Depth=1
	s_or_b64 exec, exec, s[36:37]
	v_mov_b32_e32 v9, s9
	v_add_co_u32_e32 v8, vcc, s8, v4
	v_addc_co_u32_e32 v9, vcc, v9, v5, vcc
	v_mov_b32_e32 v11, s11
	v_add_co_u32_e32 v10, vcc, s10, v4
	v_addc_co_u32_e32 v11, vcc, v11, v5, vcc
	global_load_ushort v51, v[10:11], off
	global_load_ushort v49, v[8:9], off
	v_mov_b32_e32 v48, s35
	v_add_co_u32_e32 v8, vcc, s34, v8
	v_addc_co_u32_e32 v9, vcc, v9, v48, vcc
	v_add_co_u32_e32 v10, vcc, s34, v10
	v_addc_co_u32_e32 v11, vcc, v11, v48, vcc
	global_load_ushort v52, v[10:11], off
	global_load_ushort v50, v[8:9], off
	v_add_co_u32_e32 v10, vcc, s34, v10
	v_addc_co_u32_e32 v11, vcc, v11, v48, vcc
	v_add_co_u32_e32 v8, vcc, s34, v8
	global_load_ushort v53, v[10:11], off
	v_addc_co_u32_e32 v9, vcc, v9, v48, vcc
	global_load_ushort v54, v[8:9], off
	v_add_co_u32_e32 v10, vcc, s34, v10
	v_addc_co_u32_e32 v11, vcc, v11, v48, vcc
	v_add_co_u32_e32 v8, vcc, s34, v8
	global_load_ushort v55, v[10:11], off
	v_addc_co_u32_e32 v9, vcc, v9, v48, vcc
	;; [unrolled: 6-line block ×3, first 2 shown]
	global_load_ushort v60, v[8:9], off
	v_add_co_u32_e32 v10, vcc, s34, v10
	v_addc_co_u32_e32 v11, vcc, v11, v48, vcc
	global_load_ushort v61, v[10:11], off
	v_add_co_u32_e32 v8, vcc, s34, v8
	v_addc_co_u32_e32 v9, vcc, v9, v48, vcc
	v_add_co_u32_e32 v58, vcc, s34, v10
	global_load_ushort v62, v[8:9], off
	v_addc_co_u32_e32 v59, vcc, v11, v48, vcc
	v_add_co_u32_e32 v10, vcc, s34, v8
	v_addc_co_u32_e32 v11, vcc, v9, v48, vcc
	global_load_ushort v63, v[58:59], off
	global_load_ushort v64, v[10:11], off
	v_add_co_u32_e32 v8, vcc, s34, v58
	v_addc_co_u32_e32 v9, vcc, v59, v48, vcc
	v_add_co_u32_e32 v10, vcc, s34, v10
	v_addc_co_u32_e32 v11, vcc, v11, v48, vcc
	global_load_ushort v65, v[8:9], off
	global_load_ushort v66, v[10:11], off
	v_add_co_u32_e32 v8, vcc, s34, v8
	v_addc_co_u32_e32 v9, vcc, v9, v48, vcc
	v_add_co_u32_e32 v10, vcc, s34, v10
	global_load_ushort v67, v[8:9], off
	v_addc_co_u32_e32 v11, vcc, v11, v48, vcc
	global_load_ushort v68, v[10:11], off
	v_add_co_u32_e32 v8, vcc, s34, v8
	v_addc_co_u32_e32 v9, vcc, v9, v48, vcc
	v_add_co_u32_e32 v10, vcc, s34, v10
	global_load_ushort v69, v[8:9], off
	v_addc_co_u32_e32 v11, vcc, v11, v48, vcc
	global_load_ushort v70, v[10:11], off
	s_waitcnt vmcnt(21)
	ds_bpermute_b32 v58, v14, v47
	s_waitcnt vmcnt(20)
	ds_bpermute_b32 v59, v14, v46
	s_waitcnt vmcnt(19)
	v_lshlrev_b32_e32 v51, 16, v51
	s_waitcnt vmcnt(17)
	v_lshlrev_b32_e32 v52, 16, v52
	s_waitcnt vmcnt(16)
	v_lshlrev_b32_e32 v50, 16, v50
	s_waitcnt lgkmcnt(1)
	v_sub_f32_e32 v51, v51, v58
	v_lshlrev_b32_e32 v58, 16, v49
	ds_bpermute_b32 v49, v15, v47
	v_mul_f32_e32 v51, v51, v58
	s_waitcnt lgkmcnt(1)
	v_mul_f32_e32 v59, v51, v59
	ds_bpermute_b32 v51, v15, v46
	s_waitcnt vmcnt(15)
	v_lshlrev_b32_e32 v53, 16, v53
	s_waitcnt lgkmcnt(1)
	v_sub_f32_e32 v49, v52, v49
	ds_bpermute_b32 v52, v16, v47
	v_mul_f32_e32 v49, v49, v50
	s_waitcnt lgkmcnt(1)
	v_mul_f32_e32 v51, v49, v51
	ds_bpermute_b32 v49, v16, v46
	v_add_co_u32_e32 v8, vcc, s34, v8
	s_waitcnt lgkmcnt(1)
	v_sub_f32_e32 v53, v53, v52
	s_waitcnt vmcnt(14)
	v_lshlrev_b32_e32 v52, 16, v54
	ds_bpermute_b32 v54, v17, v47
	v_mul_f32_e32 v53, v53, v52
	v_pk_add_f32 v[6:7], v[6:7], v[58:59]
	s_waitcnt lgkmcnt(1)
	v_mul_f32_e32 v53, v53, v49
	ds_bpermute_b32 v49, v17, v46
	v_addc_co_u32_e32 v9, vcc, v9, v48, vcc
	v_pk_add_f32 v[6:7], v[6:7], v[50:51]
	v_pk_add_f32 v[6:7], v[6:7], v[52:53]
	global_load_ushort v52, v[8:9], off
	s_waitcnt vmcnt(14)
	v_lshlrev_b32_e32 v55, 16, v55
	s_waitcnt lgkmcnt(1)
	v_sub_f32_e32 v55, v55, v54
	s_waitcnt vmcnt(13)
	v_lshlrev_b32_e32 v54, 16, v56
	ds_bpermute_b32 v56, v18, v47
	v_mul_f32_e32 v55, v55, v54
	s_waitcnt lgkmcnt(1)
	v_mul_f32_e32 v55, v55, v49
	ds_bpermute_b32 v49, v18, v46
	s_waitcnt vmcnt(12)
	v_lshlrev_b32_e32 v57, 16, v57
	s_waitcnt lgkmcnt(1)
	v_sub_f32_e32 v57, v57, v56
	s_waitcnt vmcnt(11)
	v_lshlrev_b32_e32 v56, 16, v60
	ds_bpermute_b32 v60, v19, v47
	v_mul_f32_e32 v57, v57, v56
	s_waitcnt lgkmcnt(1)
	v_mul_f32_e32 v57, v57, v49
	s_waitcnt vmcnt(10)
	v_lshlrev_b32_e32 v49, 16, v61
	ds_bpermute_b32 v61, v19, v46
	s_waitcnt lgkmcnt(1)
	v_sub_f32_e32 v49, v49, v60
	s_waitcnt vmcnt(9)
	v_lshlrev_b32_e32 v60, 16, v62
	ds_bpermute_b32 v62, v20, v47
	v_mul_f32_e32 v49, v49, v60
	s_waitcnt lgkmcnt(1)
	v_mul_f32_e32 v61, v49, v61
	s_waitcnt vmcnt(8)
	v_lshlrev_b32_e32 v49, 16, v63
	ds_bpermute_b32 v63, v20, v46
	;; [unrolled: 11-line block ×3, first 2 shown]
	s_waitcnt lgkmcnt(1)
	v_sub_f32_e32 v49, v49, v64
	s_waitcnt vmcnt(5)
	v_lshlrev_b32_e32 v64, 16, v66
	ds_bpermute_b32 v66, v22, v47
	v_mul_f32_e32 v49, v49, v64
	s_waitcnt lgkmcnt(1)
	v_mul_f32_e32 v65, v49, v65
	ds_bpermute_b32 v49, v22, v46
	s_waitcnt vmcnt(4)
	v_lshlrev_b32_e32 v67, 16, v67
	s_waitcnt lgkmcnt(1)
	v_sub_f32_e32 v67, v67, v66
	ds_bpermute_b32 v71, v23, v46
	s_waitcnt vmcnt(3)
	v_lshlrev_b32_e32 v66, 16, v68
	v_mul_f32_e32 v67, v67, v66
	s_waitcnt lgkmcnt(1)
	v_mul_f32_e32 v67, v67, v49
	ds_bpermute_b32 v49, v23, v47
	v_add_co_u32_e32 v10, vcc, s34, v10
	v_addc_co_u32_e32 v11, vcc, v11, v48, vcc
	s_waitcnt vmcnt(2)
	v_lshlrev_b32_e32 v68, 16, v69
	s_waitcnt lgkmcnt(0)
	v_sub_f32_e32 v49, v68, v49
	s_waitcnt vmcnt(1)
	v_lshlrev_b32_e32 v68, 16, v70
	v_mul_f32_e32 v49, v49, v68
	v_mul_f32_e32 v69, v49, v71
	v_add_co_u32_e32 v50, vcc, s34, v10
	global_load_ushort v49, v[10:11], off
	v_addc_co_u32_e32 v51, vcc, v11, v48, vcc
	v_add_co_u32_e32 v8, vcc, s34, v8
	v_addc_co_u32_e32 v9, vcc, v9, v48, vcc
	global_load_ushort v59, v[8:9], off
	global_load_ushort v58, v[50:51], off
	v_add_co_u32_e32 v10, vcc, s34, v50
	v_pk_add_f32 v[6:7], v[6:7], v[54:55]
	v_addc_co_u32_e32 v11, vcc, v51, v48, vcc
	v_pk_add_f32 v[6:7], v[6:7], v[56:57]
	v_add_co_u32_e32 v8, vcc, s34, v8
	v_pk_add_f32 v[6:7], v[6:7], v[60:61]
	v_addc_co_u32_e32 v9, vcc, v9, v48, vcc
	global_load_ushort v60, v[10:11], off
	global_load_ushort v61, v[8:9], off
	v_add_co_u32_e32 v50, vcc, s34, v10
	v_addc_co_u32_e32 v51, vcc, v11, v48, vcc
	v_add_co_u32_e32 v8, vcc, s34, v8
	v_addc_co_u32_e32 v9, vcc, v9, v48, vcc
	v_pk_add_f32 v[6:7], v[6:7], v[62:63]
	global_load_ushort v62, v[8:9], off
	global_load_ushort v63, v[50:51], off
	v_add_co_u32_e32 v10, vcc, s34, v8
	v_addc_co_u32_e32 v11, vcc, v9, v48, vcc
	v_add_co_u32_e32 v8, vcc, s34, v50
	v_pk_add_f32 v[6:7], v[6:7], v[64:65]
	v_addc_co_u32_e32 v9, vcc, v51, v48, vcc
	global_load_ushort v64, v[10:11], off
	global_load_ushort v65, v[8:9], off
	v_add_co_u32_e32 v10, vcc, s34, v10
	v_addc_co_u32_e32 v11, vcc, v11, v48, vcc
	v_add_co_u32_e32 v8, vcc, s34, v8
	v_addc_co_u32_e32 v9, vcc, v9, v48, vcc
	global_load_ushort v70, v[10:11], off
	v_add_co_u32_e32 v50, vcc, s34, v10
	global_load_ushort v71, v[8:9], off
	v_addc_co_u32_e32 v51, vcc, v11, v48, vcc
	v_add_co_u32_e32 v10, vcc, s34, v8
	v_addc_co_u32_e32 v11, vcc, v9, v48, vcc
	v_add_co_u32_e32 v8, vcc, s34, v50
	global_load_ushort v72, v[50:51], off
	v_addc_co_u32_e32 v9, vcc, v51, v48, vcc
	global_load_ushort v73, v[10:11], off
	v_add_co_u32_e32 v50, vcc, s34, v10
	v_addc_co_u32_e32 v51, vcc, v11, v48, vcc
	v_add_co_u32_e32 v10, vcc, s34, v8
	v_addc_co_u32_e32 v11, vcc, v9, v48, vcc
	global_load_ushort v74, v[8:9], off
	global_load_ushort v75, v[50:51], off
	v_add_co_u32_e32 v8, vcc, s34, v50
	v_addc_co_u32_e32 v9, vcc, v51, v48, vcc
	global_load_ushort v76, v[10:11], off
	global_load_ushort v77, v[8:9], off
	v_add_co_u32_e32 v10, vcc, s34, v10
	v_addc_co_u32_e32 v11, vcc, v11, v48, vcc
	v_add_co_u32_e32 v8, vcc, s34, v8
	global_load_ushort v78, v[10:11], off
	v_addc_co_u32_e32 v9, vcc, v9, v48, vcc
	global_load_ushort v79, v[8:9], off
	s_waitcnt vmcnt(19)
	v_lshlrev_b32_e32 v56, 16, v52
	v_add_co_u32_e32 v52, vcc, s34, v10
	v_addc_co_u32_e32 v53, vcc, v11, v48, vcc
	v_add_co_u32_e32 v54, vcc, s34, v8
	global_load_ushort v80, v[52:53], off
	v_addc_co_u32_e32 v55, vcc, v9, v48, vcc
	global_load_ushort v81, v[54:55], off
	v_pk_add_f32 v[6:7], v[6:7], v[66:67]
	v_pk_add_f32 v[50:51], v[6:7], v[68:69]
	ds_bpermute_b32 v6, v24, v47
	ds_bpermute_b32 v7, v24, v46
	;; [unrolled: 1-line block ×3, first 2 shown]
	s_waitcnt vmcnt(18)
	v_lshlrev_b32_e32 v58, 16, v58
	s_waitcnt vmcnt(17)
	v_lshlrev_b32_e32 v60, 16, v60
	s_waitcnt lgkmcnt(2)
	v_sub_f32_e32 v6, v56, v6
	v_lshlrev_b32_e32 v56, 16, v49
	v_mul_f32_e32 v6, v6, v56
	s_waitcnt lgkmcnt(1)
	v_mul_f32_e32 v57, v6, v7
	ds_bpermute_b32 v6, v25, v46
	v_lshlrev_b32_e32 v7, 16, v59
	s_waitcnt lgkmcnt(1)
	v_sub_f32_e32 v7, v7, v8
	ds_bpermute_b32 v8, v26, v47
	v_mul_f32_e32 v7, v7, v58
	s_waitcnt lgkmcnt(1)
	v_mul_f32_e32 v59, v7, v6
	ds_bpermute_b32 v6, v26, v46
	s_waitcnt vmcnt(16)
	v_lshlrev_b32_e32 v7, 16, v61
	s_waitcnt lgkmcnt(1)
	v_sub_f32_e32 v7, v7, v8
	ds_bpermute_b32 v8, v27, v47
	v_mul_f32_e32 v7, v7, v60
	s_waitcnt lgkmcnt(1)
	v_mul_f32_e32 v61, v7, v6
	ds_bpermute_b32 v6, v27, v46
	s_waitcnt vmcnt(15)
	v_lshlrev_b32_e32 v7, 16, v62
	s_waitcnt lgkmcnt(1)
	v_sub_f32_e32 v7, v7, v8
	s_waitcnt vmcnt(14)
	v_lshlrev_b32_e32 v62, 16, v63
	ds_bpermute_b32 v8, v28, v47
	v_mul_f32_e32 v7, v7, v62
	s_waitcnt lgkmcnt(1)
	v_mul_f32_e32 v63, v7, v6
	ds_bpermute_b32 v6, v28, v46
	s_waitcnt vmcnt(13)
	v_lshlrev_b32_e32 v7, 16, v64
	s_waitcnt lgkmcnt(1)
	v_sub_f32_e32 v7, v7, v8
	s_waitcnt vmcnt(12)
	v_lshlrev_b32_e32 v64, 16, v65
	;; [unrolled: 11-line block ×4, first 2 shown]
	ds_bpermute_b32 v8, v31, v47
	v_mul_f32_e32 v6, v6, v68
	s_waitcnt lgkmcnt(1)
	v_mul_f32_e32 v69, v6, v7
	ds_bpermute_b32 v7, v31, v46
	ds_bpermute_b32 v9, v32, v47
	s_waitcnt vmcnt(7)
	v_lshlrev_b32_e32 v6, 16, v74
	s_waitcnt lgkmcnt(2)
	v_sub_f32_e32 v8, v6, v8
	s_waitcnt vmcnt(6)
	v_lshlrev_b32_e32 v6, 16, v75
	ds_bpermute_b32 v10, v32, v46
	v_mul_f32_e32 v8, v8, v6
	ds_bpermute_b32 v11, v33, v47
	s_waitcnt lgkmcnt(3)
	v_mul_f32_e32 v7, v8, v7
	s_waitcnt vmcnt(5)
	v_lshlrev_b32_e32 v8, 16, v76
	s_waitcnt lgkmcnt(2)
	v_sub_f32_e32 v9, v8, v9
	s_waitcnt vmcnt(4)
	v_lshlrev_b32_e32 v8, 16, v77
	ds_bpermute_b32 v49, v33, v46
	v_mul_f32_e32 v9, v9, v8
	s_waitcnt lgkmcnt(2)
	v_mul_f32_e32 v9, v9, v10
	s_waitcnt vmcnt(3)
	v_lshlrev_b32_e32 v10, 16, v78
	s_waitcnt lgkmcnt(1)
	v_sub_f32_e32 v11, v10, v11
	s_waitcnt vmcnt(2)
	v_lshlrev_b32_e32 v10, 16, v79
	v_mul_f32_e32 v11, v11, v10
	v_add_co_u32_e32 v52, vcc, s34, v52
	s_waitcnt lgkmcnt(0)
	v_mul_f32_e32 v11, v11, v49
	v_addc_co_u32_e32 v53, vcc, v53, v48, vcc
	ds_bpermute_b32 v49, v34, v47
	v_add_co_u32_e32 v54, vcc, s34, v54
	v_addc_co_u32_e32 v55, vcc, v55, v48, vcc
	ds_bpermute_b32 v71, v34, v46
	v_pk_add_f32 v[50:51], v[50:51], v[56:57]
	v_add_co_u32_e32 v56, vcc, s34, v54
	s_waitcnt vmcnt(1)
	v_lshlrev_b32_e32 v70, 16, v80
	v_addc_co_u32_e32 v57, vcc, v55, v48, vcc
	s_waitcnt lgkmcnt(1)
	v_sub_f32_e32 v49, v70, v49
	s_waitcnt vmcnt(0)
	v_lshlrev_b32_e32 v70, 16, v81
	v_pk_add_f32 v[50:51], v[50:51], v[58:59]
	global_load_ushort v58, v[52:53], off
	v_add_co_u32_e32 v52, vcc, s34, v52
	v_mul_f32_e32 v49, v49, v70
	v_addc_co_u32_e32 v53, vcc, v53, v48, vcc
	s_waitcnt lgkmcnt(0)
	v_mul_f32_e32 v71, v49, v71
	global_load_ushort v49, v[54:55], off
	v_add_co_u32_e32 v54, vcc, s34, v56
	v_addc_co_u32_e32 v55, vcc, v57, v48, vcc
	v_pk_add_f32 v[50:51], v[50:51], v[60:61]
	global_load_ushort v59, v[56:57], off
	global_load_ushort v60, v[52:53], off
	v_add_co_u32_e32 v52, vcc, s34, v52
	v_addc_co_u32_e32 v53, vcc, v53, v48, vcc
	v_add_co_u32_e32 v56, vcc, s34, v54
	v_addc_co_u32_e32 v57, vcc, v55, v48, vcc
	v_pk_add_f32 v[50:51], v[50:51], v[62:63]
	global_load_ushort v61, v[54:55], off
	global_load_ushort v62, v[52:53], off
	v_add_co_u32_e32 v52, vcc, s34, v52
	v_addc_co_u32_e32 v53, vcc, v53, v48, vcc
	;; [unrolled: 7-line block ×3, first 2 shown]
	v_pk_add_f32 v[50:51], v[50:51], v[66:67]
	global_load_ushort v65, v[54:55], off
	global_load_ushort v66, v[52:53], off
	v_add_co_u32_e32 v54, vcc, s34, v54
	v_addc_co_u32_e32 v55, vcc, v55, v48, vcc
	v_add_co_u32_e32 v52, vcc, s34, v52
	v_addc_co_u32_e32 v53, vcc, v53, v48, vcc
	;; [unrolled: 2-line block ×3, first 2 shown]
	global_load_ushort v67, v[54:55], off
	v_add_co_u32_e32 v54, vcc, s34, v52
	v_addc_co_u32_e32 v55, vcc, v53, v48, vcc
	v_pk_add_f32 v[50:51], v[50:51], v[68:69]
	global_load_ushort v68, v[52:53], off
	v_add_co_u32_e32 v52, vcc, s34, v56
	v_addc_co_u32_e32 v53, vcc, v57, v48, vcc
	global_load_ushort v69, v[56:57], off
	v_add_co_u32_e32 v56, vcc, s34, v54
	v_addc_co_u32_e32 v57, vcc, v55, v48, vcc
	;; [unrolled: 3-line block ×8, first 2 shown]
	global_load_ushort v78, v[54:55], off
	global_load_ushort v79, v[56:57], off
	;; [unrolled: 1-line block ×3, first 2 shown]
	v_pk_add_f32 v[6:7], v[50:51], v[6:7]
	v_pk_add_f32 v[6:7], v[6:7], v[8:9]
	ds_bpermute_b32 v8, v35, v47
	ds_bpermute_b32 v9, v35, v46
	v_pk_add_f32 v[6:7], v[6:7], v[10:11]
	ds_bpermute_b32 v11, v36, v47
	s_waitcnt vmcnt(21)
	v_lshlrev_b32_e32 v10, 16, v58
	s_waitcnt lgkmcnt(2)
	v_sub_f32_e32 v10, v10, v8
	s_waitcnt vmcnt(20)
	v_lshlrev_b32_e32 v8, 16, v49
	ds_bpermute_b32 v48, v36, v46
	v_mul_f32_e32 v10, v10, v8
	ds_bpermute_b32 v49, v37, v47
	s_waitcnt lgkmcnt(3)
	v_mul_f32_e32 v9, v10, v9
	s_waitcnt vmcnt(18)
	v_lshlrev_b32_e32 v10, 16, v60
	s_waitcnt lgkmcnt(2)
	v_sub_f32_e32 v11, v10, v11
	v_lshlrev_b32_e32 v10, 16, v59
	ds_bpermute_b32 v50, v37, v46
	v_mul_f32_e32 v11, v11, v10
	ds_bpermute_b32 v51, v38, v47
	s_waitcnt lgkmcnt(3)
	v_mul_f32_e32 v11, v11, v48
	s_waitcnt vmcnt(16)
	v_lshlrev_b32_e32 v48, 16, v62
	s_waitcnt lgkmcnt(2)
	v_sub_f32_e32 v49, v48, v49
	;; [unrolled: 10-line block ×3, first 2 shown]
	s_waitcnt vmcnt(14)
	v_lshlrev_b32_e32 v50, 16, v64
	ds_bpermute_b32 v54, v39, v46
	v_mul_f32_e32 v51, v51, v50
	ds_bpermute_b32 v55, v40, v47
	s_waitcnt lgkmcnt(3)
	v_mul_f32_e32 v51, v51, v52
	s_waitcnt vmcnt(13)
	v_lshlrev_b32_e32 v52, 16, v65
	s_waitcnt lgkmcnt(2)
	v_sub_f32_e32 v53, v52, v53
	s_waitcnt vmcnt(12)
	v_lshlrev_b32_e32 v52, 16, v66
	ds_bpermute_b32 v56, v40, v46
	v_mul_f32_e32 v53, v53, v52
	ds_bpermute_b32 v57, v41, v47
	s_waitcnt lgkmcnt(3)
	v_mul_f32_e32 v53, v53, v54
	s_waitcnt vmcnt(11)
	v_lshlrev_b32_e32 v54, 16, v67
	s_waitcnt lgkmcnt(2)
	v_sub_f32_e32 v55, v54, v55
	;; [unrolled: 11-line block ×3, first 2 shown]
	s_waitcnt vmcnt(8)
	v_lshlrev_b32_e32 v56, 16, v72
	ds_bpermute_b32 v60, v42, v46
	v_mul_f32_e32 v57, v57, v56
	ds_bpermute_b32 v61, v43, v47
	v_pk_add_f32 v[6:7], v[6:7], v[70:71]
	s_waitcnt lgkmcnt(3)
	v_mul_f32_e32 v57, v57, v58
	s_waitcnt vmcnt(7)
	v_lshlrev_b32_e32 v58, 16, v73
	s_waitcnt lgkmcnt(2)
	v_sub_f32_e32 v59, v58, v59
	ds_bpermute_b32 v62, v43, v46
	s_waitcnt vmcnt(6)
	v_lshlrev_b32_e32 v58, 16, v74
	v_pk_add_f32 v[6:7], v[6:7], v[8:9]
	v_mul_f32_e32 v59, v59, v58
	ds_bpermute_b32 v63, v44, v47
	v_pk_add_f32 v[6:7], v[6:7], v[10:11]
	s_waitcnt lgkmcnt(3)
	v_mul_f32_e32 v59, v59, v60
	s_waitcnt vmcnt(5)
	v_lshlrev_b32_e32 v60, 16, v75
	v_pk_add_f32 v[6:7], v[6:7], v[48:49]
	ds_bpermute_b32 v10, v45, v47
	s_waitcnt lgkmcnt(3)
	v_sub_f32_e32 v61, v60, v61
	s_waitcnt vmcnt(4)
	v_lshlrev_b32_e32 v60, 16, v76
	ds_bpermute_b32 v64, v44, v46
	v_pk_add_f32 v[6:7], v[6:7], v[50:51]
	v_mul_f32_e32 v61, v61, v60
	v_pk_add_f32 v[6:7], v[6:7], v[52:53]
	ds_bpermute_b32 v11, v45, v46
	s_waitcnt lgkmcnt(4)
	v_mul_f32_e32 v61, v61, v62
	s_waitcnt vmcnt(3)
	v_lshlrev_b32_e32 v62, 16, v77
	v_pk_add_f32 v[6:7], v[6:7], v[54:55]
	s_waitcnt lgkmcnt(3)
	v_sub_f32_e32 v63, v62, v63
	s_waitcnt vmcnt(2)
	v_lshlrev_b32_e32 v62, 16, v78
	s_waitcnt vmcnt(0)
	v_lshlrev_b32_e32 v9, 16, v80
	v_pk_add_f32 v[6:7], v[6:7], v[56:57]
	v_mul_f32_e32 v63, v63, v62
	v_lshlrev_b32_e32 v8, 16, v79
	v_pk_add_f32 v[6:7], v[6:7], v[58:59]
	s_waitcnt lgkmcnt(2)
	v_sub_f32_e32 v9, v9, v10
	s_waitcnt lgkmcnt(1)
	v_mul_f32_e32 v63, v63, v64
	v_pk_add_f32 v[6:7], v[6:7], v[60:61]
	v_mul_f32_e32 v9, v9, v8
	v_pk_add_f32 v[6:7], v[6:7], v[62:63]
	s_waitcnt lgkmcnt(0)
	v_mul_f32_e32 v9, v9, v11
	v_pk_add_f32 v[6:7], v[6:7], v[8:9]
	v_mov_b32_e32 v8, s29
	v_add_co_u32_e32 v2, vcc, s28, v2
	v_addc_co_u32_e32 v3, vcc, v3, v8, vcc
	v_mov_b32_e32 v8, s5
	v_add_co_u32_e32 v0, vcc, s4, v0
	v_addc_co_u32_e32 v1, vcc, v1, v8, vcc
	s_add_u32 s24, s24, s4
	v_mov_b32_e32 v8, s31
	v_add_co_u32_e32 v4, vcc, s30, v4
	s_addc_u32 s25, s25, 0
	v_addc_co_u32_e32 v5, vcc, v5, v8, vcc
	v_pk_mov_b32 v[8:9], s[16:17], s[16:17] op_sel:[0,1]
	v_cmp_lt_i64_e32 vcc, s[24:25], v[8:9]
	s_cbranch_vccz .LBB106_10
.LBB106_7:                              ; =>This Inner Loop Header: Depth=1
	v_mov_b32_e32 v46, 0
	v_mov_b32_e32 v47, 0
	s_and_saveexec_b64 s[36:37], s[0:1]
	s_cbranch_execz .LBB106_6
; %bb.8:                                ;   in Loop: Header=BB106_7 Depth=1
	v_cmp_gt_i64_e32 vcc, s[16:17], v[0:1]
	v_mov_b32_e32 v47, 0
	v_mov_b32_e32 v46, 0
	s_and_saveexec_b64 s[38:39], vcc
	s_cbranch_execz .LBB106_5
; %bb.9:                                ;   in Loop: Header=BB106_7 Depth=1
	v_mov_b32_e32 v9, s15
	v_add_co_u32_e32 v8, vcc, s14, v2
	v_addc_co_u32_e32 v9, vcc, v9, v3, vcc
	v_mov_b32_e32 v11, s13
	v_add_co_u32_e32 v10, vcc, s12, v2
	v_addc_co_u32_e32 v11, vcc, v11, v3, vcc
	global_load_dword v47, v[10:11], off
	global_load_dword v46, v[8:9], off
	s_branch .LBB106_5
.LBB106_10:
	v_mov_b32_e32 v2, v12
.LBB106_11:
	s_mov_b32 s7, 0
	s_lshl_b64 s[0:1], s[6:7], 5
	v_mov_b32_e32 v1, s1
	s_load_dword s1, s[26:27], 0xc
	v_mov_b32_e32 v3, 0
	v_add_co_u32_e32 v0, vcc, s0, v13
	v_mov_b32_e32 v4, s2
	s_waitcnt lgkmcnt(0)
	s_lshr_b32 s0, s1, 16
	v_addc_co_u32_e32 v1, vcc, 0, v1, vcc
	v_mad_u64_u32 v[2:3], s[0:1], s0, v4, v[2:3]
	s_cmp_eq_u64 s[20:21], 0
	v_mul_lo_u32 v3, v3, s18
	v_mul_lo_u32 v4, v2, s19
	v_lshlrev_b64 v[0:1], 1, v[0:1]
	s_cbranch_scc1 .LBB106_13
; %bb.12:
	v_bfe_u32 v5, v7, 16, 1
	s_movk_i32 s0, 0x7fff
	v_add3_u32 v5, v7, v5, s0
	v_lshrrev_b32_e32 v5, 16, v5
	v_mov_b32_e32 v8, 0x7fc0
	v_cmp_o_f32_e32 vcc, v7, v7
	v_cndmask_b32_e32 v5, v8, v5, vcc
	v_mad_u64_u32 v[8:9], s[0:1], v2, s18, 0
	v_add3_u32 v9, v9, v4, v3
	v_lshlrev_b64 v[8:9], 1, v[8:9]
	v_mov_b32_e32 v7, s21
	v_add_co_u32_e32 v8, vcc, s20, v8
	v_addc_co_u32_e32 v7, vcc, v7, v9, vcc
	v_add_co_u32_e32 v8, vcc, v8, v0
	v_addc_co_u32_e32 v9, vcc, v7, v1, vcc
	global_store_short v[8:9], v5, off
.LBB106_13:
	s_cmp_eq_u64 s[22:23], 0
	s_cbranch_scc1 .LBB106_15
; %bb.14:
	v_bfe_u32 v5, v6, 16, 1
	s_movk_i32 s0, 0x7fff
	v_add3_u32 v5, v6, v5, s0
	v_lshrrev_b32_e32 v5, 16, v5
	v_mov_b32_e32 v7, 0x7fc0
	v_cmp_o_f32_e32 vcc, v6, v6
	v_cndmask_b32_e32 v5, v7, v5, vcc
	v_mad_u64_u32 v[6:7], s[0:1], v2, s18, 0
	v_add3_u32 v7, v7, v4, v3
	v_lshlrev_b64 v[2:3], 1, v[6:7]
	v_mov_b32_e32 v4, s23
	v_add_co_u32_e32 v2, vcc, s22, v2
	v_addc_co_u32_e32 v3, vcc, v4, v3, vcc
	v_add_co_u32_e32 v0, vcc, v2, v0
	v_addc_co_u32_e32 v1, vcc, v3, v1, vcc
	global_store_short v[0:1], v5, off
.LBB106_15:
	s_endpgm
	.section	.rodata,"a",@progbits
	.p2align	6, 0x0
	.amdhsa_kernel _ZN2at6native12_GLOBAL__N_135GammaBetaBackwardCUDAKernelTemplateIN3c108BFloat16EfLj32ELj1ELj32ELb1ELb1ELb0EEEvllPKT_S7_PKT0_SA_PS5_SB_
		.amdhsa_group_segment_fixed_size 0
		.amdhsa_private_segment_fixed_size 0
		.amdhsa_kernarg_size 320
		.amdhsa_user_sgpr_count 6
		.amdhsa_user_sgpr_private_segment_buffer 1
		.amdhsa_user_sgpr_dispatch_ptr 0
		.amdhsa_user_sgpr_queue_ptr 0
		.amdhsa_user_sgpr_kernarg_segment_ptr 1
		.amdhsa_user_sgpr_dispatch_id 0
		.amdhsa_user_sgpr_flat_scratch_init 0
		.amdhsa_user_sgpr_kernarg_preload_length 0
		.amdhsa_user_sgpr_kernarg_preload_offset 0
		.amdhsa_user_sgpr_private_segment_size 0
		.amdhsa_uses_dynamic_stack 0
		.amdhsa_system_sgpr_private_segment_wavefront_offset 0
		.amdhsa_system_sgpr_workgroup_id_x 1
		.amdhsa_system_sgpr_workgroup_id_y 1
		.amdhsa_system_sgpr_workgroup_id_z 0
		.amdhsa_system_sgpr_workgroup_info 0
		.amdhsa_system_vgpr_workitem_id 1
		.amdhsa_next_free_vgpr 82
		.amdhsa_next_free_sgpr 40
		.amdhsa_accum_offset 84
		.amdhsa_reserve_vcc 1
		.amdhsa_reserve_flat_scratch 0
		.amdhsa_float_round_mode_32 0
		.amdhsa_float_round_mode_16_64 0
		.amdhsa_float_denorm_mode_32 3
		.amdhsa_float_denorm_mode_16_64 3
		.amdhsa_dx10_clamp 1
		.amdhsa_ieee_mode 1
		.amdhsa_fp16_overflow 0
		.amdhsa_tg_split 0
		.amdhsa_exception_fp_ieee_invalid_op 0
		.amdhsa_exception_fp_denorm_src 0
		.amdhsa_exception_fp_ieee_div_zero 0
		.amdhsa_exception_fp_ieee_overflow 0
		.amdhsa_exception_fp_ieee_underflow 0
		.amdhsa_exception_fp_ieee_inexact 0
		.amdhsa_exception_int_div_zero 0
	.end_amdhsa_kernel
	.section	.text._ZN2at6native12_GLOBAL__N_135GammaBetaBackwardCUDAKernelTemplateIN3c108BFloat16EfLj32ELj1ELj32ELb1ELb1ELb0EEEvllPKT_S7_PKT0_SA_PS5_SB_,"axG",@progbits,_ZN2at6native12_GLOBAL__N_135GammaBetaBackwardCUDAKernelTemplateIN3c108BFloat16EfLj32ELj1ELj32ELb1ELb1ELb0EEEvllPKT_S7_PKT0_SA_PS5_SB_,comdat
.Lfunc_end106:
	.size	_ZN2at6native12_GLOBAL__N_135GammaBetaBackwardCUDAKernelTemplateIN3c108BFloat16EfLj32ELj1ELj32ELb1ELb1ELb0EEEvllPKT_S7_PKT0_SA_PS5_SB_, .Lfunc_end106-_ZN2at6native12_GLOBAL__N_135GammaBetaBackwardCUDAKernelTemplateIN3c108BFloat16EfLj32ELj1ELj32ELb1ELb1ELb0EEEvllPKT_S7_PKT0_SA_PS5_SB_
                                        ; -- End function
	.section	.AMDGPU.csdata,"",@progbits
; Kernel info:
; codeLenInByte = 3896
; NumSgprs: 44
; NumVgprs: 82
; NumAgprs: 0
; TotalNumVgprs: 82
; ScratchSize: 0
; MemoryBound: 0
; FloatMode: 240
; IeeeMode: 1
; LDSByteSize: 0 bytes/workgroup (compile time only)
; SGPRBlocks: 5
; VGPRBlocks: 10
; NumSGPRsForWavesPerEU: 44
; NumVGPRsForWavesPerEU: 82
; AccumOffset: 84
; Occupancy: 5
; WaveLimiterHint : 0
; COMPUTE_PGM_RSRC2:SCRATCH_EN: 0
; COMPUTE_PGM_RSRC2:USER_SGPR: 6
; COMPUTE_PGM_RSRC2:TRAP_HANDLER: 0
; COMPUTE_PGM_RSRC2:TGID_X_EN: 1
; COMPUTE_PGM_RSRC2:TGID_Y_EN: 1
; COMPUTE_PGM_RSRC2:TGID_Z_EN: 0
; COMPUTE_PGM_RSRC2:TIDIG_COMP_CNT: 1
; COMPUTE_PGM_RSRC3_GFX90A:ACCUM_OFFSET: 20
; COMPUTE_PGM_RSRC3_GFX90A:TG_SPLIT: 0
	.section	.text._ZN2at6native12_GLOBAL__N_135GammaBetaBackwardCUDAKernelTemplateIN3c108BFloat16EfLj32ELj1ELj32ELb1ELb0ELb0EEEvllPKT_S7_PKT0_SA_PS5_SB_,"axG",@progbits,_ZN2at6native12_GLOBAL__N_135GammaBetaBackwardCUDAKernelTemplateIN3c108BFloat16EfLj32ELj1ELj32ELb1ELb0ELb0EEEvllPKT_S7_PKT0_SA_PS5_SB_,comdat
	.globl	_ZN2at6native12_GLOBAL__N_135GammaBetaBackwardCUDAKernelTemplateIN3c108BFloat16EfLj32ELj1ELj32ELb1ELb0ELb0EEEvllPKT_S7_PKT0_SA_PS5_SB_ ; -- Begin function _ZN2at6native12_GLOBAL__N_135GammaBetaBackwardCUDAKernelTemplateIN3c108BFloat16EfLj32ELj1ELj32ELb1ELb0ELb0EEEvllPKT_S7_PKT0_SA_PS5_SB_
	.p2align	8
	.type	_ZN2at6native12_GLOBAL__N_135GammaBetaBackwardCUDAKernelTemplateIN3c108BFloat16EfLj32ELj1ELj32ELb1ELb0ELb0EEEvllPKT_S7_PKT0_SA_PS5_SB_,@function
_ZN2at6native12_GLOBAL__N_135GammaBetaBackwardCUDAKernelTemplateIN3c108BFloat16EfLj32ELj1ELj32ELb1ELb0ELb0EEEvllPKT_S7_PKT0_SA_PS5_SB_: ; @_ZN2at6native12_GLOBAL__N_135GammaBetaBackwardCUDAKernelTemplateIN3c108BFloat16EfLj32ELj1ELj32ELb1ELb0ELb0EEEvllPKT_S7_PKT0_SA_PS5_SB_
; %bb.0:
	s_load_dwordx8 s[12:19], s[4:5], 0x0
	s_load_dwordx4 s[20:23], s[4:5], 0x20
	s_mov_b32 s8, s7
	s_lshl_b32 s7, s6, 5
	v_mov_b32_e32 v253, v0
	s_or_b32 s24, s7, 31
	s_mov_b32 s25, 0
	s_waitcnt lgkmcnt(0)
	v_pk_mov_b32 v[0:1], s[14:15], s[14:15] op_sel:[0,1]
	v_cmp_ge_i64_e32 vcc, s[24:25], v[0:1]
	s_lshl_b32 s24, s8, 5
	v_pk_mov_b32 v[0:1], s[12:13], s[12:13] op_sel:[0,1]
	v_cmp_lt_i64_e64 s[0:1], s[24:25], v[0:1]
	v_cndmask_b32_e64 v0, 0, 1, s[0:1]
	v_cmp_ne_u32_e64 s[0:1], 1, v0
	s_cbranch_vccz .LBB107_144
; %bb.1:
	s_mov_b32 s2, s25
	s_mov_b32 s3, s25
	s_and_b64 vcc, exec, s[0:1]
	v_pk_mov_b32 v[138:139], s[2:3], s[2:3] op_sel:[0,1]
	s_cbranch_vccnz .LBB107_145
; %bb.2:
	v_bfe_u32 v0, v253, 10, 10
	v_lshlrev_b32_e32 v2, 5, v0
	v_mov_b32_e32 v1, s25
	v_add_co_u32_e32 v121, vcc, s24, v2
	v_addc_co_u32_e32 v123, vcc, 0, v1, vcc
	v_add_co_u32_e32 v1, vcc, 31, v121
	v_addc_co_u32_e32 v3, vcc, 0, v123, vcc
	v_mul_lo_u32 v6, s15, v1
	v_mul_lo_u32 v3, s14, v3
	v_mad_u64_u32 v[4:5], s[2:3], s14, v1, 0
	v_add3_u32 v5, v5, v3, v6
	v_lshlrev_b64 v[6:7], 1, v[4:5]
	v_mov_b32_e32 v125, s17
	v_add_co_u32_e32 v4, vcc, s16, v6
	v_addc_co_u32_e32 v1, vcc, v125, v7, vcc
	v_mov_b32_e32 v127, s19
	v_add_co_u32_e32 v6, vcc, s18, v6
	v_addc_co_u32_e32 v3, vcc, v127, v7, vcc
	v_add_co_u32_e32 v5, vcc, 30, v121
	v_addc_co_u32_e32 v7, vcc, 0, v123, vcc
	v_mul_lo_u32 v10, s15, v5
	v_mul_lo_u32 v7, s14, v7
	v_mad_u64_u32 v[8:9], s[2:3], s14, v5, 0
	v_add3_u32 v9, v9, v7, v10
	v_lshlrev_b64 v[10:11], 1, v[8:9]
	v_add_co_u32_e32 v8, vcc, s16, v10
	v_addc_co_u32_e32 v5, vcc, v125, v11, vcc
	v_add_co_u32_e32 v10, vcc, s18, v10
	v_addc_co_u32_e32 v7, vcc, v127, v11, vcc
	v_add_co_u32_e32 v9, vcc, 29, v121
	v_addc_co_u32_e32 v11, vcc, 0, v123, vcc
	v_mul_lo_u32 v14, s15, v9
	v_mul_lo_u32 v11, s14, v11
	v_mad_u64_u32 v[12:13], s[2:3], s14, v9, 0
	v_add3_u32 v13, v13, v11, v14
	v_lshlrev_b64 v[14:15], 1, v[12:13]
	v_add_co_u32_e32 v12, vcc, s16, v14
	v_addc_co_u32_e32 v9, vcc, v125, v15, vcc
	;; [unrolled: 11-line block ×29, first 2 shown]
	v_add_co_u32_e32 v122, vcc, s18, v128
	v_addc_co_u32_e32 v119, vcc, v127, v129, vcc
	v_pk_mov_b32 v[128:129], s[14:15], s[14:15] op_sel:[0,1]
	v_mad_u64_u32 v[128:129], s[2:3], s14, v121, v[128:129]
	v_mul_lo_u32 v123, s14, v123
	v_mul_lo_u32 v124, s15, v121
	v_add3_u32 v129, v124, v129, v123
	v_lshlrev_b64 v[128:129], 1, v[128:129]
	v_mad_u64_u32 v[130:131], s[2:3], s14, v121, 0
	s_load_dword s10, s[4:5], 0x44
	v_add3_u32 v131, v131, v123, v124
	v_add_co_u32_e32 v124, vcc, s16, v128
	v_addc_co_u32_e32 v121, vcc, v125, v129, vcc
	v_add_co_u32_e32 v126, vcc, s18, v128
	v_addc_co_u32_e32 v123, vcc, v127, v129, vcc
	v_lshlrev_b64 v[130:131], 1, v[130:131]
	s_add_u32 s26, s4, 64
	v_add_co_u32_e32 v128, vcc, s16, v130
	s_addc_u32 s27, s5, 0
	s_waitcnt lgkmcnt(0)
	s_lshl_b32 s33, s10, 5
	v_mbcnt_lo_u32_b32 v129, -1, 0
	v_addc_co_u32_e32 v125, vcc, v125, v131, vcc
	v_and_b32_e32 v202, 0x3ff, v253
	s_mul_i32 s10, s15, s33
	s_mul_hi_u32 s11, s14, s33
	v_mbcnt_hi_u32_b32 v129, -1, v129
	v_add_co_u32_e32 v130, vcc, s18, v130
	v_add_u32_e32 v132, s7, v202
	v_mov_b32_e32 v133, 0
	s_add_i32 s11, s11, s10
	s_mul_i32 s10, s14, s33
	v_lshlrev_b32_e32 v129, 2, v129
	v_addc_co_u32_e32 v127, vcc, v127, v131, vcc
	s_mov_b32 s9, 0
	v_cmp_gt_i64_e64 s[2:3], s[14:15], v[132:133]
	s_mov_b64 s[28:29], 31
	s_lshl_b64 s[30:31], s[10:11], 1
	v_and_b32_e32 v203, 0x100, v129
	v_mov_b32_e32 v138, 0
	v_mov_b32_e32 v139, v133
	s_mov_b64 s[34:35], s[24:25]
	v_mov_b32_e32 v129, v133
	v_lshlrev_b64 v[136:137], 1, v[132:133]
	s_branch .LBB107_5
.LBB107_3:                              ;   in Loop: Header=BB107_5 Depth=1
	s_or_b64 exec, exec, s[10:11]
	s_waitcnt vmcnt(1)
	ds_bpermute_b32 v135, v203, v199
	ds_bpermute_b32 v207, v203, v199 offset:4
	s_waitcnt vmcnt(0)
	ds_bpermute_b32 v165, v203, v132
	ds_bpermute_b32 v208, v203, v199 offset:8
	ds_bpermute_b32 v206, v203, v132 offset:4
	s_waitcnt lgkmcnt(4)
	v_sub_f32_e32 v135, v141, v135
	s_waitcnt lgkmcnt(3)
	v_sub_f32_e32 v141, v145, v207
	ds_bpermute_b32 v145, v203, v132 offset:8
	v_mul_f32_e32 v135, v134, v135
	s_waitcnt lgkmcnt(3)
	v_mul_f32_e32 v135, v135, v165
	ds_bpermute_b32 v165, v203, v199 offset:12
	s_waitcnt lgkmcnt(3)
	v_sub_f32_e32 v143, v143, v208
	v_mul_f32_e32 v141, v140, v141
	v_mul_f32_e32 v143, v142, v143
	s_waitcnt lgkmcnt(2)
	v_mul_f32_e32 v141, v141, v206
	s_waitcnt lgkmcnt(1)
	v_mul_f32_e32 v143, v143, v145
	ds_bpermute_b32 v145, v203, v132 offset:12
	ds_bpermute_b32 v206, v203, v199 offset:16
	s_waitcnt lgkmcnt(2)
	v_sub_f32_e32 v149, v149, v165
	ds_bpermute_b32 v165, v203, v132 offset:16
	v_mul_f32_e32 v149, v144, v149
	s_waitcnt lgkmcnt(2)
	v_mul_f32_e32 v145, v149, v145
	s_waitcnt lgkmcnt(1)
	v_sub_f32_e32 v147, v147, v206
	ds_bpermute_b32 v149, v203, v199 offset:20
	v_mul_f32_e32 v147, v146, v147
	s_waitcnt lgkmcnt(1)
	v_mul_f32_e32 v147, v147, v165
	ds_bpermute_b32 v165, v203, v132 offset:20
	ds_bpermute_b32 v206, v203, v199 offset:24
	s_waitcnt lgkmcnt(2)
	v_sub_f32_e32 v149, v153, v149
	v_mul_f32_e32 v149, v148, v149
	ds_bpermute_b32 v153, v203, v132 offset:24
	s_waitcnt lgkmcnt(2)
	v_mul_f32_e32 v149, v149, v165
	ds_bpermute_b32 v165, v203, v199 offset:28
	s_waitcnt lgkmcnt(2)
	v_sub_f32_e32 v151, v151, v206
	ds_bpermute_b32 v206, v203, v199 offset:32
	v_mul_f32_e32 v151, v150, v151
	s_waitcnt lgkmcnt(2)
	v_mul_f32_e32 v151, v151, v153
	ds_bpermute_b32 v153, v203, v132 offset:28
	s_waitcnt lgkmcnt(2)
	v_sub_f32_e32 v157, v157, v165
	ds_bpermute_b32 v165, v203, v132 offset:32
	s_waitcnt lgkmcnt(2)
	v_sub_f32_e32 v155, v155, v206
	ds_bpermute_b32 v206, v203, v199 offset:36
	v_mul_f32_e32 v157, v152, v157
	v_mul_f32_e32 v155, v156, v155
	s_waitcnt lgkmcnt(2)
	v_mul_f32_e32 v153, v157, v153
	s_waitcnt lgkmcnt(1)
	v_mul_f32_e32 v157, v155, v165
	ds_bpermute_b32 v155, v203, v132 offset:36
	ds_bpermute_b32 v165, v203, v199 offset:40
	v_pk_add_f32 v[134:135], v[138:139], v[134:135]
	ds_bpermute_b32 v138, v203, v199 offset:44
	s_waitcnt lgkmcnt(3)
	v_sub_f32_e32 v161, v161, v206
	ds_bpermute_b32 v206, v203, v132 offset:40
	ds_bpermute_b32 v139, v203, v132 offset:44
	v_mul_f32_e32 v161, v160, v161
	s_waitcnt lgkmcnt(4)
	v_mul_f32_e32 v161, v161, v155
	s_waitcnt lgkmcnt(3)
	v_sub_f32_e32 v155, v163, v165
	v_pk_add_f32 v[134:135], v[134:135], v[140:141]
	s_waitcnt lgkmcnt(2)
	v_sub_f32_e32 v138, v167, v138
	ds_bpermute_b32 v140, v203, v199 offset:48
	v_mul_f32_e32 v155, v164, v155
	v_mul_f32_e32 v138, v154, v138
	s_waitcnt lgkmcnt(2)
	v_mul_f32_e32 v165, v155, v206
	s_waitcnt lgkmcnt(1)
	v_mul_f32_e32 v155, v138, v139
	ds_bpermute_b32 v138, v203, v132 offset:48
	ds_bpermute_b32 v139, v203, v199 offset:52
	ds_bpermute_b32 v141, v203, v132 offset:52
	s_waitcnt lgkmcnt(3)
	v_sub_f32_e32 v140, v159, v140
	v_mul_f32_e32 v140, v158, v140
	s_waitcnt lgkmcnt(2)
	v_mul_f32_e32 v159, v140, v138
	s_waitcnt lgkmcnt(1)
	v_sub_f32_e32 v138, v171, v139
	ds_bpermute_b32 v139, v203, v199 offset:56
	v_mul_f32_e32 v138, v162, v138
	s_waitcnt lgkmcnt(1)
	v_mul_f32_e32 v163, v138, v141
	ds_bpermute_b32 v138, v203, v132 offset:56
	ds_bpermute_b32 v140, v203, v199 offset:60
	ds_bpermute_b32 v141, v203, v132 offset:60
	s_waitcnt lgkmcnt(3)
	v_sub_f32_e32 v139, v169, v139
	v_mul_f32_e32 v139, v166, v139
	s_waitcnt lgkmcnt(2)
	v_mul_f32_e32 v167, v139, v138
	s_waitcnt lgkmcnt(1)
	v_sub_f32_e32 v138, v175, v140
	ds_bpermute_b32 v139, v203, v199 offset:64
	;; [unrolled: 14-line block ×4, first 2 shown]
	v_mul_f32_e32 v138, v176, v138
	s_waitcnt lgkmcnt(1)
	v_mul_f32_e32 v177, v138, v141
	ds_bpermute_b32 v138, v203, v132 offset:80
	ds_bpermute_b32 v140, v203, v199 offset:84
	;; [unrolled: 1-line block ×3, first 2 shown]
	s_waitcnt lgkmcnt(3)
	v_sub_f32_e32 v139, v181, v139
	v_mul_f32_e32 v139, v180, v139
	s_waitcnt lgkmcnt(2)
	v_mul_f32_e32 v181, v139, v138
	s_waitcnt lgkmcnt(1)
	v_sub_f32_e32 v138, v189, v140
	v_mul_f32_e32 v138, v184, v138
	s_waitcnt lgkmcnt(0)
	v_mul_f32_e32 v185, v138, v141
	ds_bpermute_b32 v138, v203, v199 offset:88
	ds_bpermute_b32 v139, v203, v132 offset:88
	;; [unrolled: 1-line block ×4, first 2 shown]
	v_pk_add_f32 v[134:135], v[134:135], v[142:143]
	s_waitcnt lgkmcnt(3)
	v_sub_f32_e32 v138, v183, v138
	v_mul_f32_e32 v138, v178, v138
	s_waitcnt lgkmcnt(2)
	v_mul_f32_e32 v179, v138, v139
	s_waitcnt lgkmcnt(1)
	v_sub_f32_e32 v138, v191, v140
	ds_bpermute_b32 v139, v203, v199 offset:96
	v_mul_f32_e32 v138, v182, v138
	s_waitcnt lgkmcnt(1)
	v_mul_f32_e32 v183, v138, v141
	ds_bpermute_b32 v138, v203, v132 offset:96
	ds_bpermute_b32 v140, v203, v199 offset:100
	v_pk_add_f32 v[134:135], v[134:135], v[144:145]
	ds_bpermute_b32 v141, v203, v132 offset:100
	v_pk_add_f32 v[134:135], v[134:135], v[146:147]
	s_waitcnt lgkmcnt(3)
	v_sub_f32_e32 v139, v187, v139
	v_pk_add_f32 v[134:135], v[134:135], v[148:149]
	v_mul_f32_e32 v139, v186, v139
	v_pk_add_f32 v[134:135], v[134:135], v[150:151]
	s_waitcnt lgkmcnt(2)
	v_mul_f32_e32 v187, v139, v138
	s_waitcnt lgkmcnt(1)
	v_sub_f32_e32 v138, v195, v140
	ds_bpermute_b32 v139, v203, v199 offset:104
	v_pk_add_f32 v[134:135], v[134:135], v[152:153]
	v_mul_f32_e32 v138, v188, v138
	v_pk_add_f32 v[134:135], v[134:135], v[156:157]
	s_waitcnt lgkmcnt(1)
	v_mul_f32_e32 v189, v138, v141
	ds_bpermute_b32 v138, v203, v132 offset:104
	ds_bpermute_b32 v140, v203, v199 offset:108
	v_pk_add_f32 v[134:135], v[134:135], v[160:161]
	v_pk_add_f32 v[134:135], v[134:135], v[164:165]
	ds_bpermute_b32 v141, v203, v132 offset:108
	v_pk_add_f32 v[134:135], v[134:135], v[154:155]
	s_waitcnt lgkmcnt(3)
	v_sub_f32_e32 v139, v193, v139
	v_pk_add_f32 v[134:135], v[134:135], v[158:159]
	v_mul_f32_e32 v139, v190, v139
	v_pk_add_f32 v[134:135], v[134:135], v[162:163]
	s_waitcnt lgkmcnt(2)
	v_mul_f32_e32 v191, v139, v138
	s_waitcnt lgkmcnt(1)
	v_sub_f32_e32 v138, v201, v140
	ds_bpermute_b32 v139, v203, v199 offset:112
	v_pk_add_f32 v[134:135], v[134:135], v[166:167]
	v_mul_f32_e32 v138, v192, v138
	v_pk_add_f32 v[134:135], v[134:135], v[168:169]
	s_waitcnt lgkmcnt(1)
	v_mul_f32_e32 v193, v138, v141
	ds_bpermute_b32 v138, v203, v132 offset:112
	ds_bpermute_b32 v140, v203, v199 offset:116
	v_pk_add_f32 v[134:135], v[134:135], v[170:171]
	v_pk_add_f32 v[134:135], v[134:135], v[172:173]
	ds_bpermute_b32 v141, v203, v132 offset:116
	v_pk_add_f32 v[134:135], v[134:135], v[174:175]
	s_waitcnt lgkmcnt(3)
	v_sub_f32_e32 v139, v197, v139
	v_pk_add_f32 v[134:135], v[134:135], v[176:177]
	v_mul_f32_e32 v139, v194, v139
	v_pk_add_f32 v[134:135], v[134:135], v[180:181]
	s_waitcnt lgkmcnt(2)
	v_mul_f32_e32 v195, v139, v138
	s_waitcnt lgkmcnt(1)
	v_sub_f32_e32 v138, v205, v140
	v_pk_add_f32 v[134:135], v[134:135], v[184:185]
	v_mul_f32_e32 v138, v196, v138
	s_waitcnt lgkmcnt(0)
	v_mul_f32_e32 v197, v138, v141
	v_pk_add_f32 v[134:135], v[134:135], v[178:179]
	ds_bpermute_b32 v138, v203, v199 offset:120
	v_pk_add_f32 v[134:135], v[134:135], v[182:183]
	v_pk_add_f32 v[134:135], v[134:135], v[186:187]
	ds_bpermute_b32 v139, v203, v132 offset:120
	v_pk_add_f32 v[134:135], v[134:135], v[188:189]
	v_pk_add_f32 v[134:135], v[134:135], v[190:191]
	;; [unrolled: 1-line block ×3, first 2 shown]
	s_waitcnt lgkmcnt(1)
	v_sub_f32_e32 v138, v200, v138
	v_pk_add_f32 v[134:135], v[134:135], v[194:195]
	v_mul_f32_e32 v138, v198, v138
	v_pk_add_f32 v[134:135], v[134:135], v[196:197]
	ds_bpermute_b32 v142, v203, v199 offset:124
	s_waitcnt lgkmcnt(1)
	v_mul_f32_e32 v199, v138, v139
	ds_bpermute_b32 v132, v203, v132 offset:124
	v_pk_add_f32 v[140:141], v[134:135], v[198:199]
.LBB107_4:                              ;   in Loop: Header=BB107_5 Depth=1
	s_waitcnt lgkmcnt(0)
	v_sub_f32_e32 v134, v204, v142
	v_mul_f32_e32 v134, v131, v134
	v_mul_f32_e32 v135, v134, v132
	v_mov_b32_e32 v134, v131
	v_mov_b32_e32 v131, s9
	v_add_co_u32_e64 v2, s[10:11], s33, v2
	v_addc_co_u32_e64 v129, s[10:11], v129, v131, s[10:11]
	v_mov_b32_e32 v131, s31
	v_add_co_u32_e64 v4, s[10:11], s30, v4
	v_addc_co_u32_e64 v1, s[10:11], v1, v131, s[10:11]
	v_add_co_u32_e64 v6, s[10:11], s30, v6
	v_addc_co_u32_e64 v3, s[10:11], v3, v131, s[10:11]
	;; [unrolled: 2-line block ×62, first 2 shown]
	s_add_u32 s34, s34, s33
	v_add_co_u32_e64 v128, s[10:11], s30, v128
	v_pk_add_f32 v[138:139], v[140:141], v[134:135]
	s_addc_u32 s35, s35, 0
	v_pk_mov_b32 v[134:135], s[12:13], s[12:13] op_sel:[0,1]
	v_addc_co_u32_e64 v125, s[10:11], v125, v131, s[10:11]
	v_cmp_lt_i64_e32 vcc, s[34:35], v[134:135]
	v_add_co_u32_e64 v130, s[10:11], s30, v130
	s_add_u32 s28, s28, s33
	v_addc_co_u32_e64 v127, s[10:11], v127, v131, s[10:11]
	s_addc_u32 s29, s29, 0
	s_cbranch_vccz .LBB107_145
.LBB107_5:                              ; =>This Inner Loop Header: Depth=1
	s_add_u32 s10, s24, s28
	s_addc_u32 s11, 0, s29
	v_pk_mov_b32 v[134:135], s[12:13], s[12:13] op_sel:[0,1]
	v_cmp_ge_i64_e32 vcc, s[10:11], v[134:135]
	v_mov_b32_e32 v131, s25
	v_add_co_u32_e64 v134, s[10:11], s24, v2
	v_addc_co_u32_e64 v135, s[10:11], v131, v129, s[10:11]
	s_cbranch_vccz .LBB107_75
; %bb.6:                                ;   in Loop: Header=BB107_5 Depth=1
	s_load_dword s10, s[26:27], 0xc
	v_mov_b32_e32 v143, 0
	v_mov_b32_e32 v132, 0
	;; [unrolled: 1-line block ×3, first 2 shown]
	s_waitcnt lgkmcnt(0)
	s_and_b32 s10, s10, 0xffff
	v_mad_u32_u24 v131, v0, s10, v202
	v_and_b32_e32 v131, 63, v131
	v_cmp_gt_u32_e32 vcc, 32, v131
	s_and_saveexec_b64 s[10:11], vcc
	s_cbranch_execz .LBB107_10
; %bb.7:                                ;   in Loop: Header=BB107_5 Depth=1
	v_add_co_u32_e32 v140, vcc, v134, v131
	v_addc_co_u32_e32 v141, vcc, 0, v135, vcc
	v_cmp_gt_i64_e32 vcc, s[12:13], v[140:141]
	v_mov_b32_e32 v201, 0
	v_mov_b32_e32 v132, 0
	s_and_saveexec_b64 s[36:37], vcc
	s_cbranch_execz .LBB107_9
; %bb.8:                                ;   in Loop: Header=BB107_5 Depth=1
	v_lshlrev_b64 v[140:141], 2, v[140:141]
	v_mov_b32_e32 v131, s23
	v_add_co_u32_e32 v144, vcc, s22, v140
	v_addc_co_u32_e32 v145, vcc, v131, v141, vcc
	v_mov_b32_e32 v131, s21
	v_add_co_u32_e32 v140, vcc, s20, v140
	v_addc_co_u32_e32 v141, vcc, v131, v141, vcc
	global_load_dword v201, v[140:141], off
	global_load_dword v132, v[144:145], off
.LBB107_9:                              ;   in Loop: Header=BB107_5 Depth=1
	s_or_b64 exec, exec, s[36:37]
.LBB107_10:                             ;   in Loop: Header=BB107_5 Depth=1
	s_or_b64 exec, exec, s[10:11]
	v_cmp_gt_i64_e32 vcc, s[12:13], v[134:135]
	s_and_b64 s[36:37], s[2:3], vcc
	v_mov_b32_e32 v140, 0
	s_and_saveexec_b64 s[10:11], s[36:37]
	s_cbranch_execz .LBB107_12
; %bb.11:                               ;   in Loop: Header=BB107_5 Depth=1
	v_add_co_u32_e32 v140, vcc, v128, v136
	v_addc_co_u32_e32 v141, vcc, v125, v137, vcc
	v_add_co_u32_e32 v142, vcc, v130, v136
	v_addc_co_u32_e32 v143, vcc, v127, v137, vcc
	global_load_ushort v131, v[142:143], off
	s_nop 0
	global_load_ushort v140, v[140:141], off
	s_waitcnt vmcnt(1)
	v_lshlrev_b32_e32 v143, 16, v131
	s_waitcnt vmcnt(0)
	v_lshlrev_b32_e32 v140, 16, v140
.LBB107_12:                             ;   in Loop: Header=BB107_5 Depth=1
	s_or_b64 exec, exec, s[10:11]
	v_add_co_u32_e32 v144, vcc, 1, v134
	v_addc_co_u32_e32 v145, vcc, 0, v135, vcc
	v_cmp_gt_i64_e32 vcc, s[12:13], v[144:145]
	s_and_b64 s[36:37], s[2:3], vcc
	v_mov_b32_e32 v145, 0
	v_mov_b32_e32 v147, 0
	v_mov_b32_e32 v142, 0
	s_and_saveexec_b64 s[10:11], s[36:37]
	s_cbranch_execz .LBB107_14
; %bb.13:                               ;   in Loop: Header=BB107_5 Depth=1
	v_add_co_u32_e32 v146, vcc, v124, v136
	v_addc_co_u32_e32 v147, vcc, v121, v137, vcc
	v_add_co_u32_e32 v148, vcc, v126, v136
	v_addc_co_u32_e32 v149, vcc, v123, v137, vcc
	global_load_ushort v131, v[148:149], off
	global_load_ushort v141, v[146:147], off
	s_waitcnt vmcnt(1)
	v_lshlrev_b32_e32 v147, 16, v131
	s_waitcnt vmcnt(0)
	v_lshlrev_b32_e32 v142, 16, v141
.LBB107_14:                             ;   in Loop: Header=BB107_5 Depth=1
	s_or_b64 exec, exec, s[10:11]
	v_add_co_u32_e32 v148, vcc, 2, v134
	v_addc_co_u32_e32 v149, vcc, 0, v135, vcc
	v_cmp_gt_i64_e32 vcc, s[12:13], v[148:149]
	s_and_b64 s[36:37], s[2:3], vcc
	v_mov_b32_e32 v144, 0
	s_and_saveexec_b64 s[10:11], s[36:37]
	s_cbranch_execz .LBB107_16
; %bb.15:                               ;   in Loop: Header=BB107_5 Depth=1
	v_add_co_u32_e32 v144, vcc, v120, v136
	v_addc_co_u32_e32 v145, vcc, v117, v137, vcc
	v_add_co_u32_e32 v148, vcc, v122, v136
	v_addc_co_u32_e32 v149, vcc, v119, v137, vcc
	global_load_ushort v131, v[148:149], off
	global_load_ushort v141, v[144:145], off
	s_waitcnt vmcnt(1)
	v_lshlrev_b32_e32 v145, 16, v131
	s_waitcnt vmcnt(0)
	v_lshlrev_b32_e32 v144, 16, v141
.LBB107_16:                             ;   in Loop: Header=BB107_5 Depth=1
	s_or_b64 exec, exec, s[10:11]
	v_add_co_u32_e32 v148, vcc, 3, v134
	v_addc_co_u32_e32 v149, vcc, 0, v135, vcc
	v_cmp_gt_i64_e32 vcc, s[12:13], v[148:149]
	s_and_b64 s[36:37], s[2:3], vcc
	v_mov_b32_e32 v149, 0
	v_mov_b32_e32 v151, 0
	v_mov_b32_e32 v146, 0
	s_and_saveexec_b64 s[10:11], s[36:37]
	s_cbranch_execz .LBB107_18
; %bb.17:                               ;   in Loop: Header=BB107_5 Depth=1
	v_add_co_u32_e32 v150, vcc, v116, v136
	v_addc_co_u32_e32 v151, vcc, v113, v137, vcc
	v_add_co_u32_e32 v152, vcc, v118, v136
	v_addc_co_u32_e32 v153, vcc, v115, v137, vcc
	global_load_ushort v131, v[152:153], off
	global_load_ushort v141, v[150:151], off
	s_waitcnt vmcnt(1)
	v_lshlrev_b32_e32 v151, 16, v131
	s_waitcnt vmcnt(0)
	v_lshlrev_b32_e32 v146, 16, v141
.LBB107_18:                             ;   in Loop: Header=BB107_5 Depth=1
	s_or_b64 exec, exec, s[10:11]
	v_add_co_u32_e32 v152, vcc, 4, v134
	v_addc_co_u32_e32 v153, vcc, 0, v135, vcc
	v_cmp_gt_i64_e32 vcc, s[12:13], v[152:153]
	s_and_b64 s[36:37], s[2:3], vcc
	v_mov_b32_e32 v148, 0
	s_and_saveexec_b64 s[10:11], s[36:37]
	s_cbranch_execz .LBB107_20
; %bb.19:                               ;   in Loop: Header=BB107_5 Depth=1
	v_add_co_u32_e32 v148, vcc, v112, v136
	v_addc_co_u32_e32 v149, vcc, v109, v137, vcc
	v_add_co_u32_e32 v152, vcc, v114, v136
	v_addc_co_u32_e32 v153, vcc, v111, v137, vcc
	global_load_ushort v131, v[152:153], off
	global_load_ushort v141, v[148:149], off
	s_waitcnt vmcnt(1)
	v_lshlrev_b32_e32 v149, 16, v131
	s_waitcnt vmcnt(0)
	v_lshlrev_b32_e32 v148, 16, v141
.LBB107_20:                             ;   in Loop: Header=BB107_5 Depth=1
	;; [unrolled: 42-line block ×15, first 2 shown]
	s_or_b64 exec, exec, s[10:11]
	v_add_co_u32_e32 v208, vcc, 31, v134
	v_addc_co_u32_e32 v209, vcc, 0, v135, vcc
	v_cmp_gt_i64_e32 vcc, s[12:13], v[208:209]
	s_and_b64 s[36:37], s[2:3], vcc
	v_mov_b32_e32 v204, 0
	v_mov_b32_e32 v131, 0
	s_and_saveexec_b64 s[10:11], s[36:37]
	s_cbranch_execz .LBB107_74
; %bb.73:                               ;   in Loop: Header=BB107_5 Depth=1
	v_add_co_u32_e32 v208, vcc, v4, v136
	v_addc_co_u32_e32 v209, vcc, v1, v137, vcc
	v_add_co_u32_e32 v210, vcc, v6, v136
	v_addc_co_u32_e32 v211, vcc, v3, v137, vcc
	global_load_ushort v131, v[210:211], off
	global_load_ushort v141, v[208:209], off
	s_waitcnt vmcnt(1)
	v_lshlrev_b32_e32 v204, 16, v131
	s_waitcnt vmcnt(0)
	v_lshlrev_b32_e32 v131, 16, v141
.LBB107_74:                             ;   in Loop: Header=BB107_5 Depth=1
	s_or_b64 exec, exec, s[10:11]
	s_waitcnt vmcnt(1)
	ds_bpermute_b32 v141, v203, v201
	ds_bpermute_b32 v209, v203, v201 offset:4
	s_waitcnt vmcnt(0)
	ds_bpermute_b32 v165, v203, v132
	ds_bpermute_b32 v210, v203, v201 offset:8
	ds_bpermute_b32 v208, v203, v132 offset:4
	s_waitcnt lgkmcnt(4)
	v_sub_f32_e32 v141, v143, v141
	s_waitcnt lgkmcnt(3)
	v_sub_f32_e32 v143, v147, v209
	ds_bpermute_b32 v147, v203, v132 offset:8
	v_mul_f32_e32 v141, v140, v141
	s_waitcnt lgkmcnt(3)
	v_mul_f32_e32 v141, v141, v165
	ds_bpermute_b32 v165, v203, v201 offset:12
	s_waitcnt lgkmcnt(3)
	v_sub_f32_e32 v145, v145, v210
	v_mul_f32_e32 v143, v142, v143
	v_mul_f32_e32 v145, v144, v145
	s_waitcnt lgkmcnt(2)
	v_mul_f32_e32 v143, v143, v208
	s_waitcnt lgkmcnt(1)
	v_mul_f32_e32 v145, v145, v147
	ds_bpermute_b32 v147, v203, v132 offset:12
	ds_bpermute_b32 v208, v203, v201 offset:16
	s_waitcnt lgkmcnt(2)
	v_sub_f32_e32 v151, v151, v165
	ds_bpermute_b32 v165, v203, v132 offset:16
	v_mul_f32_e32 v151, v146, v151
	s_waitcnt lgkmcnt(2)
	v_mul_f32_e32 v147, v151, v147
	s_waitcnt lgkmcnt(1)
	v_sub_f32_e32 v149, v149, v208
	ds_bpermute_b32 v151, v203, v201 offset:20
	v_mul_f32_e32 v149, v148, v149
	s_waitcnt lgkmcnt(1)
	v_mul_f32_e32 v149, v149, v165
	ds_bpermute_b32 v165, v203, v132 offset:20
	ds_bpermute_b32 v208, v203, v201 offset:24
	s_waitcnt lgkmcnt(2)
	v_sub_f32_e32 v151, v155, v151
	ds_bpermute_b32 v155, v203, v132 offset:24
	v_mul_f32_e32 v151, v150, v151
	s_waitcnt lgkmcnt(2)
	v_mul_f32_e32 v151, v151, v165
	ds_bpermute_b32 v165, v203, v201 offset:28
	s_waitcnt lgkmcnt(2)
	v_sub_f32_e32 v153, v153, v208
	v_mul_f32_e32 v153, v152, v153
	s_waitcnt lgkmcnt(1)
	v_mul_f32_e32 v153, v153, v155
	ds_bpermute_b32 v155, v203, v132 offset:28
	ds_bpermute_b32 v208, v203, v201 offset:32
	s_waitcnt lgkmcnt(2)
	v_sub_f32_e32 v159, v159, v165
	ds_bpermute_b32 v165, v203, v132 offset:32
	v_mul_f32_e32 v159, v154, v159
	s_waitcnt lgkmcnt(2)
	v_mul_f32_e32 v155, v159, v155
	s_waitcnt lgkmcnt(1)
	v_sub_f32_e32 v157, v157, v208
	ds_bpermute_b32 v159, v203, v201 offset:36
	v_mul_f32_e32 v157, v156, v157
	v_pk_add_f32 v[140:141], v[138:139], v[140:141]
	s_waitcnt lgkmcnt(1)
	v_mul_f32_e32 v157, v157, v165
	ds_bpermute_b32 v165, v203, v132 offset:36
	ds_bpermute_b32 v208, v203, v201 offset:40
	v_pk_add_f32 v[140:141], v[140:141], v[142:143]
	ds_bpermute_b32 v142, v203, v201 offset:44
	ds_bpermute_b32 v209, v203, v132 offset:40
	;; [unrolled: 1-line block ×3, first 2 shown]
	s_waitcnt lgkmcnt(5)
	v_sub_f32_e32 v159, v161, v159
	v_mul_f32_e32 v159, v160, v159
	s_waitcnt lgkmcnt(4)
	v_mul_f32_e32 v161, v159, v165
	s_waitcnt lgkmcnt(3)
	v_sub_f32_e32 v159, v163, v208
	v_pk_add_f32 v[140:141], v[140:141], v[144:145]
	s_waitcnt lgkmcnt(2)
	v_sub_f32_e32 v142, v169, v142
	ds_bpermute_b32 v144, v203, v201 offset:48
	v_mul_f32_e32 v159, v164, v159
	v_mul_f32_e32 v142, v158, v142
	s_waitcnt lgkmcnt(2)
	v_mul_f32_e32 v165, v159, v209
	s_waitcnt lgkmcnt(1)
	v_mul_f32_e32 v159, v142, v143
	ds_bpermute_b32 v142, v203, v132 offset:48
	ds_bpermute_b32 v143, v203, v201 offset:52
	ds_bpermute_b32 v145, v203, v132 offset:52
	s_waitcnt lgkmcnt(3)
	v_sub_f32_e32 v144, v167, v144
	v_mul_f32_e32 v144, v162, v144
	s_waitcnt lgkmcnt(2)
	v_mul_f32_e32 v163, v144, v142
	s_waitcnt lgkmcnt(1)
	v_sub_f32_e32 v142, v173, v143
	ds_bpermute_b32 v143, v203, v201 offset:56
	v_mul_f32_e32 v142, v166, v142
	s_waitcnt lgkmcnt(1)
	v_mul_f32_e32 v167, v142, v145
	ds_bpermute_b32 v142, v203, v132 offset:56
	ds_bpermute_b32 v144, v203, v201 offset:60
	ds_bpermute_b32 v145, v203, v132 offset:60
	s_waitcnt lgkmcnt(3)
	v_sub_f32_e32 v143, v171, v143
	v_mul_f32_e32 v143, v168, v143
	s_waitcnt lgkmcnt(2)
	v_mul_f32_e32 v169, v143, v142
	s_waitcnt lgkmcnt(1)
	v_sub_f32_e32 v142, v177, v144
	ds_bpermute_b32 v143, v203, v201 offset:64
	;; [unrolled: 14-line block ×4, first 2 shown]
	v_mul_f32_e32 v142, v178, v142
	s_waitcnt lgkmcnt(1)
	v_mul_f32_e32 v179, v142, v145
	ds_bpermute_b32 v142, v203, v132 offset:80
	ds_bpermute_b32 v144, v203, v201 offset:84
	;; [unrolled: 1-line block ×3, first 2 shown]
	s_waitcnt lgkmcnt(3)
	v_sub_f32_e32 v143, v183, v143
	v_mul_f32_e32 v143, v182, v143
	s_waitcnt lgkmcnt(2)
	v_mul_f32_e32 v183, v143, v142
	s_waitcnt lgkmcnt(1)
	v_sub_f32_e32 v142, v187, v144
	v_mul_f32_e32 v142, v186, v142
	s_waitcnt lgkmcnt(0)
	v_mul_f32_e32 v187, v142, v145
	ds_bpermute_b32 v142, v203, v201 offset:88
	ds_bpermute_b32 v143, v203, v132 offset:88
	;; [unrolled: 1-line block ×4, first 2 shown]
	v_pk_add_f32 v[140:141], v[140:141], v[146:147]
	s_waitcnt lgkmcnt(3)
	v_sub_f32_e32 v142, v189, v142
	v_mul_f32_e32 v142, v180, v142
	s_waitcnt lgkmcnt(2)
	v_mul_f32_e32 v181, v142, v143
	s_waitcnt lgkmcnt(1)
	v_sub_f32_e32 v142, v193, v144
	ds_bpermute_b32 v143, v203, v201 offset:96
	v_mul_f32_e32 v142, v184, v142
	s_waitcnt lgkmcnt(1)
	v_mul_f32_e32 v185, v142, v145
	ds_bpermute_b32 v142, v203, v132 offset:96
	ds_bpermute_b32 v144, v203, v201 offset:100
	;; [unrolled: 1-line block ×3, first 2 shown]
	s_waitcnt lgkmcnt(3)
	v_sub_f32_e32 v143, v191, v143
	v_pk_add_f32 v[140:141], v[140:141], v[148:149]
	v_mul_f32_e32 v143, v188, v143
	v_pk_add_f32 v[140:141], v[140:141], v[150:151]
	s_waitcnt lgkmcnt(2)
	v_mul_f32_e32 v189, v143, v142
	s_waitcnt lgkmcnt(1)
	v_sub_f32_e32 v142, v197, v144
	ds_bpermute_b32 v143, v203, v201 offset:104
	v_pk_add_f32 v[140:141], v[140:141], v[152:153]
	v_mul_f32_e32 v142, v190, v142
	v_pk_add_f32 v[140:141], v[140:141], v[154:155]
	s_waitcnt lgkmcnt(1)
	v_mul_f32_e32 v191, v142, v145
	ds_bpermute_b32 v142, v203, v132 offset:104
	ds_bpermute_b32 v144, v203, v201 offset:108
	v_pk_add_f32 v[140:141], v[140:141], v[156:157]
	v_pk_add_f32 v[140:141], v[140:141], v[160:161]
	ds_bpermute_b32 v145, v203, v132 offset:108
	v_pk_add_f32 v[140:141], v[140:141], v[164:165]
	s_waitcnt lgkmcnt(3)
	v_sub_f32_e32 v143, v195, v143
	v_pk_add_f32 v[140:141], v[140:141], v[158:159]
	v_mul_f32_e32 v143, v192, v143
	v_pk_add_f32 v[140:141], v[140:141], v[162:163]
	s_waitcnt lgkmcnt(2)
	v_mul_f32_e32 v193, v143, v142
	s_waitcnt lgkmcnt(1)
	v_sub_f32_e32 v142, v205, v144
	ds_bpermute_b32 v143, v203, v201 offset:112
	v_pk_add_f32 v[140:141], v[140:141], v[166:167]
	v_mul_f32_e32 v142, v194, v142
	v_pk_add_f32 v[140:141], v[140:141], v[168:169]
	s_waitcnt lgkmcnt(1)
	v_mul_f32_e32 v195, v142, v145
	ds_bpermute_b32 v142, v203, v132 offset:112
	ds_bpermute_b32 v144, v203, v201 offset:116
	v_pk_add_f32 v[140:141], v[140:141], v[170:171]
	v_pk_add_f32 v[140:141], v[140:141], v[172:173]
	ds_bpermute_b32 v145, v203, v132 offset:116
	v_pk_add_f32 v[140:141], v[140:141], v[174:175]
	s_waitcnt lgkmcnt(3)
	v_sub_f32_e32 v143, v199, v143
	v_pk_add_f32 v[140:141], v[140:141], v[176:177]
	v_mul_f32_e32 v143, v196, v143
	v_pk_add_f32 v[140:141], v[140:141], v[178:179]
	s_waitcnt lgkmcnt(2)
	v_mul_f32_e32 v197, v143, v142
	s_waitcnt lgkmcnt(1)
	v_sub_f32_e32 v142, v207, v144
	v_pk_add_f32 v[140:141], v[140:141], v[182:183]
	v_mul_f32_e32 v142, v198, v142
	v_pk_add_f32 v[140:141], v[140:141], v[186:187]
	s_waitcnt lgkmcnt(0)
	v_mul_f32_e32 v199, v142, v145
	ds_bpermute_b32 v142, v203, v201 offset:120
	v_pk_add_f32 v[140:141], v[140:141], v[180:181]
	v_pk_add_f32 v[140:141], v[140:141], v[184:185]
	;; [unrolled: 1-line block ×3, first 2 shown]
	ds_bpermute_b32 v143, v203, v132 offset:120
	v_pk_add_f32 v[140:141], v[140:141], v[190:191]
	v_pk_add_f32 v[140:141], v[140:141], v[192:193]
	s_waitcnt lgkmcnt(1)
	v_sub_f32_e32 v144, v206, v142
	ds_bpermute_b32 v132, v203, v132 offset:124
	ds_bpermute_b32 v142, v203, v201 offset:124
	v_pk_add_f32 v[140:141], v[140:141], v[194:195]
	v_pk_add_f32 v[140:141], v[140:141], v[196:197]
	v_mul_f32_e32 v144, v200, v144
	v_pk_add_f32 v[140:141], v[140:141], v[198:199]
	s_waitcnt lgkmcnt(2)
	v_mul_f32_e32 v201, v144, v143
	v_pk_add_f32 v[140:141], v[140:141], v[200:201]
	s_branch .LBB107_4
.LBB107_75:                             ;   in Loop: Header=BB107_5 Depth=1
                                        ; implicit-def: $vgpr131
                                        ; implicit-def: $vgpr204
                                        ; implicit-def: $vgpr140_vgpr141
                                        ; implicit-def: $vgpr132
                                        ; implicit-def: $vgpr142
	s_cbranch_execz .LBB107_4
; %bb.76:                               ;   in Loop: Header=BB107_5 Depth=1
	s_load_dword s10, s[26:27], 0x0
	v_mov_b32_e32 v141, 0
	s_waitcnt lgkmcnt(0)
	v_mov_b32_e32 v132, 0
	v_mov_b32_e32 v199, 0
	s_cmp_lt_u32 s6, s10
	s_cselect_b32 s10, 12, 18
	s_add_u32 s10, s26, s10
	s_addc_u32 s11, s27, 0
	global_load_ushort v131, v133, s[10:11]
	s_waitcnt vmcnt(0)
	v_mad_u32_u24 v131, v0, v131, v202
	v_and_b32_e32 v131, 63, v131
	v_cmp_gt_u32_e32 vcc, 32, v131
	s_and_saveexec_b64 s[10:11], vcc
	s_cbranch_execz .LBB107_80
; %bb.77:                               ;   in Loop: Header=BB107_5 Depth=1
	v_add_co_u32_e32 v134, vcc, v134, v131
	v_addc_co_u32_e32 v135, vcc, 0, v135, vcc
	v_cmp_gt_i64_e32 vcc, s[12:13], v[134:135]
	v_mov_b32_e32 v199, 0
	v_mov_b32_e32 v132, 0
	s_and_saveexec_b64 s[36:37], vcc
	s_cbranch_execz .LBB107_79
; %bb.78:                               ;   in Loop: Header=BB107_5 Depth=1
	v_lshlrev_b64 v[134:135], 2, v[134:135]
	v_mov_b32_e32 v131, s23
	v_add_co_u32_e32 v142, vcc, s22, v134
	v_addc_co_u32_e32 v143, vcc, v131, v135, vcc
	v_mov_b32_e32 v131, s21
	v_add_co_u32_e32 v134, vcc, s20, v134
	v_addc_co_u32_e32 v135, vcc, v131, v135, vcc
	global_load_dword v199, v[134:135], off
	global_load_dword v132, v[142:143], off
.LBB107_79:                             ;   in Loop: Header=BB107_5 Depth=1
	s_or_b64 exec, exec, s[36:37]
.LBB107_80:                             ;   in Loop: Header=BB107_5 Depth=1
	s_or_b64 exec, exec, s[10:11]
	v_mov_b32_e32 v134, 0
	s_and_saveexec_b64 s[10:11], s[2:3]
	s_cbranch_execz .LBB107_82
; %bb.81:                               ;   in Loop: Header=BB107_5 Depth=1
	v_add_co_u32_e32 v134, vcc, v128, v136
	v_addc_co_u32_e32 v135, vcc, v125, v137, vcc
	v_add_co_u32_e32 v140, vcc, v130, v136
	v_addc_co_u32_e32 v141, vcc, v127, v137, vcc
	global_load_ushort v131, v[140:141], off
	s_nop 0
	global_load_ushort v134, v[134:135], off
	s_waitcnt vmcnt(1)
	v_lshlrev_b32_e32 v141, 16, v131
	s_waitcnt vmcnt(0)
	v_lshlrev_b32_e32 v134, 16, v134
.LBB107_82:                             ;   in Loop: Header=BB107_5 Depth=1
	s_or_b64 exec, exec, s[10:11]
	v_mov_b32_e32 v143, 0
	v_mov_b32_e32 v145, 0
	v_mov_b32_e32 v140, 0
	s_and_saveexec_b64 s[10:11], s[2:3]
	s_cbranch_execz .LBB107_84
; %bb.83:                               ;   in Loop: Header=BB107_5 Depth=1
	v_add_co_u32_e32 v144, vcc, v124, v136
	v_addc_co_u32_e32 v145, vcc, v121, v137, vcc
	v_add_co_u32_e32 v146, vcc, v126, v136
	v_addc_co_u32_e32 v147, vcc, v123, v137, vcc
	global_load_ushort v131, v[146:147], off
	global_load_ushort v135, v[144:145], off
	s_waitcnt vmcnt(1)
	v_lshlrev_b32_e32 v145, 16, v131
	s_waitcnt vmcnt(0)
	v_lshlrev_b32_e32 v140, 16, v135
.LBB107_84:                             ;   in Loop: Header=BB107_5 Depth=1
	s_or_b64 exec, exec, s[10:11]
	v_mov_b32_e32 v142, 0
	s_and_saveexec_b64 s[10:11], s[2:3]
	s_cbranch_execz .LBB107_86
; %bb.85:                               ;   in Loop: Header=BB107_5 Depth=1
	v_add_co_u32_e32 v142, vcc, v120, v136
	v_addc_co_u32_e32 v143, vcc, v117, v137, vcc
	v_add_co_u32_e32 v146, vcc, v122, v136
	v_addc_co_u32_e32 v147, vcc, v119, v137, vcc
	global_load_ushort v131, v[146:147], off
	global_load_ushort v135, v[142:143], off
	s_waitcnt vmcnt(1)
	v_lshlrev_b32_e32 v143, 16, v131
	s_waitcnt vmcnt(0)
	v_lshlrev_b32_e32 v142, 16, v135
.LBB107_86:                             ;   in Loop: Header=BB107_5 Depth=1
	s_or_b64 exec, exec, s[10:11]
	v_mov_b32_e32 v147, 0
	v_mov_b32_e32 v149, 0
	v_mov_b32_e32 v144, 0
	s_and_saveexec_b64 s[10:11], s[2:3]
	s_cbranch_execz .LBB107_88
; %bb.87:                               ;   in Loop: Header=BB107_5 Depth=1
	v_add_co_u32_e32 v148, vcc, v116, v136
	v_addc_co_u32_e32 v149, vcc, v113, v137, vcc
	v_add_co_u32_e32 v150, vcc, v118, v136
	v_addc_co_u32_e32 v151, vcc, v115, v137, vcc
	global_load_ushort v131, v[150:151], off
	global_load_ushort v135, v[148:149], off
	s_waitcnt vmcnt(1)
	v_lshlrev_b32_e32 v149, 16, v131
	s_waitcnt vmcnt(0)
	v_lshlrev_b32_e32 v144, 16, v135
.LBB107_88:                             ;   in Loop: Header=BB107_5 Depth=1
	s_or_b64 exec, exec, s[10:11]
	v_mov_b32_e32 v146, 0
	s_and_saveexec_b64 s[10:11], s[2:3]
	s_cbranch_execz .LBB107_90
; %bb.89:                               ;   in Loop: Header=BB107_5 Depth=1
	v_add_co_u32_e32 v146, vcc, v112, v136
	v_addc_co_u32_e32 v147, vcc, v109, v137, vcc
	v_add_co_u32_e32 v150, vcc, v114, v136
	v_addc_co_u32_e32 v151, vcc, v111, v137, vcc
	global_load_ushort v131, v[150:151], off
	global_load_ushort v135, v[146:147], off
	s_waitcnt vmcnt(1)
	v_lshlrev_b32_e32 v147, 16, v131
	s_waitcnt vmcnt(0)
	v_lshlrev_b32_e32 v146, 16, v135
.LBB107_90:                             ;   in Loop: Header=BB107_5 Depth=1
	;; [unrolled: 34-line block ×4, first 2 shown]
	s_or_b64 exec, exec, s[10:11]
	v_mov_b32_e32 v163, 0
	v_mov_b32_e32 v161, 0
	;; [unrolled: 1-line block ×3, first 2 shown]
	s_and_saveexec_b64 s[10:11], s[2:3]
	s_cbranch_execz .LBB107_100
; %bb.99:                               ;   in Loop: Header=BB107_5 Depth=1
	v_add_co_u32_e32 v158, vcc, v92, v136
	v_addc_co_u32_e32 v159, vcc, v89, v137, vcc
	v_add_co_u32_e32 v160, vcc, v94, v136
	v_addc_co_u32_e32 v161, vcc, v91, v137, vcc
	global_load_ushort v131, v[160:161], off
	global_load_ushort v135, v[158:159], off
	s_waitcnt vmcnt(1)
	v_lshlrev_b32_e32 v161, 16, v131
	s_waitcnt vmcnt(0)
	v_lshlrev_b32_e32 v160, 16, v135
.LBB107_100:                            ;   in Loop: Header=BB107_5 Depth=1
	s_or_b64 exec, exec, s[10:11]
	v_mov_b32_e32 v164, 0
	s_and_saveexec_b64 s[10:11], s[2:3]
	s_cbranch_execz .LBB107_102
; %bb.101:                              ;   in Loop: Header=BB107_5 Depth=1
	v_add_co_u32_e32 v158, vcc, v88, v136
	v_addc_co_u32_e32 v159, vcc, v85, v137, vcc
	v_add_co_u32_e32 v162, vcc, v90, v136
	v_addc_co_u32_e32 v163, vcc, v87, v137, vcc
	global_load_ushort v131, v[162:163], off
	global_load_ushort v135, v[158:159], off
	s_waitcnt vmcnt(1)
	v_lshlrev_b32_e32 v163, 16, v131
	s_waitcnt vmcnt(0)
	v_lshlrev_b32_e32 v164, 16, v135
.LBB107_102:                            ;   in Loop: Header=BB107_5 Depth=1
	s_or_b64 exec, exec, s[10:11]
	v_mov_b32_e32 v159, 0
	v_mov_b32_e32 v167, 0
	v_mov_b32_e32 v154, 0
	s_and_saveexec_b64 s[10:11], s[2:3]
	s_cbranch_execz .LBB107_104
; %bb.103:                              ;   in Loop: Header=BB107_5 Depth=1
	v_add_co_u32_e32 v166, vcc, v84, v136
	v_addc_co_u32_e32 v167, vcc, v81, v137, vcc
	v_add_co_u32_e32 v168, vcc, v86, v136
	v_addc_co_u32_e32 v169, vcc, v83, v137, vcc
	global_load_ushort v131, v[168:169], off
	global_load_ushort v135, v[166:167], off
	s_waitcnt vmcnt(1)
	v_lshlrev_b32_e32 v167, 16, v131
	s_waitcnt vmcnt(0)
	v_lshlrev_b32_e32 v154, 16, v135
.LBB107_104:                            ;   in Loop: Header=BB107_5 Depth=1
	s_or_b64 exec, exec, s[10:11]
	v_mov_b32_e32 v158, 0
	s_and_saveexec_b64 s[10:11], s[2:3]
	s_cbranch_execz .LBB107_106
; %bb.105:                              ;   in Loop: Header=BB107_5 Depth=1
	v_add_co_u32_e32 v158, vcc, v80, v136
	v_addc_co_u32_e32 v159, vcc, v77, v137, vcc
	v_add_co_u32_e32 v168, vcc, v82, v136
	v_addc_co_u32_e32 v169, vcc, v79, v137, vcc
	global_load_ushort v131, v[168:169], off
	global_load_ushort v135, v[158:159], off
	s_waitcnt vmcnt(1)
	v_lshlrev_b32_e32 v159, 16, v131
	s_waitcnt vmcnt(0)
	v_lshlrev_b32_e32 v158, 16, v135
.LBB107_106:                            ;   in Loop: Header=BB107_5 Depth=1
	s_or_b64 exec, exec, s[10:11]
	v_mov_b32_e32 v169, 0
	v_mov_b32_e32 v171, 0
	v_mov_b32_e32 v162, 0
	s_and_saveexec_b64 s[10:11], s[2:3]
	s_cbranch_execz .LBB107_108
; %bb.107:                              ;   in Loop: Header=BB107_5 Depth=1
	v_add_co_u32_e32 v170, vcc, v76, v136
	v_addc_co_u32_e32 v171, vcc, v73, v137, vcc
	v_add_co_u32_e32 v172, vcc, v78, v136
	v_addc_co_u32_e32 v173, vcc, v75, v137, vcc
	global_load_ushort v131, v[172:173], off
	global_load_ushort v135, v[170:171], off
	s_waitcnt vmcnt(1)
	v_lshlrev_b32_e32 v171, 16, v131
	s_waitcnt vmcnt(0)
	v_lshlrev_b32_e32 v162, 16, v135
.LBB107_108:                            ;   in Loop: Header=BB107_5 Depth=1
	;; [unrolled: 34-line block ×10, first 2 shown]
	s_or_b64 exec, exec, s[10:11]
	v_mov_b32_e32 v198, 0
	s_and_saveexec_b64 s[10:11], s[2:3]
	s_cbranch_execz .LBB107_142
; %bb.141:                              ;   in Loop: Header=BB107_5 Depth=1
	v_add_co_u32_e32 v206, vcc, v8, v136
	v_addc_co_u32_e32 v207, vcc, v5, v137, vcc
	v_add_co_u32_e32 v208, vcc, v10, v136
	v_addc_co_u32_e32 v209, vcc, v7, v137, vcc
	global_load_ushort v131, v[208:209], off
	global_load_ushort v135, v[206:207], off
	s_waitcnt vmcnt(1)
	v_lshlrev_b32_e32 v200, 16, v131
	s_waitcnt vmcnt(0)
	v_lshlrev_b32_e32 v198, 16, v135
.LBB107_142:                            ;   in Loop: Header=BB107_5 Depth=1
	s_or_b64 exec, exec, s[10:11]
	v_mov_b32_e32 v204, 0
	v_mov_b32_e32 v131, 0
	s_and_saveexec_b64 s[10:11], s[2:3]
	s_cbranch_execz .LBB107_3
; %bb.143:                              ;   in Loop: Header=BB107_5 Depth=1
	v_add_co_u32_e32 v206, vcc, v4, v136
	v_addc_co_u32_e32 v207, vcc, v1, v137, vcc
	v_add_co_u32_e32 v208, vcc, v6, v136
	v_addc_co_u32_e32 v209, vcc, v3, v137, vcc
	global_load_ushort v131, v[208:209], off
	global_load_ushort v135, v[206:207], off
	s_waitcnt vmcnt(1)
	v_lshlrev_b32_e32 v204, 16, v131
	s_waitcnt vmcnt(0)
	v_lshlrev_b32_e32 v131, 16, v135
	s_branch .LBB107_3
.LBB107_144:
                                        ; implicit-def: $vgpr138_vgpr139
	s_branch .LBB107_146
.LBB107_145:
	s_cbranch_execnz .LBB107_226
.LBB107_146:
	s_mov_b32 s3, 0
	s_mov_b32 s2, s3
	s_and_b64 vcc, exec, s[0:1]
	v_pk_mov_b32 v[138:139], s[2:3], s[2:3] op_sel:[0,1]
	s_cbranch_vccnz .LBB107_226
; %bb.147:
	v_bfe_u32 v205, v253, 10, 10
	s_add_u32 s10, s4, 64
	s_addc_u32 s11, s5, 0
	v_lshlrev_b32_e32 v0, 6, v205
	s_lshl_b64 s[0:1], s[24:25], 1
	v_mov_b32_e32 v1, s1
	v_add_co_u32_e32 v0, vcc, s0, v0
	v_addc_co_u32_e32 v1, vcc, 0, v1, vcc
	v_add_co_u32_e32 v22, vcc, 2, v0
	v_addc_co_u32_e32 v4, vcc, 0, v1, vcc
	;; [unrolled: 2-line block ×10, first 2 shown]
	v_add_co_u32_e32 v50, vcc, 20, v0
	v_pk_mov_b32 v[122:123], s[16:17], s[16:17] op_sel:[0,1]
	v_addc_co_u32_e32 v23, vcc, 0, v1, vcc
	v_pk_mov_b32 v[124:125], s[18:19], s[18:19] op_sel:[0,1]
	v_mad_u64_u32 v[2:3], s[0:1], s14, v22, v[122:123]
	v_mul_lo_u32 v24, s14, v4
	v_mul_lo_u32 v25, s15, v22
	;; [unrolled: 1-line block ×3, first 2 shown]
	v_mad_u64_u32 v[22:23], s[0:1], s14, v22, v[124:125]
	v_add3_u32 v3, v25, v3, v24
	v_mad_u64_u32 v[4:5], s[0:1], s14, v26, v[122:123]
	v_mul_lo_u32 v27, s14, v6
	v_mul_lo_u32 v28, s15, v26
	v_add3_u32 v23, v25, v23, v24
	v_mad_u64_u32 v[24:25], s[0:1], s14, v26, v[124:125]
	v_add3_u32 v5, v28, v5, v27
	v_mad_u64_u32 v[6:7], s[0:1], s14, v29, v[122:123]
	v_mul_lo_u32 v30, s14, v8
	v_mul_lo_u32 v31, s15, v29
	v_add3_u32 v25, v28, v25, v27
	v_mad_u64_u32 v[26:27], s[0:1], s14, v29, v[124:125]
	v_add3_u32 v7, v31, v7, v30
	v_mad_u64_u32 v[8:9], s[0:1], s14, v32, v[122:123]
	v_mul_lo_u32 v33, s14, v10
	v_mul_lo_u32 v34, s15, v32
	v_add_co_u32_e32 v53, vcc, 22, v0
	v_add3_u32 v27, v31, v27, v30
	v_mad_u64_u32 v[30:31], s[0:1], s14, v32, v[124:125]
	v_add3_u32 v9, v34, v9, v33
	v_mad_u64_u32 v[10:11], s[0:1], s14, v35, v[122:123]
	v_mul_lo_u32 v36, s14, v12
	v_mul_lo_u32 v37, s15, v35
	v_mad_u64_u32 v[12:13], s[0:1], s14, v38, v[122:123]
	v_mul_lo_u32 v39, s14, v14
	v_mul_lo_u32 v40, s15, v38
	v_addc_co_u32_e32 v54, vcc, 0, v1, vcc
	v_add3_u32 v31, v34, v31, v33
	v_mad_u64_u32 v[32:33], s[0:1], s14, v35, v[124:125]
	v_mad_u64_u32 v[34:35], s[0:1], s14, v38, v[124:125]
	v_add3_u32 v13, v40, v13, v39
	v_mul_lo_u32 v42, s14, v16
	v_mad_u64_u32 v[16:17], s[0:1], s14, v44, v[122:123]
	v_mul_lo_u32 v45, s14, v18
	v_mul_lo_u32 v46, s15, v44
	v_add3_u32 v35, v40, v35, v39
	v_add_co_u32_e32 v56, vcc, 24, v0
	v_mad_u64_u32 v[38:39], s[0:1], s14, v44, v[124:125]
	v_add3_u32 v17, v46, v17, v45
	v_mul_lo_u32 v48, s14, v20
	v_mad_u64_u32 v[20:21], s[0:1], s14, v50, v[122:123]
	v_mul_lo_u32 v52, s15, v50
	v_addc_co_u32_e32 v57, vcc, 0, v1, vcc
	v_add3_u32 v39, v46, v39, v45
	v_mad_u64_u32 v[44:45], s[0:1], s14, v50, v[124:125]
	v_add3_u32 v11, v37, v11, v36
	v_mad_u64_u32 v[14:15], s[0:1], s14, v41, v[122:123]
	v_mul_lo_u32 v43, s15, v41
	v_add3_u32 v21, v52, v21, v51
	v_add3_u32 v33, v37, v33, v36
	v_mad_u64_u32 v[36:37], s[0:1], s14, v41, v[124:125]
	v_add3_u32 v45, v52, v45, v51
	v_add_co_u32_e32 v52, vcc, 26, v0
	v_add3_u32 v15, v43, v15, v42
	v_mad_u64_u32 v[18:19], s[0:1], s14, v47, v[122:123]
	v_mul_lo_u32 v49, s15, v47
	v_mad_u64_u32 v[28:29], s[0:1], s14, v53, v[122:123]
	v_mul_lo_u32 v54, s14, v54
	v_mul_lo_u32 v55, s15, v53
	v_add3_u32 v37, v43, v37, v42
	v_mad_u64_u32 v[42:43], s[0:1], s14, v47, v[124:125]
	v_mad_u64_u32 v[46:47], s[0:1], s14, v53, v[124:125]
	v_addc_co_u32_e32 v53, vcc, 0, v1, vcc
	v_add3_u32 v19, v49, v19, v48
	v_add3_u32 v29, v55, v29, v54
	v_mad_u64_u32 v[40:41], s[0:1], s14, v56, v[122:123]
	v_add3_u32 v43, v49, v43, v48
	v_mul_lo_u32 v58, s15, v56
	v_add3_u32 v47, v55, v47, v54
	v_mad_u64_u32 v[48:49], s[0:1], s14, v56, v[124:125]
	v_mad_u64_u32 v[50:51], s[0:1], s14, v52, v[122:123]
	v_mul_lo_u32 v54, s14, v53
	v_mul_lo_u32 v55, s15, v52
	v_mad_u64_u32 v[52:53], s[0:1], s14, v52, v[124:125]
	v_add_co_u32_e32 v56, vcc, 28, v0
	v_mul_lo_u32 v57, s14, v57
	v_add3_u32 v51, v55, v51, v54
	v_add3_u32 v53, v55, v53, v54
	v_addc_co_u32_e32 v54, vcc, 0, v1, vcc
	v_add3_u32 v41, v58, v41, v57
	v_add3_u32 v49, v58, v49, v57
	v_mul_lo_u32 v58, s14, v54
	v_mul_lo_u32 v59, s15, v56
	v_mad_u64_u32 v[54:55], s[0:1], s14, v56, v[122:123]
	v_mad_u64_u32 v[56:57], s[0:1], s14, v56, v[124:125]
	v_add_co_u32_e32 v60, vcc, 30, v0
	v_add3_u32 v55, v59, v55, v58
	v_add3_u32 v57, v59, v57, v58
	v_addc_co_u32_e32 v58, vcc, 0, v1, vcc
	v_mul_lo_u32 v62, s14, v58
	v_mul_lo_u32 v63, s15, v60
	v_mad_u64_u32 v[58:59], s[0:1], s14, v60, v[122:123]
	v_mad_u64_u32 v[60:61], s[0:1], s14, v60, v[124:125]
	v_add_co_u32_e32 v64, vcc, 32, v0
	v_add3_u32 v59, v63, v59, v62
	v_add3_u32 v61, v63, v61, v62
	v_addc_co_u32_e32 v62, vcc, 0, v1, vcc
	;; [unrolled: 8-line block ×16, first 2 shown]
	v_add_co_u32_e32 v0, vcc, 62, v0
	v_mul_lo_u32 v126, s14, v118
	v_mul_lo_u32 v127, s15, v120
	v_mad_u64_u32 v[118:119], s[0:1], s14, v120, v[122:123]
	v_mad_u64_u32 v[120:121], s[0:1], s14, v120, v[124:125]
	v_addc_co_u32_e32 v1, vcc, 0, v1, vcc
	v_add3_u32 v119, v127, v119, v126
	v_add3_u32 v121, v127, v121, v126
	v_mad_u64_u32 v[122:123], s[0:1], s14, v0, v[122:123]
	v_mul_lo_u32 v1, s14, v1
	v_mad_u64_u32 v[124:125], s[0:1], s14, v0, v[124:125]
	v_mul_lo_u32 v0, s15, v0
	v_lshlrev_b32_e32 v126, 5, v205
	v_add3_u32 v123, v0, v123, v1
	v_add3_u32 v125, v0, v125, v1
	v_mov_b32_e32 v1, s25
	v_add_co_u32_e32 v0, vcc, s24, v126
	v_addc_co_u32_e32 v1, vcc, 0, v1, vcc
	v_add_co_u32_e32 v127, vcc, 31, v0
	v_addc_co_u32_e32 v128, vcc, 0, v1, vcc
	v_mul_lo_u32 v128, s14, v128
	v_mul_lo_u32 v129, s15, v127
	v_mad_u64_u32 v[132:133], s[0:1], s14, v127, 0
	v_add_co_u32_e32 v127, vcc, 30, v0
	v_add3_u32 v133, v133, v128, v129
	v_addc_co_u32_e32 v128, vcc, 0, v1, vcc
	v_mul_lo_u32 v128, s14, v128
	v_mul_lo_u32 v129, s15, v127
	v_mad_u64_u32 v[134:135], s[0:1], s14, v127, 0
	v_add_co_u32_e32 v127, vcc, 29, v0
	v_add3_u32 v135, v135, v128, v129
	;; [unrolled: 6-line block ×29, first 2 shown]
	v_addc_co_u32_e32 v128, vcc, 0, v1, vcc
	v_mul_lo_u32 v128, s14, v128
	v_mul_lo_u32 v129, s15, v127
	v_mad_u64_u32 v[190:191], s[0:1], s14, v127, 0
	v_add3_u32 v191, v191, v128, v129
	v_pk_mov_b32 v[128:129], s[14:15], s[14:15] op_sel:[0,1]
	v_mul_lo_u32 v127, s14, v1
	v_mad_u64_u32 v[192:193], s[0:1], s14, v0, v[128:129]
	v_mul_lo_u32 v128, s15, v0
	v_mad_u64_u32 v[0:1], s[0:1], s14, v0, 0
	v_add3_u32 v1, v1, v127, v128
	v_lshlrev_b64 v[130:131], 1, v[0:1]
	v_add3_u32 v193, v128, v193, v127
	v_mov_b32_e32 v0, s17
	v_add_co_u32_e32 v128, vcc, s16, v130
	v_addc_co_u32_e32 v1, vcc, v0, v131, vcc
	v_mov_b32_e32 v129, s19
	v_add_co_u32_e32 v130, vcc, s18, v130
	v_addc_co_u32_e32 v127, vcc, v129, v131, vcc
	v_lshlrev_b64 v[132:133], 1, v[132:133]
	v_add_co_u32_e32 v210, vcc, s16, v132
	v_addc_co_u32_e32 v131, vcc, v0, v133, vcc
	v_add_co_u32_e32 v132, vcc, s18, v132
	v_accvgpr_write_b32 a1, v131
	v_accvgpr_write_b32 a4, v132
	v_addc_co_u32_e32 v131, vcc, v129, v133, vcc
	v_lshlrev_b64 v[132:133], 1, v[134:135]
	v_add_co_u32_e32 v134, vcc, s16, v132
	v_accvgpr_write_b32 a3, v131
	v_addc_co_u32_e32 v131, vcc, v0, v133, vcc
	v_add_co_u32_e32 v132, vcc, s18, v132
	v_accvgpr_write_b32 a5, v131
	v_accvgpr_write_b32 a8, v132
	v_addc_co_u32_e32 v131, vcc, v129, v133, vcc
	v_lshlrev_b64 v[132:133], 1, v[136:137]
	v_accvgpr_write_b32 a6, v134
	v_add_co_u32_e32 v134, vcc, s16, v132
	v_accvgpr_write_b32 a7, v131
	v_addc_co_u32_e32 v131, vcc, v0, v133, vcc
	v_add_co_u32_e32 v132, vcc, s18, v132
	v_accvgpr_write_b32 a9, v131
	v_accvgpr_write_b32 a12, v132
	v_addc_co_u32_e32 v131, vcc, v129, v133, vcc
	v_lshlrev_b64 v[132:133], 1, v[138:139]
	v_accvgpr_write_b32 a10, v134
	;; [unrolled: 9-line block ×18, first 2 shown]
	v_add_co_u32_e32 v134, vcc, s16, v132
	v_accvgpr_write_b32 a75, v131
	v_addc_co_u32_e32 v131, vcc, v0, v133, vcc
	v_add_co_u32_e32 v132, vcc, s18, v132
	v_accvgpr_write_b32 a77, v131
	v_accvgpr_write_b32 a80, v132
	v_addc_co_u32_e32 v131, vcc, v129, v133, vcc
	v_lshlrev_b64 v[132:133], 1, v[172:173]
	v_add_co_u32_e32 v212, vcc, s16, v132
	v_accvgpr_write_b32 a79, v131
	v_addc_co_u32_e32 v131, vcc, v0, v133, vcc
	v_add_co_u32_e32 v214, vcc, s18, v132
	v_accvgpr_write_b32 a81, v131
	v_addc_co_u32_e32 v131, vcc, v129, v133, vcc
	v_lshlrev_b64 v[132:133], 1, v[174:175]
	v_add_co_u32_e32 v216, vcc, s16, v132
	v_addc_co_u32_e32 v213, vcc, v0, v133, vcc
	v_add_co_u32_e32 v218, vcc, s18, v132
	v_addc_co_u32_e32 v215, vcc, v129, v133, vcc
	v_lshlrev_b64 v[132:133], 1, v[176:177]
	v_add_co_u32_e32 v220, vcc, s16, v132
	v_addc_co_u32_e32 v217, vcc, v0, v133, vcc
	v_add_co_u32_e32 v222, vcc, s18, v132
	;; [unrolled: 5-line block ×8, first 2 shown]
	v_addc_co_u32_e32 v243, vcc, v129, v133, vcc
	v_lshlrev_b64 v[132:133], 1, v[190:191]
	v_add_co_u32_e32 v248, vcc, s16, v132
	s_load_dword s0, s[4:5], 0x44
	v_addc_co_u32_e32 v245, vcc, v0, v133, vcc
	v_add_co_u32_e32 v250, vcc, s18, v132
	v_addc_co_u32_e32 v247, vcc, v129, v133, vcc
	v_lshlrev_b64 v[132:133], 1, v[192:193]
	v_add_co_u32_e32 v252, vcc, s16, v132
	v_addc_co_u32_e32 v249, vcc, v0, v133, vcc
	s_waitcnt lgkmcnt(0)
	s_lshl_b32 s2, s0, 5
	v_mbcnt_lo_u32_b32 v0, -1, 0
	v_add_co_u32_e32 v254, vcc, s18, v132
	v_and_b32_e32 v207, 0x3ff, v253
	s_mul_i32 s0, s15, s2
	s_mul_hi_u32 s1, s14, s2
	v_mbcnt_hi_u32_b32 v0, -1, v0
	v_addc_co_u32_e32 v251, vcc, v129, v133, vcc
	v_add_u32_e32 v132, s7, v207
	v_mov_b32_e32 v133, 0
	s_add_i32 s1, s1, s0
	s_mul_i32 s0, s14, s2
	v_lshlrev_b32_e32 v0, 2, v0
	v_accvgpr_write_b32 a78, v134
	v_accvgpr_write_b32 a83, v131
	;; [unrolled: 1-line block ×3, first 2 shown]
	s_lshl_b64 s[16:17], s[0:1], 1
	s_mov_b64 s[18:19], 31
	v_and_b32_e32 v0, 0x100, v0
	v_mov_b32_e32 v134, 0
	v_mov_b32_e32 v135, v133
	s_mov_b64 s[26:27], s[24:25]
	v_mov_b32_e32 v253, v133
	v_accvgpr_write_b32 a85, v133
	v_lshlrev_b64 v[132:133], 1, v[132:133]
	s_branch .LBB107_151
.LBB107_148:                            ;   in Loop: Header=BB107_151 Depth=1
	s_or_b64 exec, exec, s[28:29]
.LBB107_149:                            ;   in Loop: Header=BB107_151 Depth=1
	s_or_b64 exec, exec, s[0:1]
	v_add_co_u32_e32 v136, vcc, v128, v132
	v_addc_co_u32_e32 v137, vcc, v1, v133, vcc
	global_load_ushort v131, v[136:137], off
	v_add_co_u32_e32 v136, vcc, v130, v132
	v_addc_co_u32_e32 v137, vcc, v127, v133, vcc
	s_waitcnt vmcnt(0)
	v_lshlrev_b32_e32 v174, 16, v131
	global_load_ushort v131, v[136:137], off
	v_add_co_u32_e32 v136, vcc, v2, v132
	v_addc_co_u32_e32 v137, vcc, v3, v133, vcc
	s_waitcnt vmcnt(0)
	v_lshlrev_b32_e32 v175, 16, v131
	;; [unrolled: 5-line block ×35, first 2 shown]
	global_load_ushort v131, v[136:137], off
	v_add_co_u32_e32 v136, vcc, v70, v132
	v_addc_co_u32_e32 v137, vcc, v71, v133, vcc
	global_load_ushort v136, v[136:137], off
	s_waitcnt vmcnt(1)
	v_lshlrev_b32_e32 v131, 16, v131
	s_waitcnt vmcnt(0)
	v_lshlrev_b32_e32 v170, 16, v136
	v_add_co_u32_e32 v136, vcc, v72, v132
	v_addc_co_u32_e32 v137, vcc, v73, v133, vcc
	global_load_ushort v136, v[136:137], off
	s_waitcnt vmcnt(0)
	v_lshlrev_b32_e32 v171, 16, v136
	v_add_co_u32_e32 v136, vcc, v74, v132
	v_addc_co_u32_e32 v137, vcc, v75, v133, vcc
	global_load_ushort v136, v[136:137], off
	;; [unrolled: 5-line block ×7, first 2 shown]
	s_waitcnt vmcnt(0)
	v_lshlrev_b32_e32 v183, 16, v136
	v_add_co_u32_e32 v136, vcc, v86, v132
	v_addc_co_u32_e32 v137, vcc, v87, v133, vcc
	v_add_co_u32_e32 v138, vcc, v88, v132
	v_addc_co_u32_e32 v139, vcc, v89, v133, vcc
	global_load_ushort v136, v[136:137], off
	s_waitcnt vmcnt(0)
	v_lshlrev_b32_e32 v136, 16, v136
	global_load_ushort v137, v[138:139], off
	v_add_co_u32_e32 v138, vcc, v90, v132
	v_addc_co_u32_e32 v139, vcc, v91, v133, vcc
	v_add_co_u32_e32 v140, vcc, v92, v132
	v_addc_co_u32_e32 v141, vcc, v93, v133, vcc
	global_load_ushort v138, v[138:139], off
	s_waitcnt vmcnt(1)
	v_lshlrev_b32_e32 v137, 16, v137
	global_load_ushort v139, v[140:141], off
	;; [unrolled: 8-line block ×5, first 2 shown]
	v_add_co_u32_e32 v148, vcc, v106, v132
	v_addc_co_u32_e32 v149, vcc, v107, v133, vcc
	v_add_co_u32_e32 v152, vcc, v108, v132
	v_addc_co_u32_e32 v153, vcc, v109, v133, vcc
	global_load_ushort v148, v[148:149], off
	v_lshlrev_b32_e32 v140, 16, v140
	global_load_ushort v149, v[152:153], off
	v_add_co_u32_e32 v152, vcc, v110, v132
	v_addc_co_u32_e32 v153, vcc, v111, v133, vcc
	v_add_co_u32_e32 v158, vcc, v112, v132
	v_addc_co_u32_e32 v159, vcc, v113, v133, vcc
	global_load_ushort v152, v[152:153], off
	s_waitcnt vmcnt(6)
	v_lshlrev_b32_e32 v142, 16, v142
	global_load_ushort v153, v[158:159], off
	v_add_co_u32_e32 v158, vcc, v114, v132
	v_addc_co_u32_e32 v159, vcc, v115, v133, vcc
	global_load_ushort v156, v[158:159], off
	v_add_co_u32_e32 v162, vcc, v116, v132
	v_addc_co_u32_e32 v163, vcc, v117, v133, vcc
	s_waitcnt vmcnt(7)
	v_lshlrev_b32_e32 v143, 16, v143
	s_waitcnt vmcnt(6)
	v_lshlrev_b32_e32 v144, 16, v144
	;; [unrolled: 2-line block ×8, first 2 shown]
	global_load_ushort v156, v[162:163], off
	v_add_co_u32_e32 v162, vcc, v118, v132
	v_addc_co_u32_e32 v163, vcc, v119, v133, vcc
	v_add_co_u32_e32 v200, vcc, v120, v132
	v_addc_co_u32_e32 v201, vcc, v121, v133, vcc
	s_waitcnt vmcnt(0)
	v_lshlrev_b32_e32 v159, 16, v156
	global_load_ushort v156, v[162:163], off
	s_waitcnt vmcnt(0)
	v_lshlrev_b32_e32 v162, 16, v156
	global_load_ushort v156, v[200:201], off
	v_add_co_u32_e32 v200, vcc, v122, v132
	v_addc_co_u32_e32 v201, vcc, v123, v133, vcc
	s_waitcnt vmcnt(0)
	v_lshlrev_b32_e32 v163, 16, v156
	global_load_ushort v156, v[200:201], off
	v_add_co_u32_e32 v200, vcc, v124, v132
	v_addc_co_u32_e32 v201, vcc, v125, v133, vcc
	global_load_ushort v199, v[200:201], off
	ds_bpermute_b32 v201, v0, v129
	s_waitcnt lgkmcnt(0)
	v_sub_f32_e32 v175, v175, v201
	ds_bpermute_b32 v201, v0, v129 offset:4
	v_mul_f32_e32 v175, v175, v174
	s_waitcnt lgkmcnt(0)
	v_sub_f32_e32 v179, v179, v201
	ds_bpermute_b32 v201, v0, v129 offset:8
	v_mul_f32_e32 v179, v179, v178
	;; [unrolled: 4-line block ×10, first 2 shown]
	s_waitcnt lgkmcnt(0)
	v_sub_f32_e32 v169, v169, v201
	v_mul_f32_e32 v169, v169, v198
	s_waitcnt vmcnt(1)
	v_lshlrev_b32_e32 v156, 16, v156
	s_waitcnt vmcnt(0)
	v_lshlrev_b32_e32 v200, 16, v199
	ds_bpermute_b32 v199, v0, v157
	s_waitcnt lgkmcnt(0)
	v_mul_f32_e32 v175, v175, v199
	ds_bpermute_b32 v199, v0, v157 offset:4
	v_pk_add_f32 v[134:135], v[134:135], v[174:175]
	ds_bpermute_b32 v174, v0, v129 offset:44
	s_waitcnt lgkmcnt(1)
	v_mul_f32_e32 v179, v179, v199
	ds_bpermute_b32 v199, v0, v157 offset:8
	s_waitcnt lgkmcnt(1)
	v_sub_f32_e32 v147, v147, v174
	ds_bpermute_b32 v174, v0, v129 offset:48
	v_mul_f32_e32 v147, v147, v146
	v_pk_add_f32 v[134:135], v[134:135], v[178:179]
	s_waitcnt lgkmcnt(1)
	v_mul_f32_e32 v181, v181, v199
	ds_bpermute_b32 v199, v0, v157 offset:12
	s_waitcnt lgkmcnt(1)
	v_sub_f32_e32 v151, v151, v174
	ds_bpermute_b32 v174, v0, v129 offset:52
	v_mul_f32_e32 v151, v151, v150
	v_pk_add_f32 v[134:135], v[134:135], v[180:181]
	;; [unrolled: 8-line block ×9, first 2 shown]
	s_waitcnt lgkmcnt(1)
	v_mul_f32_e32 v199, v169, v199
	ds_bpermute_b32 v169, v0, v157 offset:44
	s_waitcnt lgkmcnt(1)
	v_sub_f32_e32 v174, v177, v174
	v_mul_f32_e32 v174, v174, v176
	v_pk_add_f32 v[134:135], v[134:135], v[198:199]
	s_waitcnt lgkmcnt(0)
	v_mul_f32_e32 v147, v147, v169
	ds_bpermute_b32 v169, v0, v157 offset:48
	v_pk_add_f32 v[134:135], v[134:135], v[146:147]
	ds_bpermute_b32 v146, v0, v129 offset:88
	s_waitcnt lgkmcnt(1)
	v_mul_f32_e32 v151, v151, v169
	ds_bpermute_b32 v169, v0, v157 offset:52
	s_waitcnt lgkmcnt(1)
	v_sub_f32_e32 v137, v137, v146
	ds_bpermute_b32 v146, v0, v129 offset:92
	v_mul_f32_e32 v137, v137, v136
	v_pk_add_f32 v[134:135], v[134:135], v[150:151]
	s_waitcnt lgkmcnt(1)
	v_mul_f32_e32 v155, v155, v169
	ds_bpermute_b32 v169, v0, v157 offset:56
	s_waitcnt lgkmcnt(1)
	v_sub_f32_e32 v139, v139, v146
	ds_bpermute_b32 v146, v0, v129 offset:96
	v_mul_f32_e32 v139, v139, v138
	v_pk_add_f32 v[134:135], v[134:135], v[154:155]
	;; [unrolled: 8-line block ×5, first 2 shown]
	s_waitcnt lgkmcnt(1)
	v_mul_f32_e32 v169, v131, v169
	ds_bpermute_b32 v131, v0, v157 offset:72
	s_waitcnt lgkmcnt(1)
	v_sub_f32_e32 v146, v149, v146
	v_mul_f32_e32 v146, v146, v148
	v_pk_add_f32 v[134:135], v[134:135], v[168:169]
	s_waitcnt lgkmcnt(0)
	v_mul_f32_e32 v171, v171, v131
	ds_bpermute_b32 v131, v0, v157 offset:76
	v_pk_add_f32 v[134:135], v[134:135], v[170:171]
	s_waitcnt lgkmcnt(0)
	v_mul_f32_e32 v173, v173, v131
	ds_bpermute_b32 v131, v0, v157 offset:80
	v_pk_add_f32 v[134:135], v[134:135], v[172:173]
	s_waitcnt lgkmcnt(0)
	v_mul_f32_e32 v177, v174, v131
	ds_bpermute_b32 v174, v0, v129 offset:84
	ds_bpermute_b32 v131, v0, v157 offset:84
	v_pk_add_f32 v[134:135], v[134:135], v[176:177]
	s_waitcnt lgkmcnt(1)
	v_sub_f32_e32 v174, v183, v174
	v_mul_f32_e32 v174, v174, v182
	s_waitcnt lgkmcnt(0)
	v_mul_f32_e32 v183, v174, v131
	ds_bpermute_b32 v131, v0, v157 offset:88
	v_pk_add_f32 v[134:135], v[134:135], v[182:183]
	s_waitcnt lgkmcnt(0)
	v_mul_f32_e32 v137, v137, v131
	ds_bpermute_b32 v131, v0, v157 offset:92
	v_pk_add_f32 v[134:135], v[134:135], v[136:137]
	;; [unrolled: 4-line block ×6, first 2 shown]
	s_waitcnt lgkmcnt(0)
	v_mul_f32_e32 v149, v146, v131
	ds_bpermute_b32 v146, v0, v129 offset:112
	ds_bpermute_b32 v131, v0, v157 offset:112
	v_pk_add_f32 v[134:135], v[134:135], v[148:149]
	s_waitcnt lgkmcnt(1)
	v_sub_f32_e32 v146, v153, v146
	v_mul_f32_e32 v146, v146, v152
	s_waitcnt lgkmcnt(0)
	v_mul_f32_e32 v153, v146, v131
	ds_bpermute_b32 v146, v0, v129 offset:116
	ds_bpermute_b32 v131, v0, v157 offset:116
	v_pk_add_f32 v[134:135], v[134:135], v[152:153]
	s_waitcnt lgkmcnt(1)
	v_sub_f32_e32 v146, v159, v146
	v_mul_f32_e32 v146, v146, v158
	s_waitcnt lgkmcnt(0)
	v_mul_f32_e32 v159, v146, v131
	ds_bpermute_b32 v146, v0, v129 offset:120
	ds_bpermute_b32 v131, v0, v157 offset:120
	;; [unrolled: 1-line block ×3, first 2 shown]
	v_pk_add_f32 v[134:135], v[134:135], v[158:159]
	s_waitcnt lgkmcnt(2)
	v_sub_f32_e32 v146, v163, v146
	v_mul_f32_e32 v146, v146, v162
	s_waitcnt lgkmcnt(1)
	v_mul_f32_e32 v163, v146, v131
	ds_bpermute_b32 v131, v0, v157 offset:124
	s_waitcnt lgkmcnt(1)
	v_sub_f32_e32 v129, v200, v129
	v_mul_f32_e32 v129, v129, v156
	v_pk_add_f32 v[134:135], v[134:135], v[162:163]
	s_waitcnt lgkmcnt(0)
	v_mul_f32_e32 v157, v129, v131
	v_pk_add_f32 v[138:139], v[134:135], v[156:157]
.LBB107_150:                            ;   in Loop: Header=BB107_151 Depth=1
	v_add_co_u32_e32 v126, vcc, s2, v126
	v_mov_b32_e32 v129, s3
	v_addc_co_u32_e32 v253, vcc, v253, v129, vcc
	v_add_co_u32_e32 v2, vcc, s16, v2
	v_mov_b32_e32 v129, s17
	v_addc_co_u32_e32 v3, vcc, v3, v129, vcc
	v_add_co_u32_e32 v4, vcc, s16, v4
	v_addc_co_u32_e32 v5, vcc, v5, v129, vcc
	v_add_co_u32_e32 v6, vcc, s16, v6
	;; [unrolled: 2-line block ×64, first 2 shown]
	v_accvgpr_read_b32 v131, a1
	v_addc_co_u32_e32 v131, vcc, v131, v129, vcc
	v_accvgpr_read_b32 v134, a4
	v_accvgpr_write_b32 a1, v131
	v_add_co_u32_e32 v134, vcc, s16, v134
	v_accvgpr_read_b32 v131, a3
	v_accvgpr_write_b32 a4, v134
	v_addc_co_u32_e32 v131, vcc, v131, v129, vcc
	v_accvgpr_read_b32 v134, a6
	v_accvgpr_write_b32 a3, v131
	v_add_co_u32_e32 v134, vcc, s16, v134
	v_accvgpr_read_b32 v131, a5
	v_accvgpr_write_b32 a6, v134
	;; [unrolled: 6-line block ×38, first 2 shown]
	v_addc_co_u32_e32 v131, vcc, v131, v129, vcc
	v_accvgpr_read_b32 v134, a80
	v_accvgpr_write_b32 a77, v131
	v_add_co_u32_e32 v134, vcc, s16, v134
	v_accvgpr_read_b32 v131, a79
	v_addc_co_u32_e32 v131, vcc, v131, v129, vcc
	v_accvgpr_write_b32 a79, v131
	v_add_co_u32_e32 v212, vcc, s16, v212
	v_accvgpr_read_b32 v131, a81
	v_addc_co_u32_e32 v131, vcc, v131, v129, vcc
	;; [unrolled: 4-line block ×3, first 2 shown]
	v_add_co_u32_e32 v216, vcc, s16, v216
	v_addc_co_u32_e32 v213, vcc, v213, v129, vcc
	v_add_co_u32_e32 v218, vcc, s16, v218
	v_addc_co_u32_e32 v215, vcc, v215, v129, vcc
	v_add_co_u32_e32 v220, vcc, s16, v220
	v_addc_co_u32_e32 v217, vcc, v217, v129, vcc
	v_add_co_u32_e32 v222, vcc, s16, v222
	v_addc_co_u32_e32 v219, vcc, v219, v129, vcc
	v_add_co_u32_e32 v224, vcc, s16, v224
	v_addc_co_u32_e32 v221, vcc, v221, v129, vcc
	v_add_co_u32_e32 v226, vcc, s16, v226
	v_addc_co_u32_e32 v223, vcc, v223, v129, vcc
	v_add_co_u32_e32 v228, vcc, s16, v228
	v_addc_co_u32_e32 v225, vcc, v225, v129, vcc
	v_add_co_u32_e32 v230, vcc, s16, v230
	v_addc_co_u32_e32 v227, vcc, v227, v129, vcc
	v_add_co_u32_e32 v232, vcc, s16, v232
	v_addc_co_u32_e32 v229, vcc, v229, v129, vcc
	v_add_co_u32_e32 v234, vcc, s16, v234
	v_addc_co_u32_e32 v231, vcc, v231, v129, vcc
	v_add_co_u32_e32 v236, vcc, s16, v236
	v_addc_co_u32_e32 v233, vcc, v233, v129, vcc
	v_add_co_u32_e32 v238, vcc, s16, v238
	v_addc_co_u32_e32 v235, vcc, v235, v129, vcc
	v_add_co_u32_e32 v240, vcc, s16, v240
	v_addc_co_u32_e32 v237, vcc, v237, v129, vcc
	v_add_co_u32_e32 v242, vcc, s16, v242
	v_addc_co_u32_e32 v239, vcc, v239, v129, vcc
	v_add_co_u32_e32 v244, vcc, s16, v244
	v_addc_co_u32_e32 v241, vcc, v241, v129, vcc
	v_add_co_u32_e32 v246, vcc, s16, v246
	v_addc_co_u32_e32 v243, vcc, v243, v129, vcc
	v_add_co_u32_e32 v248, vcc, s16, v248
	v_addc_co_u32_e32 v245, vcc, v245, v129, vcc
	v_add_co_u32_e32 v250, vcc, s16, v250
	v_addc_co_u32_e32 v247, vcc, v247, v129, vcc
	v_add_co_u32_e32 v252, vcc, s16, v252
	v_addc_co_u32_e32 v249, vcc, v249, v129, vcc
	s_add_u32 s26, s26, s2
	v_add_co_u32_e32 v254, vcc, s16, v254
	s_addc_u32 s27, s27, 0
	v_accvgpr_write_b32 a80, v134
	v_addc_co_u32_e32 v251, vcc, v251, v129, vcc
	v_pk_mov_b32 v[134:135], s[12:13], s[12:13] op_sel:[0,1]
	s_add_u32 s18, s18, s2
	v_cmp_ge_i64_e32 vcc, s[26:27], v[134:135]
	v_accvgpr_write_b32 a83, v131
	s_addc_u32 s19, s19, 0
	v_mov_b32_e32 v134, v138
	v_mov_b32_e32 v135, v139
	s_cbranch_vccnz .LBB107_225
.LBB107_151:                            ; =>This Inner Loop Header: Depth=1
	s_add_u32 s0, s24, s18
	s_addc_u32 s1, 0, s19
	v_pk_mov_b32 v[136:137], s[12:13], s[12:13] op_sel:[0,1]
	v_cmp_ge_i64_e32 vcc, s[0:1], v[136:137]
	v_mov_b32_e32 v129, s25
	v_add_co_u32_e64 v136, s[0:1], s24, v126
	v_addc_co_u32_e64 v137, s[0:1], v129, v253, s[0:1]
	s_cbranch_vccz .LBB107_221
; %bb.152:                              ;   in Loop: Header=BB107_151 Depth=1
	s_load_dword s0, s[10:11], 0xc
	v_mov_b32_e32 v141, 0
	v_mov_b32_e32 v129, 0
	;; [unrolled: 1-line block ×3, first 2 shown]
	s_waitcnt lgkmcnt(0)
	s_and_b32 s0, s0, 0xffff
	v_mad_u32_u24 v131, v205, s0, v207
	v_and_b32_e32 v131, 63, v131
	v_cmp_gt_u32_e32 vcc, 32, v131
	s_and_saveexec_b64 s[0:1], vcc
	s_cbranch_execz .LBB107_156
; %bb.153:                              ;   in Loop: Header=BB107_151 Depth=1
	v_add_co_u32_e32 v138, vcc, v136, v131
	v_addc_co_u32_e32 v139, vcc, 0, v137, vcc
	v_cmp_gt_i64_e32 vcc, s[12:13], v[138:139]
	v_mov_b32_e32 v199, 0
	v_mov_b32_e32 v129, 0
	s_and_saveexec_b64 s[28:29], vcc
	s_cbranch_execz .LBB107_155
; %bb.154:                              ;   in Loop: Header=BB107_151 Depth=1
	v_lshlrev_b64 v[138:139], 2, v[138:139]
	v_mov_b32_e32 v129, s23
	v_add_co_u32_e32 v142, vcc, s22, v138
	v_addc_co_u32_e32 v143, vcc, v129, v139, vcc
	v_mov_b32_e32 v129, s21
	v_add_co_u32_e32 v138, vcc, s20, v138
	v_addc_co_u32_e32 v139, vcc, v129, v139, vcc
	global_load_dword v199, v[138:139], off
	global_load_dword v129, v[142:143], off
.LBB107_155:                            ;   in Loop: Header=BB107_151 Depth=1
	s_or_b64 exec, exec, s[28:29]
.LBB107_156:                            ;   in Loop: Header=BB107_151 Depth=1
	s_or_b64 exec, exec, s[0:1]
	v_cmp_gt_i64_e32 vcc, s[12:13], v[136:137]
	v_mov_b32_e32 v138, 0
	s_and_saveexec_b64 s[0:1], vcc
	s_cbranch_execz .LBB107_158
; %bb.157:                              ;   in Loop: Header=BB107_151 Depth=1
	v_add_co_u32_e32 v138, vcc, v128, v132
	v_addc_co_u32_e32 v139, vcc, v1, v133, vcc
	v_add_co_u32_e32 v140, vcc, v130, v132
	v_addc_co_u32_e32 v141, vcc, v127, v133, vcc
	global_load_ushort v131, v[140:141], off
	s_nop 0
	global_load_ushort v138, v[138:139], off
	s_waitcnt vmcnt(1)
	v_lshlrev_b32_e32 v141, 16, v131
	s_waitcnt vmcnt(0)
	v_lshlrev_b32_e32 v138, 16, v138
.LBB107_158:                            ;   in Loop: Header=BB107_151 Depth=1
	s_or_b64 exec, exec, s[0:1]
	v_add_co_u32_e32 v142, vcc, 1, v136
	v_addc_co_u32_e32 v143, vcc, 0, v137, vcc
	v_cmp_gt_i64_e32 vcc, s[12:13], v[142:143]
	v_mov_b32_e32 v143, 0
	v_mov_b32_e32 v145, 0
	v_mov_b32_e32 v140, 0
	s_and_saveexec_b64 s[0:1], vcc
	s_cbranch_execz .LBB107_160
; %bb.159:                              ;   in Loop: Header=BB107_151 Depth=1
	v_add_co_u32_e32 v144, vcc, v252, v132
	v_addc_co_u32_e32 v145, vcc, v249, v133, vcc
	v_add_co_u32_e32 v146, vcc, v254, v132
	v_addc_co_u32_e32 v147, vcc, v251, v133, vcc
	global_load_ushort v131, v[146:147], off
	global_load_ushort v139, v[144:145], off
	s_waitcnt vmcnt(1)
	v_lshlrev_b32_e32 v145, 16, v131
	s_waitcnt vmcnt(0)
	v_lshlrev_b32_e32 v140, 16, v139
.LBB107_160:                            ;   in Loop: Header=BB107_151 Depth=1
	s_or_b64 exec, exec, s[0:1]
	v_add_co_u32_e32 v146, vcc, 2, v136
	v_addc_co_u32_e32 v147, vcc, 0, v137, vcc
	v_cmp_gt_i64_e32 vcc, s[12:13], v[146:147]
	v_mov_b32_e32 v144, 0
	s_and_saveexec_b64 s[0:1], vcc
	s_cbranch_execz .LBB107_162
; %bb.161:                              ;   in Loop: Header=BB107_151 Depth=1
	v_add_co_u32_e32 v142, vcc, v248, v132
	v_addc_co_u32_e32 v143, vcc, v245, v133, vcc
	v_add_co_u32_e32 v146, vcc, v250, v132
	v_addc_co_u32_e32 v147, vcc, v247, v133, vcc
	global_load_ushort v131, v[146:147], off
	global_load_ushort v139, v[142:143], off
	s_waitcnt vmcnt(1)
	v_lshlrev_b32_e32 v143, 16, v131
	s_waitcnt vmcnt(0)
	v_lshlrev_b32_e32 v144, 16, v139
.LBB107_162:                            ;   in Loop: Header=BB107_151 Depth=1
	s_or_b64 exec, exec, s[0:1]
	v_add_co_u32_e32 v146, vcc, 3, v136
	v_addc_co_u32_e32 v147, vcc, 0, v137, vcc
	v_cmp_gt_i64_e32 vcc, s[12:13], v[146:147]
	v_mov_b32_e32 v147, 0
	v_mov_b32_e32 v149, 0
	v_mov_b32_e32 v148, 0
	s_and_saveexec_b64 s[0:1], vcc
	s_cbranch_execz .LBB107_164
; %bb.163:                              ;   in Loop: Header=BB107_151 Depth=1
	v_add_co_u32_e32 v148, vcc, v244, v132
	v_addc_co_u32_e32 v149, vcc, v241, v133, vcc
	v_add_co_u32_e32 v150, vcc, v246, v132
	v_addc_co_u32_e32 v151, vcc, v243, v133, vcc
	global_load_ushort v131, v[150:151], off
	global_load_ushort v139, v[148:149], off
	s_waitcnt vmcnt(1)
	v_lshlrev_b32_e32 v149, 16, v131
	s_waitcnt vmcnt(0)
	v_lshlrev_b32_e32 v148, 16, v139
.LBB107_164:                            ;   in Loop: Header=BB107_151 Depth=1
	s_or_b64 exec, exec, s[0:1]
	v_add_co_u32_e32 v150, vcc, 4, v136
	v_addc_co_u32_e32 v151, vcc, 0, v137, vcc
	v_cmp_gt_i64_e32 vcc, s[12:13], v[150:151]
	v_mov_b32_e32 v152, 0
	s_and_saveexec_b64 s[0:1], vcc
	s_cbranch_execz .LBB107_166
; %bb.165:                              ;   in Loop: Header=BB107_151 Depth=1
	v_add_co_u32_e32 v146, vcc, v240, v132
	v_addc_co_u32_e32 v147, vcc, v237, v133, vcc
	v_add_co_u32_e32 v150, vcc, v242, v132
	v_addc_co_u32_e32 v151, vcc, v239, v133, vcc
	global_load_ushort v131, v[150:151], off
	global_load_ushort v139, v[146:147], off
	s_waitcnt vmcnt(1)
	v_lshlrev_b32_e32 v147, 16, v131
	s_waitcnt vmcnt(0)
	v_lshlrev_b32_e32 v152, 16, v139
.LBB107_166:                            ;   in Loop: Header=BB107_151 Depth=1
	;; [unrolled: 40-line block ×5, first 2 shown]
	s_or_b64 exec, exec, s[0:1]
	v_add_co_u32_e32 v156, vcc, 11, v136
	v_addc_co_u32_e32 v157, vcc, 0, v137, vcc
	v_cmp_gt_i64_e32 vcc, s[12:13], v[156:157]
	v_mov_b32_e32 v157, 0
	v_mov_b32_e32 v167, 0
	;; [unrolled: 1-line block ×3, first 2 shown]
	s_and_saveexec_b64 s[0:1], vcc
	s_cbranch_execz .LBB107_180
; %bb.179:                              ;   in Loop: Header=BB107_151 Depth=1
	v_add_co_u32_e32 v162, vcc, v212, v132
	v_accvgpr_read_b32 v131, a81
	v_addc_co_u32_e32 v163, vcc, v131, v133, vcc
	v_add_co_u32_e32 v166, vcc, v214, v132
	v_accvgpr_read_b32 v131, a83
	v_addc_co_u32_e32 v167, vcc, v131, v133, vcc
	global_load_ushort v131, v[166:167], off
	global_load_ushort v139, v[162:163], off
	s_waitcnt vmcnt(1)
	v_lshlrev_b32_e32 v167, 16, v131
	s_waitcnt vmcnt(0)
	v_lshlrev_b32_e32 v142, 16, v139
.LBB107_180:                            ;   in Loop: Header=BB107_151 Depth=1
	s_or_b64 exec, exec, s[0:1]
	v_add_co_u32_e32 v162, vcc, 12, v136
	v_addc_co_u32_e32 v163, vcc, 0, v137, vcc
	v_cmp_gt_i64_e32 vcc, s[12:13], v[162:163]
	v_mov_b32_e32 v146, 0
	s_and_saveexec_b64 s[0:1], vcc
	s_cbranch_execz .LBB107_182
; %bb.181:                              ;   in Loop: Header=BB107_151 Depth=1
	v_accvgpr_read_b32 v146, a78
	v_add_co_u32_e32 v156, vcc, v146, v132
	v_accvgpr_read_b32 v131, a77
	v_addc_co_u32_e32 v157, vcc, v131, v133, vcc
	v_accvgpr_read_b32 v146, a80
	v_add_co_u32_e32 v162, vcc, v146, v132
	v_accvgpr_read_b32 v131, a79
	v_addc_co_u32_e32 v163, vcc, v131, v133, vcc
	global_load_ushort v131, v[162:163], off
	global_load_ushort v139, v[156:157], off
	s_waitcnt vmcnt(1)
	v_lshlrev_b32_e32 v157, 16, v131
	s_waitcnt vmcnt(0)
	v_lshlrev_b32_e32 v146, 16, v139
.LBB107_182:                            ;   in Loop: Header=BB107_151 Depth=1
	s_or_b64 exec, exec, s[0:1]
	v_add_co_u32_e32 v162, vcc, 13, v136
	v_addc_co_u32_e32 v163, vcc, 0, v137, vcc
	v_cmp_gt_i64_e32 vcc, s[12:13], v[162:163]
	v_mov_b32_e32 v163, 0
	v_mov_b32_e32 v175, 0
	v_mov_b32_e32 v150, 0
	s_and_saveexec_b64 s[0:1], vcc
	s_cbranch_execz .LBB107_184
; %bb.183:                              ;   in Loop: Header=BB107_151 Depth=1
	v_accvgpr_read_b32 v150, a74
	v_add_co_u32_e32 v168, vcc, v150, v132
	v_accvgpr_read_b32 v131, a73
	v_addc_co_u32_e32 v169, vcc, v131, v133, vcc
	v_accvgpr_read_b32 v150, a76
	v_add_co_u32_e32 v172, vcc, v150, v132
	v_accvgpr_read_b32 v131, a75
	v_addc_co_u32_e32 v173, vcc, v131, v133, vcc
	global_load_ushort v131, v[172:173], off
	global_load_ushort v139, v[168:169], off
	s_waitcnt vmcnt(1)
	v_lshlrev_b32_e32 v175, 16, v131
	s_waitcnt vmcnt(0)
	v_lshlrev_b32_e32 v150, 16, v139
.LBB107_184:                            ;   in Loop: Header=BB107_151 Depth=1
	s_or_b64 exec, exec, s[0:1]
	v_add_co_u32_e32 v168, vcc, 14, v136
	v_addc_co_u32_e32 v169, vcc, 0, v137, vcc
	v_cmp_gt_i64_e32 vcc, s[12:13], v[168:169]
	v_mov_b32_e32 v156, 0
	s_and_saveexec_b64 s[0:1], vcc
	s_cbranch_execz .LBB107_186
; %bb.185:                              ;   in Loop: Header=BB107_151 Depth=1
	v_accvgpr_read_b32 v154, a70
	v_add_co_u32_e32 v162, vcc, v154, v132
	v_accvgpr_read_b32 v131, a69
	v_addc_co_u32_e32 v163, vcc, v131, v133, vcc
	v_accvgpr_read_b32 v154, a72
	v_add_co_u32_e32 v168, vcc, v154, v132
	v_accvgpr_read_b32 v131, a71
	v_addc_co_u32_e32 v169, vcc, v131, v133, vcc
	global_load_ushort v131, v[168:169], off
	global_load_ushort v139, v[162:163], off
	s_waitcnt vmcnt(1)
	v_lshlrev_b32_e32 v163, 16, v131
	s_waitcnt vmcnt(0)
	v_lshlrev_b32_e32 v156, 16, v139
.LBB107_186:                            ;   in Loop: Header=BB107_151 Depth=1
	s_or_b64 exec, exec, s[0:1]
	v_add_co_u32_e32 v168, vcc, 15, v136
	v_addc_co_u32_e32 v169, vcc, 0, v137, vcc
	v_cmp_gt_i64_e32 vcc, s[12:13], v[168:169]
	v_mov_b32_e32 v169, 0
	v_mov_b32_e32 v185, 0
	v_mov_b32_e32 v162, 0
	s_and_saveexec_b64 s[0:1], vcc
	s_cbranch_execz .LBB107_188
; %bb.187:                              ;   in Loop: Header=BB107_151 Depth=1
	v_accvgpr_read_b32 v154, a66
	v_add_co_u32_e32 v172, vcc, v154, v132
	v_accvgpr_read_b32 v131, a65
	v_addc_co_u32_e32 v173, vcc, v131, v133, vcc
	v_accvgpr_read_b32 v154, a68
	v_add_co_u32_e32 v178, vcc, v154, v132
	v_accvgpr_read_b32 v131, a67
	v_addc_co_u32_e32 v179, vcc, v131, v133, vcc
	global_load_ushort v131, v[178:179], off
	global_load_ushort v139, v[172:173], off
	s_waitcnt vmcnt(1)
	v_lshlrev_b32_e32 v185, 16, v131
	s_waitcnt vmcnt(0)
	v_lshlrev_b32_e32 v162, 16, v139
.LBB107_188:                            ;   in Loop: Header=BB107_151 Depth=1
	;; [unrolled: 48-line block ×6, first 2 shown]
	s_or_b64 exec, exec, s[0:1]
	v_add_co_u32_e32 v190, vcc, 24, v136
	v_addc_co_u32_e32 v191, vcc, 0, v137, vcc
	v_cmp_gt_i64_e32 vcc, s[12:13], v[190:191]
	v_mov_b32_e32 v166, 0
	s_and_saveexec_b64 s[0:1], vcc
	s_cbranch_execz .LBB107_206
; %bb.205:                              ;   in Loop: Header=BB107_151 Depth=1
	v_accvgpr_read_b32 v166, a30
	v_add_co_u32_e32 v178, vcc, v166, v132
	v_accvgpr_read_b32 v131, a29
	v_addc_co_u32_e32 v179, vcc, v131, v133, vcc
	v_accvgpr_read_b32 v166, a32
	v_add_co_u32_e32 v190, vcc, v166, v132
	v_accvgpr_read_b32 v131, a31
	v_addc_co_u32_e32 v191, vcc, v131, v133, vcc
	global_load_ushort v131, v[190:191], off
	global_load_ushort v139, v[178:179], off
	s_waitcnt vmcnt(1)
	v_lshlrev_b32_e32 v179, 16, v131
	s_waitcnt vmcnt(0)
	v_lshlrev_b32_e32 v166, 16, v139
.LBB107_206:                            ;   in Loop: Header=BB107_151 Depth=1
	s_or_b64 exec, exec, s[0:1]
	v_add_co_u32_e32 v190, vcc, 25, v136
	v_addc_co_u32_e32 v191, vcc, 0, v137, vcc
	v_cmp_gt_i64_e32 vcc, s[12:13], v[190:191]
	v_mov_b32_e32 v191, 0
	v_mov_b32_e32 v204, 0
	;; [unrolled: 1-line block ×3, first 2 shown]
	s_and_saveexec_b64 s[0:1], vcc
	s_cbranch_execz .LBB107_208
; %bb.207:                              ;   in Loop: Header=BB107_151 Depth=1
	v_accvgpr_read_b32 v172, a26
	v_add_co_u32_e32 v194, vcc, v172, v132
	v_accvgpr_read_b32 v131, a25
	v_addc_co_u32_e32 v195, vcc, v131, v133, vcc
	v_accvgpr_read_b32 v172, a28
	v_add_co_u32_e32 v204, vcc, v172, v132
	v_accvgpr_read_b32 v131, a27
	v_mov_b32_e32 v139, v205
	v_addc_co_u32_e32 v205, vcc, v131, v133, vcc
	global_load_ushort v131, v[204:205], off
	v_mov_b32_e32 v205, v139
	global_load_ushort v139, v[194:195], off
	s_waitcnt vmcnt(1)
	v_lshlrev_b32_e32 v204, 16, v131
	s_waitcnt vmcnt(0)
	v_lshlrev_b32_e32 v172, 16, v139
.LBB107_208:                            ;   in Loop: Header=BB107_151 Depth=1
	s_or_b64 exec, exec, s[0:1]
	v_add_co_u32_e32 v194, vcc, 26, v136
	v_addc_co_u32_e32 v195, vcc, 0, v137, vcc
	v_cmp_gt_i64_e32 vcc, s[12:13], v[194:195]
	v_mov_b32_e32 v178, 0
	s_and_saveexec_b64 s[0:1], vcc
	s_cbranch_execz .LBB107_210
; %bb.209:                              ;   in Loop: Header=BB107_151 Depth=1
	v_accvgpr_read_b32 v178, a22
	v_add_co_u32_e32 v190, vcc, v178, v132
	v_accvgpr_read_b32 v131, a21
	v_addc_co_u32_e32 v191, vcc, v131, v133, vcc
	v_accvgpr_read_b32 v178, a24
	v_add_co_u32_e32 v194, vcc, v178, v132
	v_accvgpr_read_b32 v131, a23
	v_addc_co_u32_e32 v195, vcc, v131, v133, vcc
	global_load_ushort v131, v[194:195], off
	global_load_ushort v139, v[190:191], off
	s_waitcnt vmcnt(1)
	v_lshlrev_b32_e32 v191, 16, v131
	s_waitcnt vmcnt(0)
	v_lshlrev_b32_e32 v178, 16, v139
.LBB107_210:                            ;   in Loop: Header=BB107_151 Depth=1
	s_or_b64 exec, exec, s[0:1]
	v_add_co_u32_e32 v194, vcc, 27, v136
	v_addc_co_u32_e32 v195, vcc, 0, v137, vcc
	v_cmp_gt_i64_e32 vcc, s[12:13], v[194:195]
	v_mov_b32_e32 v195, 0
	v_mov_b32_e32 v206, 0
	;; [unrolled: 1-line block ×3, first 2 shown]
	s_and_saveexec_b64 s[0:1], vcc
	s_cbranch_execz .LBB107_212
; %bb.211:                              ;   in Loop: Header=BB107_151 Depth=1
	v_accvgpr_read_b32 v184, a18
	v_add_co_u32_e32 v206, vcc, v184, v132
	v_accvgpr_read_b32 v131, a17
	v_mov_b32_e32 v153, v207
	v_addc_co_u32_e32 v207, vcc, v131, v133, vcc
	v_accvgpr_read_b32 v184, a20
	v_add_co_u32_e32 v208, vcc, v184, v132
	v_accvgpr_read_b32 v131, a19
	v_addc_co_u32_e32 v209, vcc, v131, v133, vcc
	global_load_ushort v131, v[208:209], off
	global_load_ushort v139, v[206:207], off
	v_mov_b32_e32 v207, v153
	s_waitcnt vmcnt(1)
	v_lshlrev_b32_e32 v206, 16, v131
	s_waitcnt vmcnt(0)
	v_lshlrev_b32_e32 v184, 16, v139
.LBB107_212:                            ;   in Loop: Header=BB107_151 Depth=1
	s_or_b64 exec, exec, s[0:1]
	v_add_co_u32_e32 v208, vcc, 28, v136
	v_addc_co_u32_e32 v209, vcc, 0, v137, vcc
	v_cmp_gt_i64_e32 vcc, s[12:13], v[208:209]
	v_mov_b32_e32 v190, 0
	s_and_saveexec_b64 s[0:1], vcc
	s_cbranch_execz .LBB107_214
; %bb.213:                              ;   in Loop: Header=BB107_151 Depth=1
	v_accvgpr_read_b32 v190, a14
	v_add_co_u32_e32 v194, vcc, v190, v132
	v_accvgpr_read_b32 v131, a13
	v_addc_co_u32_e32 v195, vcc, v131, v133, vcc
	v_accvgpr_read_b32 v190, a16
	v_add_co_u32_e32 v208, vcc, v190, v132
	v_accvgpr_read_b32 v131, a15
	v_addc_co_u32_e32 v209, vcc, v131, v133, vcc
	global_load_ushort v131, v[208:209], off
	global_load_ushort v139, v[194:195], off
	s_waitcnt vmcnt(1)
	v_lshlrev_b32_e32 v195, 16, v131
	s_waitcnt vmcnt(0)
	v_lshlrev_b32_e32 v190, 16, v139
.LBB107_214:                            ;   in Loop: Header=BB107_151 Depth=1
	s_or_b64 exec, exec, s[0:1]
	v_add_co_u32_e32 v208, vcc, 29, v136
	v_addc_co_u32_e32 v209, vcc, 0, v137, vcc
	v_mov_b32_e32 v131, 0
	v_mov_b32_e32 v203, 0
	;; [unrolled: 1-line block ×3, first 2 shown]
	v_cmp_gt_i64_e32 vcc, s[12:13], v[208:209]
	s_mov_b64 s[0:1], exec
	s_and_b64 s[28:29], s[0:1], vcc
	v_accvgpr_write_b32 a2, v210
	s_mov_b64 exec, s[28:29]
	s_cbranch_execz .LBB107_216
; %bb.215:                              ;   in Loop: Header=BB107_151 Depth=1
	v_accvgpr_read_b32 v194, a10
	v_add_co_u32_e32 v208, vcc, v194, v132
	v_accvgpr_read_b32 v139, a9
	v_addc_co_u32_e32 v209, vcc, v139, v133, vcc
	v_accvgpr_read_b32 v194, a12
	v_add_co_u32_e32 v210, vcc, v194, v132
	v_accvgpr_read_b32 v139, a11
	v_addc_co_u32_e32 v211, vcc, v139, v133, vcc
	global_load_ushort v139, v[210:211], off
	global_load_ushort v153, v[208:209], off
	v_accvgpr_read_b32 v210, a2
	s_waitcnt vmcnt(1)
	v_lshlrev_b32_e32 v203, 16, v139
	s_waitcnt vmcnt(0)
	v_lshlrev_b32_e32 v194, 16, v153
.LBB107_216:                            ;   in Loop: Header=BB107_151 Depth=1
	s_or_b64 exec, exec, s[0:1]
	v_add_co_u32_e32 v208, vcc, 30, v136
	v_addc_co_u32_e32 v209, vcc, 0, v137, vcc
	v_cmp_gt_i64_e32 vcc, s[12:13], v[208:209]
	v_mov_b32_e32 v200, 0
	s_and_saveexec_b64 s[0:1], vcc
	s_cbranch_execz .LBB107_218
; %bb.217:                              ;   in Loop: Header=BB107_151 Depth=1
	v_accvgpr_read_b32 v198, a6
	v_add_co_u32_e32 v208, vcc, v198, v132
	v_accvgpr_read_b32 v131, a5
	v_addc_co_u32_e32 v209, vcc, v131, v133, vcc
	v_accvgpr_read_b32 v198, a8
	v_add_co_u32_e32 v210, vcc, v198, v132
	v_accvgpr_read_b32 v131, a7
	v_addc_co_u32_e32 v211, vcc, v131, v133, vcc
	global_load_ushort v131, v[210:211], off
	global_load_ushort v139, v[208:209], off
	v_accvgpr_read_b32 v210, a2
	s_waitcnt vmcnt(1)
	v_lshlrev_b32_e32 v131, 16, v131
	s_waitcnt vmcnt(0)
	v_lshlrev_b32_e32 v200, 16, v139
.LBB107_218:                            ;   in Loop: Header=BB107_151 Depth=1
	s_or_b64 exec, exec, s[0:1]
	v_add_co_u32_e32 v208, vcc, 31, v136
	v_addc_co_u32_e32 v209, vcc, 0, v137, vcc
	v_cmp_gt_i64_e32 vcc, s[12:13], v[208:209]
	v_mov_b32_e32 v255, 0
	v_mov_b32_e32 v198, 0
	s_and_saveexec_b64 s[0:1], vcc
	s_cbranch_execz .LBB107_220
; %bb.219:                              ;   in Loop: Header=BB107_151 Depth=1
	v_add_co_u32_e32 v208, vcc, v210, v132
	v_accvgpr_read_b32 v139, a1
	v_addc_co_u32_e32 v209, vcc, v139, v133, vcc
	v_accvgpr_read_b32 v198, a4
	v_add_co_u32_e32 v210, vcc, v198, v132
	v_accvgpr_read_b32 v139, a3
	v_addc_co_u32_e32 v211, vcc, v139, v133, vcc
	global_load_ushort v139, v[210:211], off
	global_load_ushort v153, v[208:209], off
	v_accvgpr_read_b32 v210, a2
	s_waitcnt vmcnt(1)
	v_lshlrev_b32_e32 v255, 16, v139
	s_waitcnt vmcnt(0)
	v_lshlrev_b32_e32 v198, 16, v153
.LBB107_220:                            ;   in Loop: Header=BB107_151 Depth=1
	s_or_b64 exec, exec, s[0:1]
	s_waitcnt vmcnt(1)
	ds_bpermute_b32 v153, v0, v199
	s_waitcnt vmcnt(0)
	ds_bpermute_b32 v139, v0, v129
	s_waitcnt lgkmcnt(1)
	v_sub_f32_e32 v141, v141, v153
	ds_bpermute_b32 v153, v0, v199 offset:4
	v_mul_f32_e32 v141, v138, v141
	s_waitcnt lgkmcnt(1)
	v_mul_f32_e32 v139, v141, v139
	ds_bpermute_b32 v141, v0, v129 offset:4
	v_pk_add_f32 v[138:139], v[134:135], v[138:139]
	s_waitcnt lgkmcnt(1)
	v_sub_f32_e32 v145, v145, v153
	ds_bpermute_b32 v153, v0, v199 offset:8
	v_mul_f32_e32 v145, v140, v145
	s_waitcnt lgkmcnt(1)
	v_mul_f32_e32 v141, v145, v141
	ds_bpermute_b32 v145, v0, v129 offset:8
	v_pk_add_f32 v[138:139], v[138:139], v[140:141]
	s_waitcnt lgkmcnt(1)
	v_sub_f32_e32 v143, v143, v153
	ds_bpermute_b32 v153, v0, v199 offset:12
	v_mul_f32_e32 v143, v144, v143
	s_waitcnt lgkmcnt(1)
	v_mul_f32_e32 v145, v143, v145
	ds_bpermute_b32 v143, v0, v129 offset:12
	ds_bpermute_b32 v141, v0, v199 offset:44
	s_waitcnt lgkmcnt(2)
	v_sub_f32_e32 v149, v149, v153
	ds_bpermute_b32 v153, v0, v199 offset:16
	v_mul_f32_e32 v149, v148, v149
	s_waitcnt lgkmcnt(2)
	v_mul_f32_e32 v149, v149, v143
	ds_bpermute_b32 v143, v0, v129 offset:16
	ds_bpermute_b32 v140, v0, v129 offset:44
	s_waitcnt lgkmcnt(2)
	v_sub_f32_e32 v147, v147, v153
	v_mul_f32_e32 v147, v152, v147
	v_sub_f32_e32 v141, v167, v141
	s_waitcnt lgkmcnt(1)
	v_mul_f32_e32 v153, v147, v143
	ds_bpermute_b32 v147, v0, v199 offset:20
	ds_bpermute_b32 v143, v0, v129 offset:20
	v_mul_f32_e32 v141, v142, v141
	v_pk_add_f32 v[138:139], v[138:139], v[144:145]
	v_pk_add_f32 v[138:139], v[138:139], v[148:149]
	s_waitcnt lgkmcnt(1)
	v_sub_f32_e32 v147, v159, v147
	v_mul_f32_e32 v147, v158, v147
	s_waitcnt lgkmcnt(0)
	v_mul_f32_e32 v159, v147, v143
	ds_bpermute_b32 v147, v0, v199 offset:24
	ds_bpermute_b32 v143, v0, v129 offset:24
	v_pk_add_f32 v[138:139], v[138:139], v[152:153]
	v_pk_add_f32 v[138:139], v[138:139], v[158:159]
	s_waitcnt lgkmcnt(1)
	v_sub_f32_e32 v147, v151, v147
	v_mul_f32_e32 v147, v164, v147
	s_waitcnt lgkmcnt(0)
	v_mul_f32_e32 v165, v147, v143
	ds_bpermute_b32 v147, v0, v199 offset:28
	ds_bpermute_b32 v143, v0, v129 offset:28
	v_pk_add_f32 v[138:139], v[138:139], v[164:165]
	s_waitcnt lgkmcnt(1)
	v_sub_f32_e32 v147, v171, v147
	v_mul_f32_e32 v147, v170, v147
	s_waitcnt lgkmcnt(0)
	v_mul_f32_e32 v171, v147, v143
	ds_bpermute_b32 v147, v0, v199 offset:32
	ds_bpermute_b32 v143, v0, v129 offset:32
	;; [unrolled: 8-line block ×4, first 2 shown]
	v_pk_add_f32 v[138:139], v[138:139], v[182:183]
	s_waitcnt lgkmcnt(1)
	v_sub_f32_e32 v147, v161, v147
	v_mul_f32_e32 v147, v188, v147
	s_waitcnt lgkmcnt(0)
	v_mul_f32_e32 v189, v147, v143
	v_mul_f32_e32 v143, v141, v140
	ds_bpermute_b32 v141, v0, v199 offset:48
	ds_bpermute_b32 v140, v0, v129 offset:48
	v_pk_add_f32 v[138:139], v[138:139], v[188:189]
	v_pk_add_f32 v[138:139], v[138:139], v[142:143]
	s_waitcnt lgkmcnt(1)
	v_sub_f32_e32 v141, v157, v141
	v_mul_f32_e32 v141, v146, v141
	s_waitcnt lgkmcnt(0)
	v_mul_f32_e32 v147, v141, v140
	ds_bpermute_b32 v141, v0, v199 offset:52
	ds_bpermute_b32 v140, v0, v129 offset:52
	v_pk_add_f32 v[138:139], v[138:139], v[146:147]
	s_waitcnt lgkmcnt(1)
	v_sub_f32_e32 v141, v175, v141
	v_mul_f32_e32 v141, v150, v141
	s_waitcnt lgkmcnt(0)
	v_mul_f32_e32 v151, v141, v140
	ds_bpermute_b32 v141, v0, v199 offset:56
	ds_bpermute_b32 v140, v0, v129 offset:56
	;; [unrolled: 8-line block ×18, first 2 shown]
	ds_bpermute_b32 v129, v0, v129 offset:124
	v_pk_add_f32 v[138:139], v[138:139], v[194:195]
	s_waitcnt lgkmcnt(2)
	v_sub_f32_e32 v131, v131, v141
	v_mul_f32_e32 v131, v200, v131
	s_waitcnt lgkmcnt(1)
	v_mul_f32_e32 v201, v131, v140
	ds_bpermute_b32 v131, v0, v199 offset:124
	v_pk_add_f32 v[138:139], v[138:139], v[200:201]
	s_waitcnt lgkmcnt(0)
	v_sub_f32_e32 v131, v255, v131
	v_mul_f32_e32 v131, v198, v131
	v_mul_f32_e32 v199, v131, v129
	v_pk_add_f32 v[138:139], v[138:139], v[198:199]
	s_branch .LBB107_150
.LBB107_221:                            ;   in Loop: Header=BB107_151 Depth=1
                                        ; implicit-def: $vgpr138_vgpr139
	s_cbranch_execz .LBB107_150
; %bb.222:                              ;   in Loop: Header=BB107_151 Depth=1
	s_load_dword s0, s[10:11], 0x0
	v_accvgpr_read_b32 v129, a85
	v_mov_b32_e32 v157, 0
	s_waitcnt lgkmcnt(0)
	s_cmp_lt_u32 s6, s0
	s_cselect_b32 s0, 12, 18
	s_add_u32 s0, s10, s0
	s_addc_u32 s1, s11, 0
	global_load_ushort v129, v129, s[0:1]
	s_waitcnt vmcnt(0)
	v_mad_u32_u24 v129, v205, v129, v207
	v_and_b32_e32 v131, 63, v129
	v_cmp_gt_u32_e32 vcc, 32, v131
	v_mov_b32_e32 v129, 0
	s_and_saveexec_b64 s[0:1], vcc
	s_cbranch_execz .LBB107_149
; %bb.223:                              ;   in Loop: Header=BB107_151 Depth=1
	v_add_co_u32_e32 v136, vcc, v136, v131
	v_addc_co_u32_e32 v137, vcc, 0, v137, vcc
	v_cmp_gt_i64_e32 vcc, s[12:13], v[136:137]
	v_mov_b32_e32 v129, 0
	v_mov_b32_e32 v157, 0
	s_and_saveexec_b64 s[28:29], vcc
	s_cbranch_execz .LBB107_148
; %bb.224:                              ;   in Loop: Header=BB107_151 Depth=1
	v_lshlrev_b64 v[136:137], 2, v[136:137]
	v_mov_b32_e32 v129, s23
	v_add_co_u32_e32 v138, vcc, s22, v136
	v_addc_co_u32_e32 v139, vcc, v129, v137, vcc
	v_mov_b32_e32 v129, s21
	v_add_co_u32_e32 v136, vcc, s20, v136
	v_addc_co_u32_e32 v137, vcc, v129, v137, vcc
	global_load_dword v129, v[136:137], off
	global_load_dword v157, v[138:139], off
	s_branch .LBB107_148
.LBB107_225:
	v_accvgpr_read_b32 v253, a0
.LBB107_226:
	s_mov_b32 s7, 0
	s_lshl_b64 s[0:1], s[6:7], 5
	v_and_b32_e32 v0, 0x3ff, v253
	v_or_b32_e32 v4, s0, v0
	v_mov_b32_e32 v5, s1
	v_cmp_gt_i64_e32 vcc, s[14:15], v[4:5]
	s_and_saveexec_b64 s[0:1], vcc
	s_cbranch_execz .LBB107_231
; %bb.227:
	s_load_dword s6, s[4:5], 0x4c
	s_load_dwordx4 s[0:3], s[4:5], 0x30
	v_bfe_u32 v0, v253, 10, 10
	v_mov_b32_e32 v1, 0
	v_mov_b32_e32 v2, s8
	s_waitcnt lgkmcnt(0)
	s_lshr_b32 s4, s6, 16
	v_mad_u64_u32 v[2:3], s[4:5], s4, v2, v[0:1]
	s_cmp_eq_u64 s[0:1], 0
	v_mul_lo_u32 v3, v3, s14
	v_mul_lo_u32 v6, v2, s15
	v_lshlrev_b64 v[0:1], 1, v[4:5]
	s_cbranch_scc1 .LBB107_229
; %bb.228:
	v_bfe_u32 v4, v139, 16, 1
	s_movk_i32 s4, 0x7fff
	v_add3_u32 v4, v139, v4, s4
	v_lshrrev_b32_e32 v4, 16, v4
	v_mov_b32_e32 v5, 0x7fc0
	v_cmp_o_f32_e32 vcc, v139, v139
	v_cndmask_b32_e32 v7, v5, v4, vcc
	v_mad_u64_u32 v[4:5], s[4:5], v2, s14, 0
	v_add3_u32 v5, v5, v6, v3
	v_lshlrev_b64 v[4:5], 1, v[4:5]
	v_mov_b32_e32 v8, s1
	v_add_co_u32_e32 v4, vcc, s0, v4
	v_addc_co_u32_e32 v5, vcc, v8, v5, vcc
	v_add_co_u32_e32 v4, vcc, v4, v0
	v_addc_co_u32_e32 v5, vcc, v5, v1, vcc
	global_store_short v[4:5], v7, off
.LBB107_229:
	s_cmp_eq_u64 s[2:3], 0
	s_cbranch_scc1 .LBB107_231
; %bb.230:
	v_bfe_u32 v4, v138, 16, 1
	s_movk_i32 s0, 0x7fff
	v_add3_u32 v4, v138, v4, s0
	v_lshrrev_b32_e32 v4, 16, v4
	v_mov_b32_e32 v5, 0x7fc0
	v_cmp_o_f32_e32 vcc, v138, v138
	v_cndmask_b32_e32 v7, v5, v4, vcc
	v_mad_u64_u32 v[4:5], s[0:1], v2, s14, 0
	v_add3_u32 v5, v5, v6, v3
	v_lshlrev_b64 v[2:3], 1, v[4:5]
	v_mov_b32_e32 v4, s3
	v_add_co_u32_e32 v2, vcc, s2, v2
	v_addc_co_u32_e32 v3, vcc, v4, v3, vcc
	v_add_co_u32_e32 v0, vcc, v2, v0
	v_addc_co_u32_e32 v1, vcc, v3, v1, vcc
	global_store_short v[0:1], v7, off
.LBB107_231:
	s_endpgm
	.section	.rodata,"a",@progbits
	.p2align	6, 0x0
	.amdhsa_kernel _ZN2at6native12_GLOBAL__N_135GammaBetaBackwardCUDAKernelTemplateIN3c108BFloat16EfLj32ELj1ELj32ELb1ELb0ELb0EEEvllPKT_S7_PKT0_SA_PS5_SB_
		.amdhsa_group_segment_fixed_size 0
		.amdhsa_private_segment_fixed_size 0
		.amdhsa_kernarg_size 320
		.amdhsa_user_sgpr_count 6
		.amdhsa_user_sgpr_private_segment_buffer 1
		.amdhsa_user_sgpr_dispatch_ptr 0
		.amdhsa_user_sgpr_queue_ptr 0
		.amdhsa_user_sgpr_kernarg_segment_ptr 1
		.amdhsa_user_sgpr_dispatch_id 0
		.amdhsa_user_sgpr_flat_scratch_init 0
		.amdhsa_user_sgpr_kernarg_preload_length 0
		.amdhsa_user_sgpr_kernarg_preload_offset 0
		.amdhsa_user_sgpr_private_segment_size 0
		.amdhsa_uses_dynamic_stack 0
		.amdhsa_system_sgpr_private_segment_wavefront_offset 0
		.amdhsa_system_sgpr_workgroup_id_x 1
		.amdhsa_system_sgpr_workgroup_id_y 1
		.amdhsa_system_sgpr_workgroup_id_z 0
		.amdhsa_system_sgpr_workgroup_info 0
		.amdhsa_system_vgpr_workitem_id 1
		.amdhsa_next_free_vgpr 342
		.amdhsa_next_free_sgpr 38
		.amdhsa_accum_offset 256
		.amdhsa_reserve_vcc 1
		.amdhsa_reserve_flat_scratch 0
		.amdhsa_float_round_mode_32 0
		.amdhsa_float_round_mode_16_64 0
		.amdhsa_float_denorm_mode_32 3
		.amdhsa_float_denorm_mode_16_64 3
		.amdhsa_dx10_clamp 1
		.amdhsa_ieee_mode 1
		.amdhsa_fp16_overflow 0
		.amdhsa_tg_split 0
		.amdhsa_exception_fp_ieee_invalid_op 0
		.amdhsa_exception_fp_denorm_src 0
		.amdhsa_exception_fp_ieee_div_zero 0
		.amdhsa_exception_fp_ieee_overflow 0
		.amdhsa_exception_fp_ieee_underflow 0
		.amdhsa_exception_fp_ieee_inexact 0
		.amdhsa_exception_int_div_zero 0
	.end_amdhsa_kernel
	.section	.text._ZN2at6native12_GLOBAL__N_135GammaBetaBackwardCUDAKernelTemplateIN3c108BFloat16EfLj32ELj1ELj32ELb1ELb0ELb0EEEvllPKT_S7_PKT0_SA_PS5_SB_,"axG",@progbits,_ZN2at6native12_GLOBAL__N_135GammaBetaBackwardCUDAKernelTemplateIN3c108BFloat16EfLj32ELj1ELj32ELb1ELb0ELb0EEEvllPKT_S7_PKT0_SA_PS5_SB_,comdat
.Lfunc_end107:
	.size	_ZN2at6native12_GLOBAL__N_135GammaBetaBackwardCUDAKernelTemplateIN3c108BFloat16EfLj32ELj1ELj32ELb1ELb0ELb0EEEvllPKT_S7_PKT0_SA_PS5_SB_, .Lfunc_end107-_ZN2at6native12_GLOBAL__N_135GammaBetaBackwardCUDAKernelTemplateIN3c108BFloat16EfLj32ELj1ELj32ELb1ELb0ELb0EEEvllPKT_S7_PKT0_SA_PS5_SB_
                                        ; -- End function
	.section	.AMDGPU.csdata,"",@progbits
; Kernel info:
; codeLenInByte = 26684
; NumSgprs: 42
; NumVgprs: 256
; NumAgprs: 86
; TotalNumVgprs: 342
; ScratchSize: 0
; MemoryBound: 0
; FloatMode: 240
; IeeeMode: 1
; LDSByteSize: 0 bytes/workgroup (compile time only)
; SGPRBlocks: 5
; VGPRBlocks: 42
; NumSGPRsForWavesPerEU: 42
; NumVGPRsForWavesPerEU: 342
; AccumOffset: 256
; Occupancy: 1
; WaveLimiterHint : 0
; COMPUTE_PGM_RSRC2:SCRATCH_EN: 0
; COMPUTE_PGM_RSRC2:USER_SGPR: 6
; COMPUTE_PGM_RSRC2:TRAP_HANDLER: 0
; COMPUTE_PGM_RSRC2:TGID_X_EN: 1
; COMPUTE_PGM_RSRC2:TGID_Y_EN: 1
; COMPUTE_PGM_RSRC2:TGID_Z_EN: 0
; COMPUTE_PGM_RSRC2:TIDIG_COMP_CNT: 1
; COMPUTE_PGM_RSRC3_GFX90A:ACCUM_OFFSET: 63
; COMPUTE_PGM_RSRC3_GFX90A:TG_SPLIT: 0
	.section	.text._ZN2at6native12_GLOBAL__N_135GammaBetaBackwardCUDAKernelTemplateIN3c108BFloat16EfLj32ELj1ELj8ELb1ELb1ELb0EEEvllPKT_S7_PKT0_SA_PS5_SB_,"axG",@progbits,_ZN2at6native12_GLOBAL__N_135GammaBetaBackwardCUDAKernelTemplateIN3c108BFloat16EfLj32ELj1ELj8ELb1ELb1ELb0EEEvllPKT_S7_PKT0_SA_PS5_SB_,comdat
	.globl	_ZN2at6native12_GLOBAL__N_135GammaBetaBackwardCUDAKernelTemplateIN3c108BFloat16EfLj32ELj1ELj8ELb1ELb1ELb0EEEvllPKT_S7_PKT0_SA_PS5_SB_ ; -- Begin function _ZN2at6native12_GLOBAL__N_135GammaBetaBackwardCUDAKernelTemplateIN3c108BFloat16EfLj32ELj1ELj8ELb1ELb1ELb0EEEvllPKT_S7_PKT0_SA_PS5_SB_
	.p2align	8
	.type	_ZN2at6native12_GLOBAL__N_135GammaBetaBackwardCUDAKernelTemplateIN3c108BFloat16EfLj32ELj1ELj8ELb1ELb1ELb0EEEvllPKT_S7_PKT0_SA_PS5_SB_,@function
_ZN2at6native12_GLOBAL__N_135GammaBetaBackwardCUDAKernelTemplateIN3c108BFloat16EfLj32ELj1ELj8ELb1ELb1ELb0EEEvllPKT_S7_PKT0_SA_PS5_SB_: ; @_ZN2at6native12_GLOBAL__N_135GammaBetaBackwardCUDAKernelTemplateIN3c108BFloat16EfLj32ELj1ELj8ELb1ELb1ELb0EEEvllPKT_S7_PKT0_SA_PS5_SB_
; %bb.0:
	s_load_dwordx4 s[16:19], s[4:5], 0x0
	s_lshl_b32 s24, s7, 3
	s_mov_b32 s25, 0
	s_mov_b32 s2, s7
	v_bfe_u32 v10, v0, 10, 10
	s_waitcnt lgkmcnt(0)
	v_pk_mov_b32 v[2:3], s[16:17], s[16:17] op_sel:[0,1]
	v_cmp_lt_i64_e32 vcc, s[24:25], v[2:3]
	s_cbranch_vccnz .LBB108_2
; %bb.1:
	s_add_u32 s26, s4, 64
	s_addc_u32 s27, s5, 0
	s_mov_b64 s[0:1], 0
	v_bfe_u32 v2, v0, 10, 10
	s_branch .LBB108_3
.LBB108_2:
	s_mov_b64 s[0:1], -1
                                        ; implicit-def: $sgpr26_sgpr27
                                        ; implicit-def: $vgpr2
.LBB108_3:
	s_load_dwordx4 s[20:23], s[4:5], 0x30
	v_and_b32_e32 v11, 0x3ff, v0
	s_andn2_b64 vcc, exec, s[0:1]
	v_mov_b32_e32 v1, s25
	v_mov_b32_e32 v0, s25
	s_cbranch_vccnz .LBB108_11
; %bb.4:
	s_load_dword s0, s[4:5], 0x4c
	s_load_dword s3, s[4:5], 0x44
	s_load_dwordx8 s[8:15], s[4:5], 0x10
	v_mbcnt_lo_u32_b32 v4, -1, 0
	s_add_u32 s26, s4, 64
	v_mbcnt_hi_u32_b32 v4, -1, v4
	s_addc_u32 s27, s5, 0
	s_waitcnt lgkmcnt(0)
	s_and_b32 s0, s0, 0xffff
	v_lshlrev_b32_e32 v3, 3, v10
	v_lshlrev_b32_e32 v4, 2, v4
	v_mad_u32_u24 v0, v10, s0, v11
	v_and_b32_e32 v12, 0x100, v4
	v_mov_b32_e32 v4, s25
	v_add_co_u32_e32 v6, vcc, s24, v3
	v_and_b32_e32 v2, 63, v0
	v_addc_co_u32_e32 v7, vcc, 0, v4, vcc
	v_cmp_gt_u32_e64 s[0:1], 8, v2
	v_add_co_u32_e32 v2, vcc, v6, v2
	s_lshl_b32 s4, s3, 3
	v_addc_co_u32_e32 v3, vcc, 0, v7, vcc
	v_mul_lo_u32 v8, s19, v6
	v_mul_lo_u32 v9, s18, v7
	v_mad_u64_u32 v[6:7], s[30:31], s18, v6, 0
	v_mov_b32_e32 v1, 0
	v_lshl_add_u32 v0, s6, 5, v11
	v_add3_u32 v7, v7, v9, v8
	s_mul_i32 s3, s19, s4
	s_mul_hi_u32 s7, s18, s4
	s_mov_b32 s5, 0
	v_lshlrev_b64 v[6:7], 1, v[6:7]
	v_lshlrev_b64 v[8:9], 1, v[0:1]
	s_add_i32 s31, s7, s3
	s_mul_i32 s30, s18, s4
	s_lshl_b64 s[28:29], s[4:5], 2
	v_add_co_u32_e32 v6, vcc, v6, v8
	s_lshl_b64 s[30:31], s[30:31], 1
	s_lshl_b64 s[34:35], s[18:19], 1
	v_or_b32_e32 v13, 4, v12
	v_or_b32_e32 v14, 8, v12
	;; [unrolled: 1-line block ×7, first 2 shown]
	v_lshlrev_b64 v[4:5], 2, v[2:3]
	v_addc_co_u32_e32 v7, vcc, v7, v9, vcc
	v_mov_b32_e32 v20, s9
	v_mov_b32_e32 v21, s11
	v_mov_b32_e32 v22, s35
	v_mov_b32_e32 v23, s29
	v_mov_b32_e32 v24, s5
	v_mov_b32_e32 v25, s31
	v_pk_mov_b32 v[8:9], s[16:17], s[16:17] op_sel:[0,1]
	v_mov_b32_e32 v0, v1
	s_branch .LBB108_7
.LBB108_5:                              ;   in Loop: Header=BB108_7 Depth=1
	s_or_b64 exec, exec, s[38:39]
.LBB108_6:                              ;   in Loop: Header=BB108_7 Depth=1
	s_or_b64 exec, exec, s[36:37]
	v_add_co_u32_e32 v28, vcc, s8, v6
	v_addc_co_u32_e32 v29, vcc, v20, v7, vcc
	v_add_co_u32_e32 v30, vcc, s10, v6
	v_addc_co_u32_e32 v31, vcc, v21, v7, vcc
	global_load_ushort v32, v[28:29], off
	v_add_co_u32_e32 v28, vcc, s34, v28
	v_addc_co_u32_e32 v29, vcc, v29, v22, vcc
	global_load_ushort v33, v[30:31], off
	;; [unrolled: 3-line block ×14, first 2 shown]
	global_load_ushort v46, v[28:29], off
	v_add_co_u32_e32 v28, vcc, s34, v30
	v_addc_co_u32_e32 v29, vcc, v31, v22, vcc
	global_load_ushort v29, v[28:29], off
	v_add_co_u32_e32 v4, vcc, s28, v4
	v_addc_co_u32_e32 v5, vcc, v5, v23, vcc
	v_add_co_u32_e32 v2, vcc, s4, v2
	v_addc_co_u32_e32 v3, vcc, v3, v24, vcc
	s_waitcnt vmcnt(15)
	v_lshlrev_b32_e32 v28, 16, v32
	s_add_u32 s24, s24, s4
	v_add_co_u32_e32 v6, vcc, s30, v6
	s_addc_u32 s25, s25, 0
	s_waitcnt vmcnt(14)
	v_lshlrev_b32_e32 v31, 16, v33
	v_addc_co_u32_e32 v7, vcc, v7, v25, vcc
	v_cmp_lt_i64_e32 vcc, s[24:25], v[8:9]
	s_and_b64 vcc, exec, vcc
	s_waitcnt vmcnt(13)
	v_lshlrev_b32_e32 v30, 16, v34
	s_waitcnt vmcnt(12)
	v_lshlrev_b32_e32 v33, 16, v35
	s_waitcnt vmcnt(11)
	v_lshlrev_b32_e32 v32, 16, v36
	s_waitcnt vmcnt(10)
	v_lshlrev_b32_e32 v35, 16, v37
	s_waitcnt vmcnt(9)
	v_lshlrev_b32_e32 v34, 16, v38
	s_waitcnt vmcnt(8)
	v_lshlrev_b32_e32 v37, 16, v39
	s_waitcnt vmcnt(7)
	v_lshlrev_b32_e32 v36, 16, v40
	s_waitcnt vmcnt(6)
	v_lshlrev_b32_e32 v39, 16, v41
	s_waitcnt vmcnt(5)
	v_lshlrev_b32_e32 v38, 16, v42
	s_waitcnt vmcnt(4)
	v_lshlrev_b32_e32 v41, 16, v43
	ds_bpermute_b32 v43, v12, v27
	s_waitcnt vmcnt(3)
	v_lshlrev_b32_e32 v40, 16, v44
	s_waitcnt vmcnt(2)
	v_lshlrev_b32_e32 v44, 16, v45
	ds_bpermute_b32 v45, v12, v26
	s_waitcnt vmcnt(1)
	v_lshlrev_b32_e32 v42, 16, v46
	s_waitcnt vmcnt(0)
	v_lshlrev_b32_e32 v46, 16, v29
	s_waitcnt lgkmcnt(1)
	v_sub_f32_e32 v29, v31, v43
	ds_bpermute_b32 v31, v13, v27
	v_mul_f32_e32 v29, v29, v28
	s_waitcnt lgkmcnt(1)
	v_mul_f32_e32 v29, v29, v45
	ds_bpermute_b32 v43, v13, v26
	ds_bpermute_b32 v45, v14, v27
	s_waitcnt lgkmcnt(2)
	v_sub_f32_e32 v31, v33, v31
	ds_bpermute_b32 v33, v14, v26
	v_mul_f32_e32 v31, v31, v30
	s_waitcnt lgkmcnt(2)
	v_mul_f32_e32 v31, v31, v43
	s_waitcnt lgkmcnt(1)
	v_sub_f32_e32 v35, v35, v45
	ds_bpermute_b32 v43, v15, v27
	v_mul_f32_e32 v35, v35, v32
	s_waitcnt lgkmcnt(1)
	v_mul_f32_e32 v33, v35, v33
	ds_bpermute_b32 v35, v15, v26
	ds_bpermute_b32 v45, v16, v27
	s_waitcnt lgkmcnt(2)
	v_sub_f32_e32 v37, v37, v43
	ds_bpermute_b32 v43, v16, v26
	v_mul_f32_e32 v37, v37, v34
	s_waitcnt lgkmcnt(2)
	v_mul_f32_e32 v35, v37, v35
	s_waitcnt lgkmcnt(1)
	v_sub_f32_e32 v37, v39, v45
	ds_bpermute_b32 v39, v17, v27
	v_mul_f32_e32 v37, v37, v36
	s_waitcnt lgkmcnt(1)
	v_mul_f32_e32 v37, v37, v43
	ds_bpermute_b32 v43, v17, v26
	ds_bpermute_b32 v45, v18, v27
	ds_bpermute_b32 v27, v19, v27
	s_waitcnt lgkmcnt(3)
	v_sub_f32_e32 v39, v41, v39
	ds_bpermute_b32 v41, v18, v26
	v_pk_add_f32 v[0:1], v[0:1], v[28:29]
	v_pk_add_f32 v[0:1], v[0:1], v[30:31]
	ds_bpermute_b32 v26, v19, v26
	v_mul_f32_e32 v39, v39, v38
	v_pk_add_f32 v[0:1], v[0:1], v[32:33]
	s_waitcnt lgkmcnt(4)
	v_mul_f32_e32 v39, v39, v43
	s_waitcnt lgkmcnt(3)
	v_sub_f32_e32 v43, v44, v45
	v_pk_add_f32 v[0:1], v[0:1], v[34:35]
	v_mul_f32_e32 v43, v43, v40
	v_pk_add_f32 v[0:1], v[0:1], v[36:37]
	s_waitcnt lgkmcnt(2)
	v_sub_f32_e32 v27, v46, v27
	s_waitcnt lgkmcnt(1)
	v_mul_f32_e32 v41, v43, v41
	v_pk_add_f32 v[0:1], v[0:1], v[38:39]
	v_mul_f32_e32 v27, v27, v42
	v_pk_add_f32 v[0:1], v[0:1], v[40:41]
	s_waitcnt lgkmcnt(0)
	v_mul_f32_e32 v43, v27, v26
	v_pk_add_f32 v[0:1], v[0:1], v[42:43]
	s_cbranch_vccz .LBB108_10
.LBB108_7:                              ; =>This Inner Loop Header: Depth=1
	v_mov_b32_e32 v26, 0
	v_mov_b32_e32 v27, 0
	s_and_saveexec_b64 s[36:37], s[0:1]
	s_cbranch_execz .LBB108_6
; %bb.8:                                ;   in Loop: Header=BB108_7 Depth=1
	v_cmp_gt_i64_e32 vcc, s[16:17], v[2:3]
	v_mov_b32_e32 v27, 0
	v_mov_b32_e32 v26, 0
	s_and_saveexec_b64 s[38:39], vcc
	s_cbranch_execz .LBB108_5
; %bb.9:                                ;   in Loop: Header=BB108_7 Depth=1
	v_mov_b32_e32 v26, s15
	v_add_co_u32_e32 v28, vcc, s14, v4
	v_addc_co_u32_e32 v29, vcc, v26, v5, vcc
	v_mov_b32_e32 v26, s13
	v_add_co_u32_e32 v30, vcc, s12, v4
	v_addc_co_u32_e32 v31, vcc, v26, v5, vcc
	global_load_dword v27, v[30:31], off
	global_load_dword v26, v[28:29], off
	s_branch .LBB108_5
.LBB108_10:
	v_mov_b32_e32 v2, v10
.LBB108_11:
	s_mov_b32 s7, 0
	s_lshl_b64 s[0:1], s[6:7], 5
	v_mov_b32_e32 v4, s1
	s_load_dword s1, s[26:27], 0xc
	v_add_co_u32_e32 v8, vcc, s0, v11
	v_mov_b32_e32 v3, 0
	v_addc_co_u32_e32 v9, vcc, 0, v4, vcc
	s_waitcnt lgkmcnt(0)
	s_lshr_b32 s0, s1, 16
	v_mov_b32_e32 v4, s2
	v_mad_u64_u32 v[4:5], s[0:1], s0, v4, v[2:3]
	s_cmp_eq_u64 s[20:21], 0
	v_mul_lo_u32 v5, v5, s18
	v_mul_lo_u32 v6, v4, s19
	v_lshlrev_b64 v[2:3], 1, v[8:9]
	s_cbranch_scc1 .LBB108_13
; %bb.12:
	v_bfe_u32 v7, v1, 16, 1
	s_movk_i32 s0, 0x7fff
	v_add3_u32 v7, v1, v7, s0
	v_lshrrev_b32_e32 v7, 16, v7
	v_mov_b32_e32 v8, 0x7fc0
	v_cmp_o_f32_e32 vcc, v1, v1
	v_cndmask_b32_e32 v1, v8, v7, vcc
	v_mad_u64_u32 v[8:9], s[0:1], v4, s18, 0
	v_add3_u32 v9, v9, v6, v5
	v_lshlrev_b64 v[8:9], 1, v[8:9]
	v_mov_b32_e32 v7, s21
	v_add_co_u32_e32 v8, vcc, s20, v8
	v_addc_co_u32_e32 v7, vcc, v7, v9, vcc
	v_add_co_u32_e32 v8, vcc, v8, v2
	v_addc_co_u32_e32 v9, vcc, v7, v3, vcc
	global_store_short v[8:9], v1, off
.LBB108_13:
	s_cmp_eq_u64 s[22:23], 0
	s_cbranch_scc1 .LBB108_15
; %bb.14:
	v_bfe_u32 v1, v0, 16, 1
	s_movk_i32 s0, 0x7fff
	v_add3_u32 v1, v0, v1, s0
	v_lshrrev_b32_e32 v1, 16, v1
	v_mov_b32_e32 v7, 0x7fc0
	v_cmp_o_f32_e32 vcc, v0, v0
	v_cndmask_b32_e32 v7, v7, v1, vcc
	v_mad_u64_u32 v[0:1], s[0:1], v4, s18, 0
	v_add3_u32 v1, v1, v6, v5
	v_lshlrev_b64 v[0:1], 1, v[0:1]
	v_mov_b32_e32 v4, s23
	v_add_co_u32_e32 v0, vcc, s22, v0
	v_addc_co_u32_e32 v1, vcc, v4, v1, vcc
	v_add_co_u32_e32 v0, vcc, v0, v2
	v_addc_co_u32_e32 v1, vcc, v1, v3, vcc
	global_store_short v[0:1], v7, off
.LBB108_15:
	s_endpgm
	.section	.rodata,"a",@progbits
	.p2align	6, 0x0
	.amdhsa_kernel _ZN2at6native12_GLOBAL__N_135GammaBetaBackwardCUDAKernelTemplateIN3c108BFloat16EfLj32ELj1ELj8ELb1ELb1ELb0EEEvllPKT_S7_PKT0_SA_PS5_SB_
		.amdhsa_group_segment_fixed_size 0
		.amdhsa_private_segment_fixed_size 0
		.amdhsa_kernarg_size 320
		.amdhsa_user_sgpr_count 6
		.amdhsa_user_sgpr_private_segment_buffer 1
		.amdhsa_user_sgpr_dispatch_ptr 0
		.amdhsa_user_sgpr_queue_ptr 0
		.amdhsa_user_sgpr_kernarg_segment_ptr 1
		.amdhsa_user_sgpr_dispatch_id 0
		.amdhsa_user_sgpr_flat_scratch_init 0
		.amdhsa_user_sgpr_kernarg_preload_length 0
		.amdhsa_user_sgpr_kernarg_preload_offset 0
		.amdhsa_user_sgpr_private_segment_size 0
		.amdhsa_uses_dynamic_stack 0
		.amdhsa_system_sgpr_private_segment_wavefront_offset 0
		.amdhsa_system_sgpr_workgroup_id_x 1
		.amdhsa_system_sgpr_workgroup_id_y 1
		.amdhsa_system_sgpr_workgroup_id_z 0
		.amdhsa_system_sgpr_workgroup_info 0
		.amdhsa_system_vgpr_workitem_id 1
		.amdhsa_next_free_vgpr 47
		.amdhsa_next_free_sgpr 40
		.amdhsa_accum_offset 48
		.amdhsa_reserve_vcc 1
		.amdhsa_reserve_flat_scratch 0
		.amdhsa_float_round_mode_32 0
		.amdhsa_float_round_mode_16_64 0
		.amdhsa_float_denorm_mode_32 3
		.amdhsa_float_denorm_mode_16_64 3
		.amdhsa_dx10_clamp 1
		.amdhsa_ieee_mode 1
		.amdhsa_fp16_overflow 0
		.amdhsa_tg_split 0
		.amdhsa_exception_fp_ieee_invalid_op 0
		.amdhsa_exception_fp_denorm_src 0
		.amdhsa_exception_fp_ieee_div_zero 0
		.amdhsa_exception_fp_ieee_overflow 0
		.amdhsa_exception_fp_ieee_underflow 0
		.amdhsa_exception_fp_ieee_inexact 0
		.amdhsa_exception_int_div_zero 0
	.end_amdhsa_kernel
	.section	.text._ZN2at6native12_GLOBAL__N_135GammaBetaBackwardCUDAKernelTemplateIN3c108BFloat16EfLj32ELj1ELj8ELb1ELb1ELb0EEEvllPKT_S7_PKT0_SA_PS5_SB_,"axG",@progbits,_ZN2at6native12_GLOBAL__N_135GammaBetaBackwardCUDAKernelTemplateIN3c108BFloat16EfLj32ELj1ELj8ELb1ELb1ELb0EEEvllPKT_S7_PKT0_SA_PS5_SB_,comdat
.Lfunc_end108:
	.size	_ZN2at6native12_GLOBAL__N_135GammaBetaBackwardCUDAKernelTemplateIN3c108BFloat16EfLj32ELj1ELj8ELb1ELb1ELb0EEEvllPKT_S7_PKT0_SA_PS5_SB_, .Lfunc_end108-_ZN2at6native12_GLOBAL__N_135GammaBetaBackwardCUDAKernelTemplateIN3c108BFloat16EfLj32ELj1ELj8ELb1ELb1ELb0EEEvllPKT_S7_PKT0_SA_PS5_SB_
                                        ; -- End function
	.section	.AMDGPU.csdata,"",@progbits
; Kernel info:
; codeLenInByte = 1556
; NumSgprs: 44
; NumVgprs: 47
; NumAgprs: 0
; TotalNumVgprs: 47
; ScratchSize: 0
; MemoryBound: 0
; FloatMode: 240
; IeeeMode: 1
; LDSByteSize: 0 bytes/workgroup (compile time only)
; SGPRBlocks: 5
; VGPRBlocks: 5
; NumSGPRsForWavesPerEU: 44
; NumVGPRsForWavesPerEU: 47
; AccumOffset: 48
; Occupancy: 8
; WaveLimiterHint : 0
; COMPUTE_PGM_RSRC2:SCRATCH_EN: 0
; COMPUTE_PGM_RSRC2:USER_SGPR: 6
; COMPUTE_PGM_RSRC2:TRAP_HANDLER: 0
; COMPUTE_PGM_RSRC2:TGID_X_EN: 1
; COMPUTE_PGM_RSRC2:TGID_Y_EN: 1
; COMPUTE_PGM_RSRC2:TGID_Z_EN: 0
; COMPUTE_PGM_RSRC2:TIDIG_COMP_CNT: 1
; COMPUTE_PGM_RSRC3_GFX90A:ACCUM_OFFSET: 11
; COMPUTE_PGM_RSRC3_GFX90A:TG_SPLIT: 0
	.section	.text._ZN2at6native12_GLOBAL__N_135GammaBetaBackwardCUDAKernelTemplateIN3c108BFloat16EfLj32ELj1ELj8ELb1ELb0ELb0EEEvllPKT_S7_PKT0_SA_PS5_SB_,"axG",@progbits,_ZN2at6native12_GLOBAL__N_135GammaBetaBackwardCUDAKernelTemplateIN3c108BFloat16EfLj32ELj1ELj8ELb1ELb0ELb0EEEvllPKT_S7_PKT0_SA_PS5_SB_,comdat
	.globl	_ZN2at6native12_GLOBAL__N_135GammaBetaBackwardCUDAKernelTemplateIN3c108BFloat16EfLj32ELj1ELj8ELb1ELb0ELb0EEEvllPKT_S7_PKT0_SA_PS5_SB_ ; -- Begin function _ZN2at6native12_GLOBAL__N_135GammaBetaBackwardCUDAKernelTemplateIN3c108BFloat16EfLj32ELj1ELj8ELb1ELb0ELb0EEEvllPKT_S7_PKT0_SA_PS5_SB_
	.p2align	8
	.type	_ZN2at6native12_GLOBAL__N_135GammaBetaBackwardCUDAKernelTemplateIN3c108BFloat16EfLj32ELj1ELj8ELb1ELb0ELb0EEEvllPKT_S7_PKT0_SA_PS5_SB_,@function
_ZN2at6native12_GLOBAL__N_135GammaBetaBackwardCUDAKernelTemplateIN3c108BFloat16EfLj32ELj1ELj8ELb1ELb0ELb0EEEvllPKT_S7_PKT0_SA_PS5_SB_: ; @_ZN2at6native12_GLOBAL__N_135GammaBetaBackwardCUDAKernelTemplateIN3c108BFloat16EfLj32ELj1ELj8ELb1ELb0ELb0EEEvllPKT_S7_PKT0_SA_PS5_SB_
; %bb.0:
	s_load_dwordx8 s[12:19], s[4:5], 0x0
	s_load_dwordx4 s[28:31], s[4:5], 0x20
	s_mov_b32 s8, s7
	s_lshl_b32 s7, s6, 5
	s_mov_b32 s20, 0
	s_or_b32 s0, s7, 31
	s_mov_b32 s1, s20
	s_waitcnt lgkmcnt(0)
	v_pk_mov_b32 v[2:3], s[14:15], s[14:15] op_sel:[0,1]
	v_cmp_ge_i64_e32 vcc, s[0:1], v[2:3]
	s_lshl_b32 s34, s8, 3
	s_mov_b32 s35, s20
	v_pk_mov_b32 v[2:3], s[12:13], s[12:13] op_sel:[0,1]
	v_cmp_lt_i64_e64 s[0:1], s[34:35], v[2:3]
	v_cndmask_b32_e64 v1, 0, 1, s[0:1]
	v_cmp_ne_u32_e64 s[0:1], 1, v1
	s_cbranch_vccz .LBB109_48
; %bb.1:
	v_mov_b32_e32 v27, 0
	s_and_b64 vcc, exec, s[0:1]
	v_mov_b32_e32 v26, v27
	s_cbranch_vccnz .LBB109_49
; %bb.2:
	v_and_b32_e32 v63, 0x3ff, v0
	v_bfe_u32 v66, v0, 10, 10
	v_add_u32_e32 v2, s7, v63
	v_mov_b32_e32 v3, 0
	v_lshlrev_b32_e32 v28, 3, v66
	v_cmp_gt_i64_e64 s[2:3], s[14:15], v[2:3]
	v_lshlrev_b64 v[30:31], 1, v[2:3]
	v_mov_b32_e32 v2, s35
	v_add_co_u32_e32 v6, vcc, s34, v28
	v_addc_co_u32_e32 v2, vcc, 0, v2, vcc
	v_add_co_u32_e32 v4, vcc, 7, v6
	v_addc_co_u32_e32 v5, vcc, 0, v2, vcc
	v_mul_lo_u32 v7, s15, v4
	v_mul_lo_u32 v8, s14, v5
	v_mad_u64_u32 v[4:5], s[10:11], s14, v4, 0
	s_load_dword s9, s[4:5], 0x44
	v_add3_u32 v5, v5, v8, v7
	v_lshlrev_b64 v[4:5], 1, v[4:5]
	v_mov_b32_e32 v7, s17
	v_add_co_u32_e32 v32, vcc, s16, v4
	v_addc_co_u32_e32 v29, vcc, v7, v5, vcc
	s_add_u32 s36, s4, 64
	v_mov_b32_e32 v8, s19
	v_add_co_u32_e32 v34, vcc, s18, v4
	s_addc_u32 s37, s5, 0
	s_waitcnt lgkmcnt(0)
	s_lshl_b32 s9, s9, 3
	v_addc_co_u32_e32 v33, vcc, v8, v5, vcc
	s_mul_i32 s10, s15, s9
	s_mul_hi_u32 s11, s14, s9
	v_add_co_u32_e32 v4, vcc, 6, v6
	s_add_i32 s11, s11, s10
	s_mul_i32 s10, s14, s9
	v_addc_co_u32_e32 v5, vcc, 0, v2, vcc
	s_lshl_b64 s[40:41], s[10:11], 1
	v_mul_lo_u32 v9, s15, v4
	v_mul_lo_u32 v10, s14, v5
	v_mad_u64_u32 v[4:5], s[10:11], s14, v4, 0
	v_add3_u32 v5, v5, v10, v9
	v_lshlrev_b64 v[4:5], 1, v[4:5]
	v_add_co_u32_e32 v36, vcc, s16, v4
	v_addc_co_u32_e32 v35, vcc, v7, v5, vcc
	v_add_co_u32_e32 v38, vcc, s18, v4
	v_addc_co_u32_e32 v37, vcc, v8, v5, vcc
	v_add_co_u32_e32 v4, vcc, 5, v6
	v_addc_co_u32_e32 v5, vcc, 0, v2, vcc
	v_mul_lo_u32 v9, s15, v4
	v_mul_lo_u32 v10, s14, v5
	v_mad_u64_u32 v[4:5], s[10:11], s14, v4, 0
	v_add3_u32 v5, v5, v10, v9
	v_lshlrev_b64 v[4:5], 1, v[4:5]
	v_add_co_u32_e32 v40, vcc, s16, v4
	v_addc_co_u32_e32 v39, vcc, v7, v5, vcc
	v_add_co_u32_e32 v42, vcc, s18, v4
	v_addc_co_u32_e32 v41, vcc, v8, v5, vcc
	v_add_co_u32_e32 v4, vcc, 4, v6
	v_addc_co_u32_e32 v5, vcc, 0, v2, vcc
	;; [unrolled: 11-line block ×4, first 2 shown]
	v_mul_lo_u32 v9, s15, v4
	v_mul_lo_u32 v10, s14, v5
	v_mad_u64_u32 v[4:5], s[10:11], s14, v4, 0
	v_add3_u32 v5, v5, v10, v9
	v_lshlrev_b64 v[4:5], 1, v[4:5]
	v_add_co_u32_e32 v52, vcc, s16, v4
	v_addc_co_u32_e32 v51, vcc, v7, v5, vcc
	v_add_co_u32_e32 v54, vcc, s18, v4
	v_addc_co_u32_e32 v53, vcc, v8, v5, vcc
	v_pk_mov_b32 v[4:5], s[14:15], s[14:15] op_sel:[0,1]
	v_mad_u64_u32 v[4:5], s[10:11], s14, v6, v[4:5]
	v_mul_lo_u32 v2, s14, v2
	v_mul_lo_u32 v9, s15, v6
	v_add3_u32 v5, v9, v5, v2
	v_lshlrev_b64 v[4:5], 1, v[4:5]
	v_add_co_u32_e32 v56, vcc, s16, v4
	v_addc_co_u32_e32 v55, vcc, v7, v5, vcc
	v_add_co_u32_e32 v58, vcc, s18, v4
	v_addc_co_u32_e32 v57, vcc, v8, v5, vcc
	v_mad_u64_u32 v[4:5], s[10:11], s14, v6, 0
	v_add3_u32 v5, v5, v2, v9
	v_lshlrev_b64 v[4:5], 1, v[4:5]
	v_add_co_u32_e32 v60, vcc, s16, v4
	v_mbcnt_lo_u32_b32 v2, -1, 0
	v_addc_co_u32_e32 v59, vcc, v7, v5, vcc
	v_mbcnt_hi_u32_b32 v2, -1, v2
	v_add_co_u32_e32 v62, vcc, s18, v4
	v_lshlrev_b32_e32 v2, 2, v2
	v_mov_b32_e32 v1, v3
	s_mov_b32 s33, s20
	s_mov_b64 s[38:39], 7
	v_addc_co_u32_e32 v61, vcc, v8, v5, vcc
	v_and_b32_e32 v67, 0x100, v2
	s_mov_b64 s[42:43], s[34:35]
	v_mov_b32_e32 v26, v3
	v_mov_b32_e32 v27, v3
	s_branch .LBB109_5
.LBB109_3:                              ;   in Loop: Header=BB109_5 Depth=1
	s_or_b64 exec, exec, s[10:11]
	s_waitcnt vmcnt(1)
	ds_bpermute_b32 v2, v67, v69
	ds_bpermute_b32 v4, v67, v69 offset:4
	s_waitcnt vmcnt(0)
	ds_bpermute_b32 v5, v67, v68
	ds_bpermute_b32 v6, v67, v68 offset:4
	ds_bpermute_b32 v8, v67, v68 offset:12
	s_waitcnt lgkmcnt(4)
	v_sub_f32_e32 v2, v10, v2
	v_mul_f32_e32 v2, v18, v2
	s_waitcnt lgkmcnt(3)
	v_sub_f32_e32 v4, v11, v4
	s_waitcnt lgkmcnt(2)
	v_mul_f32_e32 v5, v2, v5
	ds_bpermute_b32 v2, v67, v69 offset:8
	v_mul_f32_e32 v4, v19, v4
	s_waitcnt lgkmcnt(2)
	v_mul_f32_e32 v7, v4, v6
	ds_bpermute_b32 v4, v67, v68 offset:8
	ds_bpermute_b32 v6, v67, v69 offset:12
	s_waitcnt lgkmcnt(2)
	v_sub_f32_e32 v2, v12, v2
	v_mul_f32_e32 v2, v20, v2
	v_mov_b32_e32 v10, v21
	s_waitcnt lgkmcnt(1)
	v_mul_f32_e32 v9, v2, v4
	s_waitcnt lgkmcnt(0)
	v_sub_f32_e32 v2, v13, v6
	ds_bpermute_b32 v4, v67, v69 offset:16
	v_mul_f32_e32 v2, v21, v2
	v_mul_f32_e32 v11, v2, v8
	ds_bpermute_b32 v2, v67, v68 offset:16
	ds_bpermute_b32 v6, v67, v69 offset:20
	;; [unrolled: 1-line block ×3, first 2 shown]
	s_waitcnt lgkmcnt(3)
	v_sub_f32_e32 v4, v14, v4
	v_mul_f32_e32 v4, v22, v4
	s_waitcnt lgkmcnt(2)
	v_mul_f32_e32 v13, v4, v2
	s_waitcnt lgkmcnt(1)
	v_sub_f32_e32 v2, v15, v6
	v_mul_f32_e32 v2, v23, v2
	s_waitcnt lgkmcnt(0)
	v_mul_f32_e32 v15, v2, v8
	v_mov_b32_e32 v4, v18
	ds_bpermute_b32 v2, v67, v69 offset:24
	v_pk_add_f32 v[4:5], v[26:27], v[4:5]
	v_mov_b32_e32 v6, v19
	v_pk_add_f32 v[4:5], v[6:7], v[4:5]
	ds_bpermute_b32 v7, v67, v68 offset:24
	v_mov_b32_e32 v8, v20
	v_pk_add_f32 v[4:5], v[8:9], v[4:5]
	v_pk_add_f32 v[4:5], v[10:11], v[4:5]
	v_mov_b32_e32 v12, v22
	s_waitcnt lgkmcnt(1)
	v_sub_f32_e32 v8, v16, v2
	v_pk_add_f32 v[4:5], v[12:13], v[4:5]
	v_mov_b32_e32 v14, v23
	v_mul_f32_e32 v8, v24, v8
	v_pk_add_f32 v[4:5], v[14:15], v[4:5]
	s_waitcnt lgkmcnt(0)
	v_mul_f32_e32 v9, v8, v7
	v_mov_b32_e32 v8, v24
	ds_bpermute_b32 v2, v67, v68 offset:28
	ds_bpermute_b32 v6, v67, v69 offset:28
	v_pk_add_f32 v[4:5], v[8:9], v[4:5]
.LBB109_4:                              ;   in Loop: Header=BB109_5 Depth=1
	s_waitcnt lgkmcnt(0)
	v_sub_f32_e32 v6, v17, v6
	v_mul_f32_e32 v6, v25, v6
	v_mul_f32_e32 v7, v6, v2
	v_mov_b32_e32 v2, s41
	v_add_co_u32_e32 v32, vcc, s40, v32
	v_addc_co_u32_e32 v29, vcc, v29, v2, vcc
	v_add_co_u32_e32 v34, vcc, s40, v34
	v_addc_co_u32_e32 v33, vcc, v33, v2, vcc
	;; [unrolled: 2-line block ×13, first 2 shown]
	v_add_co_u32_e32 v58, vcc, s40, v58
	v_mov_b32_e32 v6, v25
	v_addc_co_u32_e32 v57, vcc, v57, v2, vcc
	v_pk_add_f32 v[26:27], v[4:5], v[6:7]
	v_mov_b32_e32 v4, s33
	v_add_co_u32_e32 v28, vcc, s9, v28
	v_addc_co_u32_e32 v1, vcc, v1, v4, vcc
	v_add_co_u32_e32 v60, vcc, s40, v60
	v_addc_co_u32_e32 v59, vcc, v59, v2, vcc
	s_add_u32 s42, s42, s9
	v_add_co_u32_e32 v62, vcc, s40, v62
	s_addc_u32 s43, s43, 0
	v_addc_co_u32_e32 v61, vcc, v61, v2, vcc
	v_pk_mov_b32 v[4:5], s[12:13], s[12:13] op_sel:[0,1]
	s_add_u32 s38, s38, s9
	v_cmp_lt_i64_e32 vcc, s[42:43], v[4:5]
	s_addc_u32 s39, s39, 0
	s_cbranch_vccz .LBB109_49
.LBB109_5:                              ; =>This Inner Loop Header: Depth=1
	s_add_u32 s10, s34, s38
	s_addc_u32 s11, 0, s39
	v_pk_mov_b32 v[4:5], s[12:13], s[12:13] op_sel:[0,1]
	v_cmp_ge_i64_e32 vcc, s[10:11], v[4:5]
	v_mov_b32_e32 v2, s35
	v_add_co_u32_e64 v64, s[10:11], s34, v28
	v_addc_co_u32_e64 v65, s[10:11], v2, v1, s[10:11]
	s_cbranch_vccz .LBB109_27
; %bb.6:                                ;   in Loop: Header=BB109_5 Depth=1
	s_load_dword s10, s[36:37], 0xc
	v_mov_b32_e32 v68, 0
	v_mov_b32_e32 v69, 0
	s_waitcnt lgkmcnt(0)
	s_and_b32 s10, s10, 0xffff
	v_mad_u32_u24 v2, v66, s10, v63
	v_and_b32_e32 v2, 63, v2
	v_cmp_gt_u32_e32 vcc, 8, v2
	s_and_saveexec_b64 s[10:11], vcc
	s_cbranch_execz .LBB109_10
; %bb.7:                                ;   in Loop: Header=BB109_5 Depth=1
	v_add_co_u32_e32 v4, vcc, v64, v2
	v_addc_co_u32_e32 v5, vcc, 0, v65, vcc
	v_cmp_gt_i64_e32 vcc, s[12:13], v[4:5]
	v_mov_b32_e32 v69, 0
	v_mov_b32_e32 v68, 0
	s_and_saveexec_b64 s[22:23], vcc
	s_cbranch_execz .LBB109_9
; %bb.8:                                ;   in Loop: Header=BB109_5 Depth=1
	v_lshlrev_b64 v[4:5], 2, v[4:5]
	v_mov_b32_e32 v2, s31
	v_add_co_u32_e32 v6, vcc, s30, v4
	v_addc_co_u32_e32 v7, vcc, v2, v5, vcc
	v_mov_b32_e32 v2, s29
	v_add_co_u32_e32 v4, vcc, s28, v4
	v_addc_co_u32_e32 v5, vcc, v2, v5, vcc
	global_load_dword v69, v[4:5], off
	global_load_dword v68, v[6:7], off
.LBB109_9:                              ;   in Loop: Header=BB109_5 Depth=1
	s_or_b64 exec, exec, s[22:23]
.LBB109_10:                             ;   in Loop: Header=BB109_5 Depth=1
	s_or_b64 exec, exec, s[10:11]
	s_mov_b32 s21, s20
	s_mov_b32 s22, s20
	;; [unrolled: 1-line block ×7, first 2 shown]
	v_pk_mov_b32 v[10:11], s[20:21], s[20:21] op_sel:[0,1]
	v_pk_mov_b32 v[16:17], s[26:27], s[26:27] op_sel:[0,1]
	v_cmp_gt_i64_e32 vcc, s[12:13], v[64:65]
	v_pk_mov_b32 v[12:13], s[22:23], s[22:23] op_sel:[0,1]
	v_pk_mov_b32 v[14:15], s[24:25], s[24:25] op_sel:[0,1]
	v_pk_mov_b32 v[24:25], v[16:17], v[16:17] op_sel:[0,1]
	s_and_b64 s[44:45], s[2:3], vcc
	v_pk_mov_b32 v[22:23], v[14:15], v[14:15] op_sel:[0,1]
	v_pk_mov_b32 v[20:21], v[12:13], v[12:13] op_sel:[0,1]
	;; [unrolled: 1-line block ×3, first 2 shown]
	s_and_saveexec_b64 s[10:11], s[44:45]
	s_cbranch_execz .LBB109_12
; %bb.11:                               ;   in Loop: Header=BB109_5 Depth=1
	v_add_co_u32_e32 v4, vcc, v60, v30
	v_addc_co_u32_e32 v5, vcc, v59, v31, vcc
	global_load_ushort v2, v[4:5], off
	v_add_co_u32_e32 v4, vcc, v62, v30
	v_addc_co_u32_e32 v5, vcc, v61, v31, vcc
	global_load_ushort v10, v[4:5], off
	v_mov_b32_e32 v8, v3
	v_mov_b32_e32 v9, v3
	;; [unrolled: 1-line block ×13, first 2 shown]
	s_waitcnt vmcnt(1)
	v_lshlrev_b32_e32 v2, 16, v2
	v_pk_mov_b32 v[24:25], v[8:9], v[8:9] op_sel:[0,1]
	v_pk_mov_b32 v[22:23], v[6:7], v[6:7] op_sel:[0,1]
	;; [unrolled: 1-line block ×4, first 2 shown]
	s_waitcnt vmcnt(0)
	v_lshlrev_b32_e32 v10, 16, v10
.LBB109_12:                             ;   in Loop: Header=BB109_5 Depth=1
	s_or_b64 exec, exec, s[10:11]
	v_add_co_u32_e32 v4, vcc, 1, v64
	v_addc_co_u32_e32 v5, vcc, 0, v65, vcc
	v_cmp_gt_i64_e32 vcc, s[12:13], v[4:5]
	s_and_b64 s[22:23], s[2:3], vcc
	s_and_saveexec_b64 s[10:11], s[22:23]
	s_cbranch_execz .LBB109_14
; %bb.13:                               ;   in Loop: Header=BB109_5 Depth=1
	v_add_co_u32_e32 v4, vcc, v56, v30
	v_addc_co_u32_e32 v5, vcc, v55, v31, vcc
	global_load_ushort v2, v[4:5], off
	v_add_co_u32_e32 v4, vcc, v58, v30
	v_addc_co_u32_e32 v5, vcc, v57, v31, vcc
	global_load_ushort v4, v[4:5], off
	s_waitcnt vmcnt(1)
	v_lshlrev_b32_e32 v19, 16, v2
	s_waitcnt vmcnt(0)
	v_lshlrev_b32_e32 v11, 16, v4
.LBB109_14:                             ;   in Loop: Header=BB109_5 Depth=1
	s_or_b64 exec, exec, s[10:11]
	v_add_co_u32_e32 v4, vcc, 2, v64
	v_addc_co_u32_e32 v5, vcc, 0, v65, vcc
	v_cmp_gt_i64_e32 vcc, s[12:13], v[4:5]
	s_and_b64 s[22:23], s[2:3], vcc
	s_and_saveexec_b64 s[10:11], s[22:23]
	s_cbranch_execz .LBB109_16
; %bb.15:                               ;   in Loop: Header=BB109_5 Depth=1
	v_add_co_u32_e32 v4, vcc, v52, v30
	v_addc_co_u32_e32 v5, vcc, v51, v31, vcc
	global_load_ushort v2, v[4:5], off
	v_add_co_u32_e32 v4, vcc, v54, v30
	v_addc_co_u32_e32 v5, vcc, v53, v31, vcc
	global_load_ushort v4, v[4:5], off
	s_waitcnt vmcnt(1)
	v_lshlrev_b32_e32 v20, 16, v2
	s_waitcnt vmcnt(0)
	v_lshlrev_b32_e32 v12, 16, v4
.LBB109_16:                             ;   in Loop: Header=BB109_5 Depth=1
	;; [unrolled: 19-line block ×7, first 2 shown]
	s_or_b64 exec, exec, s[10:11]
	s_waitcnt vmcnt(1)
	ds_bpermute_b32 v2, v67, v69
	ds_bpermute_b32 v4, v67, v69 offset:4
	s_waitcnt vmcnt(0)
	ds_bpermute_b32 v5, v67, v68
	ds_bpermute_b32 v6, v67, v68 offset:4
	ds_bpermute_b32 v8, v67, v68 offset:12
	s_waitcnt lgkmcnt(4)
	v_sub_f32_e32 v2, v10, v2
	v_mul_f32_e32 v2, v18, v2
	s_waitcnt lgkmcnt(3)
	v_sub_f32_e32 v4, v11, v4
	s_waitcnt lgkmcnt(2)
	v_mul_f32_e32 v5, v2, v5
	ds_bpermute_b32 v2, v67, v69 offset:8
	v_mul_f32_e32 v4, v19, v4
	s_waitcnt lgkmcnt(2)
	v_mul_f32_e32 v7, v4, v6
	ds_bpermute_b32 v4, v67, v68 offset:8
	ds_bpermute_b32 v6, v67, v69 offset:12
	s_waitcnt lgkmcnt(2)
	v_sub_f32_e32 v2, v12, v2
	v_mul_f32_e32 v2, v20, v2
	v_mov_b32_e32 v10, v21
	s_waitcnt lgkmcnt(1)
	v_mul_f32_e32 v9, v2, v4
	s_waitcnt lgkmcnt(0)
	v_sub_f32_e32 v2, v13, v6
	ds_bpermute_b32 v4, v67, v69 offset:16
	v_mul_f32_e32 v2, v21, v2
	v_mul_f32_e32 v11, v2, v8
	ds_bpermute_b32 v2, v67, v68 offset:16
	ds_bpermute_b32 v6, v67, v69 offset:20
	;; [unrolled: 1-line block ×3, first 2 shown]
	s_waitcnt lgkmcnt(3)
	v_sub_f32_e32 v4, v14, v4
	v_mul_f32_e32 v4, v22, v4
	s_waitcnt lgkmcnt(2)
	v_mul_f32_e32 v13, v4, v2
	s_waitcnt lgkmcnt(1)
	v_sub_f32_e32 v2, v15, v6
	v_mul_f32_e32 v2, v23, v2
	s_waitcnt lgkmcnt(0)
	v_mul_f32_e32 v15, v2, v8
	ds_bpermute_b32 v2, v67, v69 offset:24
	v_mov_b32_e32 v4, v18
	v_pk_add_f32 v[4:5], v[26:27], v[4:5]
	v_mov_b32_e32 v6, v19
	v_pk_add_f32 v[4:5], v[6:7], v[4:5]
	ds_bpermute_b32 v7, v67, v68 offset:24
	v_mov_b32_e32 v8, v20
	s_waitcnt lgkmcnt(1)
	v_sub_f32_e32 v2, v16, v2
	v_pk_add_f32 v[4:5], v[8:9], v[4:5]
	v_mul_f32_e32 v8, v24, v2
	ds_bpermute_b32 v2, v67, v68 offset:28
	ds_bpermute_b32 v6, v67, v69 offset:28
	v_pk_add_f32 v[4:5], v[10:11], v[4:5]
	v_mov_b32_e32 v12, v22
	v_pk_add_f32 v[4:5], v[12:13], v[4:5]
	v_mov_b32_e32 v14, v23
	v_pk_add_f32 v[4:5], v[14:15], v[4:5]
	s_waitcnt lgkmcnt(2)
	v_mul_f32_e32 v9, v8, v7
	v_mov_b32_e32 v8, v24
	v_pk_add_f32 v[4:5], v[8:9], v[4:5]
	s_branch .LBB109_4
.LBB109_27:                             ;   in Loop: Header=BB109_5 Depth=1
                                        ; implicit-def: $vgpr4_vgpr5
                                        ; implicit-def: $vgpr2
                                        ; implicit-def: $vgpr10_vgpr11_vgpr12_vgpr13_vgpr14_vgpr15_vgpr16_vgpr17
                                        ; implicit-def: $vgpr18_vgpr19_vgpr20_vgpr21_vgpr22_vgpr23_vgpr24_vgpr25
                                        ; implicit-def: $vgpr6
	s_cbranch_execz .LBB109_4
; %bb.28:                               ;   in Loop: Header=BB109_5 Depth=1
	s_load_dword s10, s[36:37], 0x0
	v_mov_b32_e32 v68, 0
	v_mov_b32_e32 v69, 0
	s_waitcnt lgkmcnt(0)
	s_cmp_lt_u32 s6, s10
	s_cselect_b32 s10, 12, 18
	s_add_u32 s10, s36, s10
	s_addc_u32 s11, s37, 0
	global_load_ushort v2, v3, s[10:11]
	s_waitcnt vmcnt(0)
	v_mad_u32_u24 v2, v66, v2, v63
	v_and_b32_e32 v2, 63, v2
	v_cmp_gt_u32_e32 vcc, 8, v2
	s_and_saveexec_b64 s[10:11], vcc
	s_cbranch_execz .LBB109_32
; %bb.29:                               ;   in Loop: Header=BB109_5 Depth=1
	v_add_co_u32_e32 v4, vcc, v64, v2
	v_addc_co_u32_e32 v5, vcc, 0, v65, vcc
	v_cmp_gt_i64_e32 vcc, s[12:13], v[4:5]
	v_mov_b32_e32 v69, 0
	v_mov_b32_e32 v68, 0
	s_and_saveexec_b64 s[22:23], vcc
	s_cbranch_execz .LBB109_31
; %bb.30:                               ;   in Loop: Header=BB109_5 Depth=1
	v_lshlrev_b64 v[4:5], 2, v[4:5]
	v_mov_b32_e32 v2, s31
	v_add_co_u32_e32 v6, vcc, s30, v4
	v_addc_co_u32_e32 v7, vcc, v2, v5, vcc
	v_mov_b32_e32 v2, s29
	v_add_co_u32_e32 v4, vcc, s28, v4
	v_addc_co_u32_e32 v5, vcc, v2, v5, vcc
	global_load_dword v69, v[4:5], off
	global_load_dword v68, v[6:7], off
.LBB109_31:                             ;   in Loop: Header=BB109_5 Depth=1
	s_or_b64 exec, exec, s[22:23]
.LBB109_32:                             ;   in Loop: Header=BB109_5 Depth=1
	s_or_b64 exec, exec, s[10:11]
	s_mov_b32 s21, s20
	s_mov_b32 s22, s20
	;; [unrolled: 1-line block ×7, first 2 shown]
	v_pk_mov_b32 v[10:11], s[20:21], s[20:21] op_sel:[0,1]
	v_pk_mov_b32 v[16:17], s[26:27], s[26:27] op_sel:[0,1]
	;; [unrolled: 1-line block ×8, first 2 shown]
	s_and_saveexec_b64 s[10:11], s[2:3]
	s_cbranch_execnz .LBB109_40
; %bb.33:                               ;   in Loop: Header=BB109_5 Depth=1
	s_or_b64 exec, exec, s[10:11]
	s_and_saveexec_b64 s[10:11], s[2:3]
	s_cbranch_execnz .LBB109_41
.LBB109_34:                             ;   in Loop: Header=BB109_5 Depth=1
	s_or_b64 exec, exec, s[10:11]
	s_and_saveexec_b64 s[10:11], s[2:3]
	s_cbranch_execnz .LBB109_42
.LBB109_35:                             ;   in Loop: Header=BB109_5 Depth=1
	s_or_b64 exec, exec, s[10:11]
	s_and_saveexec_b64 s[10:11], s[2:3]
	s_cbranch_execnz .LBB109_43
.LBB109_36:                             ;   in Loop: Header=BB109_5 Depth=1
	s_or_b64 exec, exec, s[10:11]
	s_and_saveexec_b64 s[10:11], s[2:3]
	s_cbranch_execnz .LBB109_44
.LBB109_37:                             ;   in Loop: Header=BB109_5 Depth=1
	s_or_b64 exec, exec, s[10:11]
	s_and_saveexec_b64 s[10:11], s[2:3]
	s_cbranch_execnz .LBB109_45
.LBB109_38:                             ;   in Loop: Header=BB109_5 Depth=1
	s_or_b64 exec, exec, s[10:11]
	s_and_saveexec_b64 s[10:11], s[2:3]
	s_cbranch_execnz .LBB109_46
.LBB109_39:                             ;   in Loop: Header=BB109_5 Depth=1
	s_or_b64 exec, exec, s[10:11]
	s_and_saveexec_b64 s[10:11], s[2:3]
	s_cbranch_execz .LBB109_3
	s_branch .LBB109_47
.LBB109_40:                             ;   in Loop: Header=BB109_5 Depth=1
	v_add_co_u32_e32 v4, vcc, v60, v30
	v_addc_co_u32_e32 v5, vcc, v59, v31, vcc
	global_load_ushort v2, v[4:5], off
	v_add_co_u32_e32 v4, vcc, v62, v30
	v_addc_co_u32_e32 v5, vcc, v61, v31, vcc
	global_load_ushort v10, v[4:5], off
	v_mov_b32_e32 v8, v3
	v_mov_b32_e32 v9, v3
	;; [unrolled: 1-line block ×13, first 2 shown]
	s_waitcnt vmcnt(1)
	v_lshlrev_b32_e32 v2, 16, v2
	v_pk_mov_b32 v[24:25], v[8:9], v[8:9] op_sel:[0,1]
	v_pk_mov_b32 v[22:23], v[6:7], v[6:7] op_sel:[0,1]
	;; [unrolled: 1-line block ×4, first 2 shown]
	s_waitcnt vmcnt(0)
	v_lshlrev_b32_e32 v10, 16, v10
	s_or_b64 exec, exec, s[10:11]
	s_and_saveexec_b64 s[10:11], s[2:3]
	s_cbranch_execz .LBB109_34
.LBB109_41:                             ;   in Loop: Header=BB109_5 Depth=1
	v_add_co_u32_e32 v4, vcc, v56, v30
	v_addc_co_u32_e32 v5, vcc, v55, v31, vcc
	global_load_ushort v2, v[4:5], off
	v_add_co_u32_e32 v4, vcc, v58, v30
	v_addc_co_u32_e32 v5, vcc, v57, v31, vcc
	global_load_ushort v4, v[4:5], off
	s_waitcnt vmcnt(1)
	v_lshlrev_b32_e32 v19, 16, v2
	s_waitcnt vmcnt(0)
	v_lshlrev_b32_e32 v11, 16, v4
	s_or_b64 exec, exec, s[10:11]
	s_and_saveexec_b64 s[10:11], s[2:3]
	s_cbranch_execz .LBB109_35
.LBB109_42:                             ;   in Loop: Header=BB109_5 Depth=1
	v_add_co_u32_e32 v4, vcc, v52, v30
	v_addc_co_u32_e32 v5, vcc, v51, v31, vcc
	global_load_ushort v2, v[4:5], off
	v_add_co_u32_e32 v4, vcc, v54, v30
	v_addc_co_u32_e32 v5, vcc, v53, v31, vcc
	global_load_ushort v4, v[4:5], off
	s_waitcnt vmcnt(1)
	v_lshlrev_b32_e32 v20, 16, v2
	s_waitcnt vmcnt(0)
	v_lshlrev_b32_e32 v12, 16, v4
	s_or_b64 exec, exec, s[10:11]
	s_and_saveexec_b64 s[10:11], s[2:3]
	s_cbranch_execz .LBB109_36
.LBB109_43:                             ;   in Loop: Header=BB109_5 Depth=1
	v_add_co_u32_e32 v4, vcc, v48, v30
	v_addc_co_u32_e32 v5, vcc, v47, v31, vcc
	global_load_ushort v2, v[4:5], off
	v_add_co_u32_e32 v4, vcc, v50, v30
	v_addc_co_u32_e32 v5, vcc, v49, v31, vcc
	global_load_ushort v4, v[4:5], off
	s_waitcnt vmcnt(1)
	v_lshlrev_b32_e32 v21, 16, v2
	s_waitcnt vmcnt(0)
	v_lshlrev_b32_e32 v13, 16, v4
	s_or_b64 exec, exec, s[10:11]
	s_and_saveexec_b64 s[10:11], s[2:3]
	s_cbranch_execz .LBB109_37
.LBB109_44:                             ;   in Loop: Header=BB109_5 Depth=1
	v_add_co_u32_e32 v4, vcc, v44, v30
	v_addc_co_u32_e32 v5, vcc, v43, v31, vcc
	global_load_ushort v2, v[4:5], off
	v_add_co_u32_e32 v4, vcc, v46, v30
	v_addc_co_u32_e32 v5, vcc, v45, v31, vcc
	global_load_ushort v4, v[4:5], off
	s_waitcnt vmcnt(1)
	v_lshlrev_b32_e32 v22, 16, v2
	s_waitcnt vmcnt(0)
	v_lshlrev_b32_e32 v14, 16, v4
	s_or_b64 exec, exec, s[10:11]
	s_and_saveexec_b64 s[10:11], s[2:3]
	s_cbranch_execz .LBB109_38
.LBB109_45:                             ;   in Loop: Header=BB109_5 Depth=1
	v_add_co_u32_e32 v4, vcc, v40, v30
	v_addc_co_u32_e32 v5, vcc, v39, v31, vcc
	global_load_ushort v2, v[4:5], off
	v_add_co_u32_e32 v4, vcc, v42, v30
	v_addc_co_u32_e32 v5, vcc, v41, v31, vcc
	global_load_ushort v4, v[4:5], off
	s_waitcnt vmcnt(1)
	v_lshlrev_b32_e32 v23, 16, v2
	s_waitcnt vmcnt(0)
	v_lshlrev_b32_e32 v15, 16, v4
	s_or_b64 exec, exec, s[10:11]
	s_and_saveexec_b64 s[10:11], s[2:3]
	s_cbranch_execz .LBB109_39
.LBB109_46:                             ;   in Loop: Header=BB109_5 Depth=1
	v_add_co_u32_e32 v4, vcc, v36, v30
	v_addc_co_u32_e32 v5, vcc, v35, v31, vcc
	global_load_ushort v2, v[4:5], off
	v_add_co_u32_e32 v4, vcc, v38, v30
	v_addc_co_u32_e32 v5, vcc, v37, v31, vcc
	global_load_ushort v4, v[4:5], off
	s_waitcnt vmcnt(1)
	v_lshlrev_b32_e32 v24, 16, v2
	s_waitcnt vmcnt(0)
	v_lshlrev_b32_e32 v16, 16, v4
	s_or_b64 exec, exec, s[10:11]
	s_and_saveexec_b64 s[10:11], s[2:3]
	s_cbranch_execz .LBB109_3
.LBB109_47:                             ;   in Loop: Header=BB109_5 Depth=1
	v_add_co_u32_e32 v4, vcc, v32, v30
	v_addc_co_u32_e32 v5, vcc, v29, v31, vcc
	global_load_ushort v2, v[4:5], off
	v_add_co_u32_e32 v4, vcc, v34, v30
	v_addc_co_u32_e32 v5, vcc, v33, v31, vcc
	global_load_ushort v4, v[4:5], off
	s_waitcnt vmcnt(1)
	v_lshlrev_b32_e32 v25, 16, v2
	s_waitcnt vmcnt(0)
	v_lshlrev_b32_e32 v17, 16, v4
	s_branch .LBB109_3
.LBB109_48:
                                        ; implicit-def: $vgpr27
	s_branch .LBB109_50
.LBB109_49:
	s_cbranch_execnz .LBB109_81
.LBB109_50:
	v_mov_b32_e32 v27, 0
	s_mov_b32 s20, 0
	s_and_b64 vcc, exec, s[0:1]
	v_mov_b32_e32 v26, v27
	s_cbranch_vccnz .LBB109_81
; %bb.51:
	v_bfe_u32 v89, v0, 10, 10
	s_add_u32 s2, s4, 64
	s_addc_u32 s3, s5, 0
	v_lshlrev_b32_e32 v1, 4, v89
	s_lshl_b64 s[0:1], s[34:35], 1
	v_mov_b32_e32 v2, s1
	v_add_co_u32_e32 v1, vcc, s0, v1
	v_addc_co_u32_e32 v4, vcc, 0, v2, vcc
	v_add_co_u32_e32 v6, vcc, 2, v1
	v_addc_co_u32_e32 v5, vcc, 0, v4, vcc
	v_add_co_u32_e32 v9, vcc, 4, v1
	v_mul_lo_u32 v7, s14, v5
	v_addc_co_u32_e32 v5, vcc, 0, v4, vcc
	v_add_co_u32_e32 v12, vcc, 6, v1
	v_mul_lo_u32 v10, s14, v5
	;; [unrolled: 3-line block ×5, first 2 shown]
	v_addc_co_u32_e32 v5, vcc, 0, v4, vcc
	v_add_co_u32_e32 v24, vcc, 14, v1
	v_lshlrev_b32_e32 v28, 3, v89
	v_addc_co_u32_e32 v1, vcc, 0, v4, vcc
	v_mul_lo_u32 v25, s14, v1
	v_mov_b32_e32 v1, s35
	v_add_co_u32_e32 v27, vcc, s34, v28
	v_pk_mov_b32 v[2:3], s[16:17], s[16:17] op_sel:[0,1]
	v_addc_co_u32_e32 v45, vcc, 0, v1, vcc
	v_mad_u64_u32 v[30:31], s[0:1], s14, v6, v[2:3]
	v_mad_u64_u32 v[32:33], s[0:1], s14, v9, v[2:3]
	;; [unrolled: 1-line block ×7, first 2 shown]
	v_mul_lo_u32 v61, s15, v27
	v_mul_lo_u32 v62, s14, v45
	v_mad_u64_u32 v[2:3], s[0:1], s14, v27, 0
	v_add3_u32 v3, v3, v62, v61
	v_lshlrev_b64 v[2:3], 1, v[2:3]
	v_mul_lo_u32 v22, s14, v5
	v_mov_b32_e32 v83, s17
	v_add_co_u32_e32 v44, vcc, s16, v2
	v_pk_mov_b32 v[4:5], s[18:19], s[18:19] op_sel:[0,1]
	v_mul_lo_u32 v17, s15, v15
	v_addc_co_u32_e32 v1, vcc, v83, v3, vcc
	v_mad_u64_u32 v[52:53], s[0:1], s14, v15, v[4:5]
	v_add3_u32 v37, v17, v37, v16
	v_add3_u32 v53, v17, v53, v16
	v_mov_b32_e32 v16, s19
	v_add_co_u32_e32 v60, vcc, s18, v2
	v_addc_co_u32_e32 v29, vcc, v16, v3, vcc
	v_add_co_u32_e32 v2, vcc, 7, v27
	v_addc_co_u32_e32 v3, vcc, 0, v45, vcc
	v_mad_u64_u32 v[46:47], s[0:1], s14, v6, v[4:5]
	v_mad_u64_u32 v[48:49], s[0:1], s14, v9, v[4:5]
	;; [unrolled: 1-line block ×6, first 2 shown]
	v_mul_lo_u32 v4, s15, v2
	v_mul_lo_u32 v5, s14, v3
	v_mad_u64_u32 v[2:3], s[0:1], s14, v2, 0
	v_add3_u32 v3, v3, v5, v4
	v_add_co_u32_e32 v4, vcc, 6, v27
	v_mul_lo_u32 v8, s15, v6
	v_addc_co_u32_e32 v5, vcc, 0, v45, vcc
	v_add3_u32 v31, v8, v31, v7
	v_add3_u32 v47, v8, v47, v7
	v_mul_lo_u32 v6, s15, v4
	v_mul_lo_u32 v7, s14, v5
	v_mad_u64_u32 v[4:5], s[0:1], s14, v4, 0
	v_add3_u32 v5, v5, v7, v6
	v_add_co_u32_e32 v6, vcc, 5, v27
	v_addc_co_u32_e32 v7, vcc, 0, v45, vcc
	v_mul_lo_u32 v11, s15, v9
	v_mul_lo_u32 v8, s15, v6
	;; [unrolled: 1-line block ×3, first 2 shown]
	v_mad_u64_u32 v[6:7], s[0:1], s14, v6, 0
	v_add3_u32 v7, v7, v9, v8
	v_add_co_u32_e32 v8, vcc, 4, v27
	v_addc_co_u32_e32 v9, vcc, 0, v45, vcc
	v_add3_u32 v33, v11, v33, v10
	v_add3_u32 v49, v11, v49, v10
	v_mul_lo_u32 v10, s15, v8
	v_mul_lo_u32 v11, s14, v9
	v_mad_u64_u32 v[8:9], s[0:1], s14, v8, 0
	v_add3_u32 v9, v9, v11, v10
	v_add_co_u32_e32 v10, vcc, 3, v27
	v_mul_lo_u32 v14, s15, v12
	v_addc_co_u32_e32 v11, vcc, 0, v45, vcc
	v_add3_u32 v35, v14, v35, v13
	v_add3_u32 v51, v14, v51, v13
	v_mul_lo_u32 v12, s15, v10
	v_mul_lo_u32 v13, s14, v11
	v_mad_u64_u32 v[10:11], s[0:1], s14, v10, 0
	v_add3_u32 v11, v11, v13, v12
	v_add_co_u32_e32 v12, vcc, 2, v27
	v_addc_co_u32_e32 v13, vcc, 0, v45, vcc
	v_mul_lo_u32 v14, s15, v12
	v_mul_lo_u32 v15, s14, v13
	v_mad_u64_u32 v[12:13], s[0:1], s14, v12, 0
	v_add3_u32 v13, v13, v15, v14
	v_pk_mov_b32 v[14:15], s[14:15], s[14:15] op_sel:[0,1]
	v_lshlrev_b64 v[2:3], 1, v[2:3]
	v_mad_u64_u32 v[14:15], s[0:1], s14, v27, v[14:15]
	v_add3_u32 v15, v61, v15, v62
	v_add_co_u32_e32 v62, vcc, s16, v2
	v_addc_co_u32_e32 v45, vcc, v83, v3, vcc
	v_add_co_u32_e32 v64, vcc, s18, v2
	v_addc_co_u32_e32 v61, vcc, v16, v3, vcc
	v_lshlrev_b64 v[2:3], 1, v[4:5]
	v_add_co_u32_e32 v66, vcc, s16, v2
	v_addc_co_u32_e32 v63, vcc, v83, v3, vcc
	v_add_co_u32_e32 v68, vcc, s18, v2
	v_addc_co_u32_e32 v65, vcc, v16, v3, vcc
	v_lshlrev_b64 v[2:3], 1, v[6:7]
	;; [unrolled: 5-line block ×5, first 2 shown]
	v_add_co_u32_e32 v82, vcc, s16, v2
	v_addc_co_u32_e32 v79, vcc, v83, v3, vcc
	s_load_dword s0, s[4:5], 0x44
	v_add_co_u32_e32 v84, vcc, s18, v2
	v_addc_co_u32_e32 v81, vcc, v16, v3, vcc
	v_lshlrev_b64 v[2:3], 1, v[14:15]
	v_add_co_u32_e32 v86, vcc, s16, v2
	v_addc_co_u32_e32 v83, vcc, v83, v3, vcc
	v_and_b32_e32 v96, 0x3ff, v0
	v_add_co_u32_e32 v88, vcc, s18, v2
	v_add_u32_e32 v2, s7, v96
	s_waitcnt lgkmcnt(0)
	s_lshl_b32 s7, s0, 3
	v_mbcnt_lo_u32_b32 v4, -1, 0
	s_mul_i32 s0, s15, s7
	s_mul_hi_u32 s1, s14, s7
	v_mbcnt_hi_u32_b32 v4, -1, v4
	v_mul_lo_u32 v20, s15, v18
	v_mul_lo_u32 v23, s15, v21
	;; [unrolled: 1-line block ×3, first 2 shown]
	v_addc_co_u32_e32 v85, vcc, v16, v3, vcc
	v_mov_b32_e32 v3, 0
	s_add_i32 s1, s1, s0
	s_mul_i32 s0, s14, s7
	v_lshlrev_b32_e32 v4, 2, v4
	v_add3_u32 v39, v20, v39, v19
	v_add3_u32 v41, v23, v41, v22
	;; [unrolled: 1-line block ×6, first 2 shown]
	s_mov_b32 s9, s20
	s_lshl_b64 s[10:11], s[0:1], 1
	s_mov_b64 s[16:17], 7
	v_and_b32_e32 v97, 0x100, v4
	s_mov_b64 s[18:19], s[34:35]
	v_mov_b32_e32 v26, v3
	v_mov_b32_e32 v27, v3
	;; [unrolled: 1-line block ×3, first 2 shown]
	v_lshlrev_b64 v[90:91], 1, v[2:3]
	s_branch .LBB109_55
.LBB109_52:                             ;   in Loop: Header=BB109_55 Depth=1
	s_or_b64 exec, exec, s[22:23]
.LBB109_53:                             ;   in Loop: Header=BB109_55 Depth=1
	s_or_b64 exec, exec, s[0:1]
	v_add_co_u32_e32 v4, vcc, v44, v90
	v_addc_co_u32_e32 v5, vcc, v1, v91, vcc
	global_load_ushort v7, v[4:5], off
	v_add_co_u32_e32 v4, vcc, v60, v90
	v_addc_co_u32_e32 v5, vcc, v29, v91, vcc
	global_load_ushort v8, v[4:5], off
	;; [unrolled: 3-line block ×16, first 2 shown]
	s_waitcnt vmcnt(16)
	ds_bpermute_b32 v24, v97, v2 offset:8
	s_waitcnt vmcnt(15)
	v_lshlrev_b32_e32 v4, 16, v7
	s_waitcnt vmcnt(14)
	v_lshlrev_b32_e32 v7, 16, v8
	;; [unrolled: 2-line block ×13, first 2 shown]
	ds_bpermute_b32 v19, v97, v6
	s_waitcnt vmcnt(2)
	v_lshlrev_b32_e32 v22, 16, v20
	s_waitcnt vmcnt(1)
	v_lshlrev_b32_e32 v20, 16, v21
	ds_bpermute_b32 v21, v97, v2
	s_waitcnt vmcnt(0)
	v_lshlrev_b32_e32 v23, 16, v5
	s_waitcnt lgkmcnt(1)
	v_sub_f32_e32 v5, v7, v19
	ds_bpermute_b32 v7, v97, v6 offset:4
	v_mul_f32_e32 v5, v5, v4
	s_waitcnt lgkmcnt(1)
	v_mul_f32_e32 v5, v5, v21
	ds_bpermute_b32 v19, v97, v2 offset:4
	ds_bpermute_b32 v21, v97, v6 offset:8
	s_waitcnt lgkmcnt(2)
	v_sub_f32_e32 v7, v9, v7
	v_mul_f32_e32 v7, v7, v8
	v_pk_add_f32 v[4:5], v[92:93], v[4:5]
	s_waitcnt lgkmcnt(1)
	v_mul_f32_e32 v9, v7, v19
	s_waitcnt lgkmcnt(0)
	v_sub_f32_e32 v7, v11, v21
	ds_bpermute_b32 v19, v97, v6 offset:12
	v_mul_f32_e32 v7, v7, v10
	v_mul_f32_e32 v11, v7, v24
	ds_bpermute_b32 v7, v97, v2 offset:12
	ds_bpermute_b32 v21, v97, v6 offset:16
	s_waitcnt lgkmcnt(2)
	v_sub_f32_e32 v13, v13, v19
	ds_bpermute_b32 v19, v97, v2 offset:16
	v_mul_f32_e32 v13, v13, v12
	s_waitcnt lgkmcnt(2)
	v_mul_f32_e32 v13, v13, v7
	s_waitcnt lgkmcnt(1)
	v_sub_f32_e32 v7, v15, v21
	ds_bpermute_b32 v21, v97, v6 offset:20
	v_mul_f32_e32 v7, v7, v14
	s_waitcnt lgkmcnt(1)
	v_mul_f32_e32 v15, v7, v19
	ds_bpermute_b32 v7, v97, v2 offset:20
	ds_bpermute_b32 v19, v97, v6 offset:24
	;; [unrolled: 1-line block ×3, first 2 shown]
	s_waitcnt lgkmcnt(3)
	v_sub_f32_e32 v17, v17, v21
	ds_bpermute_b32 v21, v97, v2 offset:24
	v_pk_add_f32 v[4:5], v[4:5], v[8:9]
	ds_bpermute_b32 v2, v97, v2 offset:28
	v_mul_f32_e32 v17, v17, v16
	v_pk_add_f32 v[4:5], v[4:5], v[10:11]
	s_waitcnt lgkmcnt(4)
	v_mul_f32_e32 v17, v17, v7
	s_waitcnt lgkmcnt(3)
	v_sub_f32_e32 v7, v22, v19
	v_pk_add_f32 v[4:5], v[4:5], v[12:13]
	v_mul_f32_e32 v7, v7, v18
	v_pk_add_f32 v[4:5], v[4:5], v[14:15]
	s_waitcnt lgkmcnt(2)
	v_sub_f32_e32 v6, v23, v6
	s_waitcnt lgkmcnt(1)
	v_mul_f32_e32 v19, v7, v21
	v_pk_add_f32 v[4:5], v[4:5], v[16:17]
	v_mul_f32_e32 v6, v6, v20
	v_pk_add_f32 v[4:5], v[4:5], v[18:19]
	s_waitcnt lgkmcnt(0)
	v_mul_f32_e32 v21, v6, v2
	v_pk_add_f32 v[26:27], v[4:5], v[20:21]
.LBB109_54:                             ;   in Loop: Header=BB109_55 Depth=1
	v_mov_b32_e32 v2, s9
	v_add_co_u32_e32 v28, vcc, s7, v28
	v_addc_co_u32_e32 v87, vcc, v87, v2, vcc
	v_mov_b32_e32 v2, s11
	v_add_co_u32_e32 v30, vcc, s10, v30
	v_addc_co_u32_e32 v31, vcc, v31, v2, vcc
	v_add_co_u32_e32 v32, vcc, s10, v32
	v_addc_co_u32_e32 v33, vcc, v33, v2, vcc
	;; [unrolled: 2-line block ×29, first 2 shown]
	s_add_u32 s18, s18, s7
	v_add_co_u32_e32 v88, vcc, s10, v88
	s_addc_u32 s19, s19, 0
	v_addc_co_u32_e32 v85, vcc, v85, v2, vcc
	v_pk_mov_b32 v[4:5], s[12:13], s[12:13] op_sel:[0,1]
	s_add_u32 s16, s16, s7
	v_cmp_ge_i64_e32 vcc, s[18:19], v[4:5]
	s_addc_u32 s17, s17, 0
	s_cbranch_vccnz .LBB109_81
.LBB109_55:                             ; =>This Inner Loop Header: Depth=1
	s_add_u32 s0, s34, s16
	s_addc_u32 s1, 0, s17
	v_pk_mov_b32 v[4:5], s[12:13], s[12:13] op_sel:[0,1]
	v_cmp_ge_i64_e32 vcc, s[0:1], v[4:5]
	v_mov_b32_e32 v2, s35
	v_add_co_u32_e64 v94, s[0:1], s34, v28
	v_mov_b32_e32 v92, v26
	v_mov_b32_e32 v93, v27
	v_addc_co_u32_e64 v95, s[0:1], v2, v87, s[0:1]
	s_cbranch_vccz .LBB109_77
; %bb.56:                               ;   in Loop: Header=BB109_55 Depth=1
	s_load_dword s0, s[2:3], 0xc
	v_mov_b32_e32 v26, 0
	v_mov_b32_e32 v27, 0
	s_waitcnt lgkmcnt(0)
	s_and_b32 s0, s0, 0xffff
	v_mad_u32_u24 v2, v89, s0, v96
	v_and_b32_e32 v2, 63, v2
	v_cmp_gt_u32_e32 vcc, 8, v2
	s_and_saveexec_b64 s[0:1], vcc
	s_cbranch_execz .LBB109_60
; %bb.57:                               ;   in Loop: Header=BB109_55 Depth=1
	v_add_co_u32_e32 v4, vcc, v94, v2
	v_addc_co_u32_e32 v5, vcc, 0, v95, vcc
	v_cmp_gt_i64_e32 vcc, s[12:13], v[4:5]
	v_mov_b32_e32 v27, 0
	v_mov_b32_e32 v26, 0
	s_and_saveexec_b64 s[22:23], vcc
	s_cbranch_execz .LBB109_59
; %bb.58:                               ;   in Loop: Header=BB109_55 Depth=1
	v_lshlrev_b64 v[4:5], 2, v[4:5]
	v_mov_b32_e32 v2, s31
	v_add_co_u32_e32 v6, vcc, s30, v4
	v_addc_co_u32_e32 v7, vcc, v2, v5, vcc
	v_mov_b32_e32 v2, s29
	v_add_co_u32_e32 v4, vcc, s28, v4
	v_addc_co_u32_e32 v5, vcc, v2, v5, vcc
	global_load_dword v27, v[4:5], off
	global_load_dword v26, v[6:7], off
.LBB109_59:                             ;   in Loop: Header=BB109_55 Depth=1
	s_or_b64 exec, exec, s[22:23]
.LBB109_60:                             ;   in Loop: Header=BB109_55 Depth=1
	s_or_b64 exec, exec, s[0:1]
	s_mov_b32 s21, s20
	s_mov_b32 s22, s20
	s_mov_b32 s23, s20
	s_mov_b32 s24, s20
	s_mov_b32 s25, s20
	s_mov_b32 s26, s20
	s_mov_b32 s27, s20
	v_pk_mov_b32 v[10:11], s[20:21], s[20:21] op_sel:[0,1]
	v_pk_mov_b32 v[16:17], s[26:27], s[26:27] op_sel:[0,1]
	;; [unrolled: 1-line block ×5, first 2 shown]
	v_cmp_gt_i64_e32 vcc, s[12:13], v[94:95]
	v_pk_mov_b32 v[22:23], v[14:15], v[14:15] op_sel:[0,1]
	v_pk_mov_b32 v[20:21], v[12:13], v[12:13] op_sel:[0,1]
	;; [unrolled: 1-line block ×3, first 2 shown]
	s_and_saveexec_b64 s[0:1], vcc
	s_cbranch_execz .LBB109_62
; %bb.61:                               ;   in Loop: Header=BB109_55 Depth=1
	v_add_co_u32_e32 v4, vcc, v44, v90
	v_addc_co_u32_e32 v5, vcc, v1, v91, vcc
	global_load_ushort v2, v[4:5], off
	v_add_co_u32_e32 v4, vcc, v60, v90
	v_addc_co_u32_e32 v5, vcc, v29, v91, vcc
	global_load_ushort v10, v[4:5], off
	v_mov_b32_e32 v8, v3
	v_mov_b32_e32 v9, v3
	;; [unrolled: 1-line block ×13, first 2 shown]
	s_waitcnt vmcnt(1)
	v_lshlrev_b32_e32 v2, 16, v2
	v_pk_mov_b32 v[24:25], v[8:9], v[8:9] op_sel:[0,1]
	v_pk_mov_b32 v[22:23], v[6:7], v[6:7] op_sel:[0,1]
	;; [unrolled: 1-line block ×4, first 2 shown]
	s_waitcnt vmcnt(0)
	v_lshlrev_b32_e32 v10, 16, v10
.LBB109_62:                             ;   in Loop: Header=BB109_55 Depth=1
	s_or_b64 exec, exec, s[0:1]
	v_add_co_u32_e32 v4, vcc, 1, v94
	v_addc_co_u32_e32 v5, vcc, 0, v95, vcc
	v_cmp_gt_i64_e32 vcc, s[12:13], v[4:5]
	s_and_saveexec_b64 s[0:1], vcc
	s_cbranch_execz .LBB109_64
; %bb.63:                               ;   in Loop: Header=BB109_55 Depth=1
	v_add_co_u32_e32 v4, vcc, v86, v90
	v_addc_co_u32_e32 v5, vcc, v83, v91, vcc
	global_load_ushort v2, v[4:5], off
	v_add_co_u32_e32 v4, vcc, v88, v90
	v_addc_co_u32_e32 v5, vcc, v85, v91, vcc
	global_load_ushort v4, v[4:5], off
	s_waitcnt vmcnt(1)
	v_lshlrev_b32_e32 v19, 16, v2
	s_waitcnt vmcnt(0)
	v_lshlrev_b32_e32 v11, 16, v4
.LBB109_64:                             ;   in Loop: Header=BB109_55 Depth=1
	s_or_b64 exec, exec, s[0:1]
	v_add_co_u32_e32 v4, vcc, 2, v94
	v_addc_co_u32_e32 v5, vcc, 0, v95, vcc
	v_cmp_gt_i64_e32 vcc, s[12:13], v[4:5]
	s_and_saveexec_b64 s[0:1], vcc
	s_cbranch_execz .LBB109_66
; %bb.65:                               ;   in Loop: Header=BB109_55 Depth=1
	v_add_co_u32_e32 v4, vcc, v82, v90
	v_addc_co_u32_e32 v5, vcc, v79, v91, vcc
	global_load_ushort v2, v[4:5], off
	v_add_co_u32_e32 v4, vcc, v84, v90
	v_addc_co_u32_e32 v5, vcc, v81, v91, vcc
	global_load_ushort v4, v[4:5], off
	s_waitcnt vmcnt(1)
	v_lshlrev_b32_e32 v20, 16, v2
	s_waitcnt vmcnt(0)
	v_lshlrev_b32_e32 v12, 16, v4
.LBB109_66:                             ;   in Loop: Header=BB109_55 Depth=1
	;; [unrolled: 18-line block ×7, first 2 shown]
	s_or_b64 exec, exec, s[0:1]
	s_waitcnt vmcnt(1)
	ds_bpermute_b32 v2, v97, v27
	s_waitcnt vmcnt(0)
	ds_bpermute_b32 v4, v97, v26
	ds_bpermute_b32 v7, v97, v27 offset:4
	ds_bpermute_b32 v6, v97, v26 offset:4
	;; [unrolled: 1-line block ×3, first 2 shown]
	s_waitcnt lgkmcnt(4)
	v_sub_f32_e32 v2, v10, v2
	v_mul_f32_e32 v2, v18, v2
	s_waitcnt lgkmcnt(3)
	v_mul_f32_e32 v5, v2, v4
	ds_bpermute_b32 v4, v97, v26 offset:8
	s_waitcnt lgkmcnt(3)
	v_sub_f32_e32 v2, v11, v7
	v_mul_f32_e32 v2, v19, v2
	s_waitcnt lgkmcnt(2)
	v_mul_f32_e32 v7, v2, v6
	s_waitcnt lgkmcnt(1)
	v_sub_f32_e32 v2, v12, v8
	ds_bpermute_b32 v6, v97, v27 offset:12
	v_mul_f32_e32 v2, v20, v2
	s_waitcnt lgkmcnt(1)
	v_mul_f32_e32 v9, v2, v4
	ds_bpermute_b32 v2, v97, v26 offset:12
	ds_bpermute_b32 v4, v97, v27 offset:16
	ds_bpermute_b32 v8, v97, v26 offset:16
	s_waitcnt lgkmcnt(3)
	v_sub_f32_e32 v6, v13, v6
	v_mul_f32_e32 v6, v21, v6
	s_waitcnt lgkmcnt(2)
	v_mul_f32_e32 v11, v6, v2
	s_waitcnt lgkmcnt(1)
	v_sub_f32_e32 v2, v14, v4
	ds_bpermute_b32 v4, v97, v27 offset:20
	v_mul_f32_e32 v2, v22, v2
	s_waitcnt lgkmcnt(1)
	v_mul_f32_e32 v13, v2, v8
	ds_bpermute_b32 v2, v97, v26 offset:20
	ds_bpermute_b32 v6, v97, v27 offset:24
	;; [unrolled: 1-line block ×3, first 2 shown]
	s_waitcnt lgkmcnt(3)
	v_sub_f32_e32 v4, v15, v4
	v_mul_f32_e32 v4, v23, v4
	s_waitcnt lgkmcnt(2)
	v_mul_f32_e32 v15, v4, v2
	s_waitcnt lgkmcnt(1)
	v_sub_f32_e32 v2, v16, v6
	v_mul_f32_e32 v2, v24, v2
	s_waitcnt lgkmcnt(0)
	v_mul_f32_e32 v99, v2, v8
	v_mov_b32_e32 v4, v18
	ds_bpermute_b32 v2, v97, v27 offset:28
	v_pk_add_f32 v[4:5], v[92:93], v[4:5]
	v_mov_b32_e32 v6, v19
	v_pk_add_f32 v[4:5], v[6:7], v[4:5]
	v_mov_b32_e32 v8, v20
	ds_bpermute_b32 v6, v97, v26 offset:28
	v_pk_add_f32 v[4:5], v[8:9], v[4:5]
	v_mov_b32_e32 v10, v21
	v_pk_add_f32 v[4:5], v[10:11], v[4:5]
	v_mov_b32_e32 v12, v22
	;; [unrolled: 2-line block ×3, first 2 shown]
	s_waitcnt lgkmcnt(1)
	v_sub_f32_e32 v2, v17, v2
	v_pk_add_f32 v[4:5], v[14:15], v[4:5]
	v_mov_b32_e32 v98, v24
	v_mul_f32_e32 v2, v25, v2
	v_pk_add_f32 v[4:5], v[98:99], v[4:5]
	s_waitcnt lgkmcnt(0)
	v_mul_f32_e32 v7, v2, v6
	v_mov_b32_e32 v6, v25
	v_pk_add_f32 v[26:27], v[6:7], v[4:5]
	s_branch .LBB109_54
.LBB109_77:                             ;   in Loop: Header=BB109_55 Depth=1
                                        ; implicit-def: $vgpr27
	s_cbranch_execz .LBB109_54
; %bb.78:                               ;   in Loop: Header=BB109_55 Depth=1
	s_load_dword s0, s[2:3], 0x0
	v_mov_b32_e32 v2, 0
	v_mov_b32_e32 v6, 0
	s_waitcnt lgkmcnt(0)
	s_cmp_lt_u32 s6, s0
	s_cselect_b32 s0, 12, 18
	s_add_u32 s0, s2, s0
	s_addc_u32 s1, s3, 0
	global_load_ushort v4, v3, s[0:1]
	s_waitcnt vmcnt(0)
	v_mad_u32_u24 v4, v89, v4, v96
	v_and_b32_e32 v4, 63, v4
	v_cmp_gt_u32_e32 vcc, 8, v4
	s_and_saveexec_b64 s[0:1], vcc
	s_cbranch_execz .LBB109_53
; %bb.79:                               ;   in Loop: Header=BB109_55 Depth=1
	v_add_co_u32_e32 v4, vcc, v94, v4
	v_addc_co_u32_e32 v5, vcc, 0, v95, vcc
	v_cmp_gt_i64_e32 vcc, s[12:13], v[4:5]
	v_mov_b32_e32 v6, 0
	v_mov_b32_e32 v2, 0
	s_and_saveexec_b64 s[22:23], vcc
	s_cbranch_execz .LBB109_52
; %bb.80:                               ;   in Loop: Header=BB109_55 Depth=1
	v_lshlrev_b64 v[4:5], 2, v[4:5]
	v_mov_b32_e32 v2, s31
	v_add_co_u32_e32 v8, vcc, s30, v4
	v_addc_co_u32_e32 v9, vcc, v2, v5, vcc
	v_mov_b32_e32 v2, s29
	v_add_co_u32_e32 v4, vcc, s28, v4
	v_addc_co_u32_e32 v5, vcc, v2, v5, vcc
	global_load_dword v6, v[4:5], off
	global_load_dword v2, v[8:9], off
	s_branch .LBB109_52
.LBB109_81:
	s_mov_b32 s7, 0
	s_lshl_b64 s[0:1], s[6:7], 5
	v_and_b32_e32 v1, 0x3ff, v0
	v_or_b32_e32 v4, s0, v1
	v_mov_b32_e32 v5, s1
	v_cmp_gt_i64_e32 vcc, s[14:15], v[4:5]
	s_and_saveexec_b64 s[0:1], vcc
	s_cbranch_execz .LBB109_86
; %bb.82:
	s_load_dword s6, s[4:5], 0x4c
	s_load_dwordx4 s[0:3], s[4:5], 0x30
	v_bfe_u32 v0, v0, 10, 10
	v_mov_b32_e32 v1, 0
	v_mov_b32_e32 v2, s8
	s_waitcnt lgkmcnt(0)
	s_lshr_b32 s4, s6, 16
	v_mad_u64_u32 v[2:3], s[4:5], s4, v2, v[0:1]
	s_cmp_eq_u64 s[0:1], 0
	v_mul_lo_u32 v3, v3, s14
	v_mul_lo_u32 v6, v2, s15
	v_lshlrev_b64 v[0:1], 1, v[4:5]
	s_cbranch_scc1 .LBB109_84
; %bb.83:
	v_bfe_u32 v4, v27, 16, 1
	s_movk_i32 s4, 0x7fff
	v_add3_u32 v4, v27, v4, s4
	v_lshrrev_b32_e32 v4, 16, v4
	v_mov_b32_e32 v5, 0x7fc0
	v_cmp_o_f32_e32 vcc, v27, v27
	v_cndmask_b32_e32 v7, v5, v4, vcc
	v_mad_u64_u32 v[4:5], s[4:5], v2, s14, 0
	v_add3_u32 v5, v5, v6, v3
	v_lshlrev_b64 v[4:5], 1, v[4:5]
	v_mov_b32_e32 v8, s1
	v_add_co_u32_e32 v4, vcc, s0, v4
	v_addc_co_u32_e32 v5, vcc, v8, v5, vcc
	v_add_co_u32_e32 v4, vcc, v4, v0
	v_addc_co_u32_e32 v5, vcc, v5, v1, vcc
	global_store_short v[4:5], v7, off
.LBB109_84:
	s_cmp_eq_u64 s[2:3], 0
	s_cbranch_scc1 .LBB109_86
; %bb.85:
	v_bfe_u32 v4, v26, 16, 1
	s_movk_i32 s0, 0x7fff
	v_add3_u32 v4, v26, v4, s0
	v_lshrrev_b32_e32 v4, 16, v4
	v_mov_b32_e32 v5, 0x7fc0
	v_cmp_o_f32_e32 vcc, v26, v26
	v_cndmask_b32_e32 v7, v5, v4, vcc
	v_mad_u64_u32 v[4:5], s[0:1], v2, s14, 0
	v_add3_u32 v5, v5, v6, v3
	v_lshlrev_b64 v[2:3], 1, v[4:5]
	v_mov_b32_e32 v4, s3
	v_add_co_u32_e32 v2, vcc, s2, v2
	v_addc_co_u32_e32 v3, vcc, v4, v3, vcc
	v_add_co_u32_e32 v0, vcc, v2, v0
	v_addc_co_u32_e32 v1, vcc, v3, v1, vcc
	global_store_short v[0:1], v7, off
.LBB109_86:
	s_endpgm
	.section	.rodata,"a",@progbits
	.p2align	6, 0x0
	.amdhsa_kernel _ZN2at6native12_GLOBAL__N_135GammaBetaBackwardCUDAKernelTemplateIN3c108BFloat16EfLj32ELj1ELj8ELb1ELb0ELb0EEEvllPKT_S7_PKT0_SA_PS5_SB_
		.amdhsa_group_segment_fixed_size 0
		.amdhsa_private_segment_fixed_size 0
		.amdhsa_kernarg_size 320
		.amdhsa_user_sgpr_count 6
		.amdhsa_user_sgpr_private_segment_buffer 1
		.amdhsa_user_sgpr_dispatch_ptr 0
		.amdhsa_user_sgpr_queue_ptr 0
		.amdhsa_user_sgpr_kernarg_segment_ptr 1
		.amdhsa_user_sgpr_dispatch_id 0
		.amdhsa_user_sgpr_flat_scratch_init 0
		.amdhsa_user_sgpr_kernarg_preload_length 0
		.amdhsa_user_sgpr_kernarg_preload_offset 0
		.amdhsa_user_sgpr_private_segment_size 0
		.amdhsa_uses_dynamic_stack 0
		.amdhsa_system_sgpr_private_segment_wavefront_offset 0
		.amdhsa_system_sgpr_workgroup_id_x 1
		.amdhsa_system_sgpr_workgroup_id_y 1
		.amdhsa_system_sgpr_workgroup_id_z 0
		.amdhsa_system_sgpr_workgroup_info 0
		.amdhsa_system_vgpr_workitem_id 1
		.amdhsa_next_free_vgpr 100
		.amdhsa_next_free_sgpr 46
		.amdhsa_accum_offset 100
		.amdhsa_reserve_vcc 1
		.amdhsa_reserve_flat_scratch 0
		.amdhsa_float_round_mode_32 0
		.amdhsa_float_round_mode_16_64 0
		.amdhsa_float_denorm_mode_32 3
		.amdhsa_float_denorm_mode_16_64 3
		.amdhsa_dx10_clamp 1
		.amdhsa_ieee_mode 1
		.amdhsa_fp16_overflow 0
		.amdhsa_tg_split 0
		.amdhsa_exception_fp_ieee_invalid_op 0
		.amdhsa_exception_fp_denorm_src 0
		.amdhsa_exception_fp_ieee_div_zero 0
		.amdhsa_exception_fp_ieee_overflow 0
		.amdhsa_exception_fp_ieee_underflow 0
		.amdhsa_exception_fp_ieee_inexact 0
		.amdhsa_exception_int_div_zero 0
	.end_amdhsa_kernel
	.section	.text._ZN2at6native12_GLOBAL__N_135GammaBetaBackwardCUDAKernelTemplateIN3c108BFloat16EfLj32ELj1ELj8ELb1ELb0ELb0EEEvllPKT_S7_PKT0_SA_PS5_SB_,"axG",@progbits,_ZN2at6native12_GLOBAL__N_135GammaBetaBackwardCUDAKernelTemplateIN3c108BFloat16EfLj32ELj1ELj8ELb1ELb0ELb0EEEvllPKT_S7_PKT0_SA_PS5_SB_,comdat
.Lfunc_end109:
	.size	_ZN2at6native12_GLOBAL__N_135GammaBetaBackwardCUDAKernelTemplateIN3c108BFloat16EfLj32ELj1ELj8ELb1ELb0ELb0EEEvllPKT_S7_PKT0_SA_PS5_SB_, .Lfunc_end109-_ZN2at6native12_GLOBAL__N_135GammaBetaBackwardCUDAKernelTemplateIN3c108BFloat16EfLj32ELj1ELj8ELb1ELb0ELb0EEEvllPKT_S7_PKT0_SA_PS5_SB_
                                        ; -- End function
	.section	.AMDGPU.csdata,"",@progbits
; Kernel info:
; codeLenInByte = 7476
; NumSgprs: 50
; NumVgprs: 100
; NumAgprs: 0
; TotalNumVgprs: 100
; ScratchSize: 0
; MemoryBound: 0
; FloatMode: 240
; IeeeMode: 1
; LDSByteSize: 0 bytes/workgroup (compile time only)
; SGPRBlocks: 6
; VGPRBlocks: 12
; NumSGPRsForWavesPerEU: 50
; NumVGPRsForWavesPerEU: 100
; AccumOffset: 100
; Occupancy: 4
; WaveLimiterHint : 0
; COMPUTE_PGM_RSRC2:SCRATCH_EN: 0
; COMPUTE_PGM_RSRC2:USER_SGPR: 6
; COMPUTE_PGM_RSRC2:TRAP_HANDLER: 0
; COMPUTE_PGM_RSRC2:TGID_X_EN: 1
; COMPUTE_PGM_RSRC2:TGID_Y_EN: 1
; COMPUTE_PGM_RSRC2:TGID_Z_EN: 0
; COMPUTE_PGM_RSRC2:TIDIG_COMP_CNT: 1
; COMPUTE_PGM_RSRC3_GFX90A:ACCUM_OFFSET: 24
; COMPUTE_PGM_RSRC3_GFX90A:TG_SPLIT: 0
	.section	.text._ZN2at6native12_GLOBAL__N_135GammaBetaBackwardCUDAKernelTemplateIN3c108BFloat16EfLj32ELj8ELj64ELb0ELb1ELb0EEEvllPKT_S7_PKT0_SA_PS5_SB_,"axG",@progbits,_ZN2at6native12_GLOBAL__N_135GammaBetaBackwardCUDAKernelTemplateIN3c108BFloat16EfLj32ELj8ELj64ELb0ELb1ELb0EEEvllPKT_S7_PKT0_SA_PS5_SB_,comdat
	.globl	_ZN2at6native12_GLOBAL__N_135GammaBetaBackwardCUDAKernelTemplateIN3c108BFloat16EfLj32ELj8ELj64ELb0ELb1ELb0EEEvllPKT_S7_PKT0_SA_PS5_SB_ ; -- Begin function _ZN2at6native12_GLOBAL__N_135GammaBetaBackwardCUDAKernelTemplateIN3c108BFloat16EfLj32ELj8ELj64ELb0ELb1ELb0EEEvllPKT_S7_PKT0_SA_PS5_SB_
	.p2align	8
	.type	_ZN2at6native12_GLOBAL__N_135GammaBetaBackwardCUDAKernelTemplateIN3c108BFloat16EfLj32ELj8ELj64ELb0ELb1ELb0EEEvllPKT_S7_PKT0_SA_PS5_SB_,@function
_ZN2at6native12_GLOBAL__N_135GammaBetaBackwardCUDAKernelTemplateIN3c108BFloat16EfLj32ELj8ELj64ELb0ELb1ELb0EEEvllPKT_S7_PKT0_SA_PS5_SB_: ; @_ZN2at6native12_GLOBAL__N_135GammaBetaBackwardCUDAKernelTemplateIN3c108BFloat16EfLj32ELj8ELj64ELb0ELb1ELb0EEEvllPKT_S7_PKT0_SA_PS5_SB_
; %bb.0:
	s_load_dwordx4 s[20:23], s[4:5], 0x0
	s_lshl_b32 s2, s7, 6
	s_mov_b32 s3, 0
	v_bfe_u32 v12, v0, 10, 10
	s_waitcnt lgkmcnt(0)
	v_pk_mov_b32 v[2:3], s[20:21], s[20:21] op_sel:[0,1]
	v_cmp_lt_i64_e32 vcc, s[2:3], v[2:3]
	s_cbranch_vccnz .LBB110_2
; %bb.1:
	s_mov_b64 s[0:1], 0
	v_bfe_u32 v2, v0, 10, 10
	s_branch .LBB110_3
.LBB110_2:
	s_mov_b64 s[0:1], -1
                                        ; implicit-def: $vgpr2
.LBB110_3:
	s_load_dwordx4 s[16:19], s[4:5], 0x30
	v_and_b32_e32 v10, 0x3ff, v0
	s_andn2_b64 vcc, exec, s[0:1]
	v_mov_b32_e32 v1, s3
	v_mbcnt_lo_u32_b32 v11, -1, 0
	v_mov_b32_e32 v0, s3
	s_cbranch_vccnz .LBB110_11
; %bb.4:
	s_load_dword s0, s[4:5], 0x4c
	s_load_dword s7, s[4:5], 0x44
	s_load_dwordx8 s[8:15], s[4:5], 0x10
	v_mbcnt_hi_u32_b32 v4, -1, v11
	v_lshlrev_b32_e32 v2, 3, v12
	s_waitcnt lgkmcnt(0)
	s_and_b32 s0, s0, 0xffff
	v_lshlrev_b32_e32 v4, 2, v4
	v_mad_u32_u24 v0, v12, s0, v10
	v_and_b32_e32 v13, 0x100, v4
	v_mov_b32_e32 v4, s3
	v_add_co_u32_e32 v6, vcc, s2, v2
	v_and_b32_e32 v3, 63, v0
	v_addc_co_u32_e32 v7, vcc, 0, v4, vcc
	v_add_co_u32_e32 v2, vcc, v6, v3
	v_cmp_gt_u32_e64 s[0:1], 8, v3
	s_lshl_b32 s4, s7, 6
	v_addc_co_u32_e32 v3, vcc, 0, v7, vcc
	v_mul_lo_u32 v8, s23, v6
	v_mul_lo_u32 v9, s22, v7
	v_mad_u64_u32 v[6:7], s[26:27], s22, v6, 0
	v_mov_b32_e32 v1, 0
	v_lshl_add_u32 v0, s6, 5, v10
	v_add3_u32 v7, v7, v9, v8
	s_mul_i32 s7, s23, s4
	s_mul_hi_u32 s26, s22, s4
	s_mov_b32 s5, 0
	v_lshlrev_b64 v[6:7], 1, v[6:7]
	v_lshlrev_b64 v[8:9], 1, v[0:1]
	s_add_i32 s27, s26, s7
	s_mul_i32 s26, s22, s4
	s_lshl_b64 s[24:25], s[4:5], 2
	v_add_co_u32_e32 v6, vcc, v6, v8
	s_lshl_b64 s[26:27], s[26:27], 1
	s_lshl_b64 s[22:23], s[22:23], 1
	v_or_b32_e32 v14, 4, v13
	v_or_b32_e32 v15, 8, v13
	;; [unrolled: 1-line block ×7, first 2 shown]
	v_lshlrev_b64 v[4:5], 2, v[2:3]
	v_addc_co_u32_e32 v7, vcc, v7, v9, vcc
	v_mov_b32_e32 v21, s9
	v_mov_b32_e32 v22, s11
	;; [unrolled: 1-line block ×6, first 2 shown]
	v_pk_mov_b32 v[8:9], s[20:21], s[20:21] op_sel:[0,1]
	v_mov_b32_e32 v0, v1
	s_branch .LBB110_7
.LBB110_5:                              ;   in Loop: Header=BB110_7 Depth=1
	s_or_b64 exec, exec, s[30:31]
.LBB110_6:                              ;   in Loop: Header=BB110_7 Depth=1
	s_or_b64 exec, exec, s[28:29]
	v_add_co_u32_e32 v30, vcc, s8, v6
	v_addc_co_u32_e32 v31, vcc, v21, v7, vcc
	v_add_co_u32_e32 v32, vcc, s10, v6
	v_addc_co_u32_e32 v33, vcc, v22, v7, vcc
	global_load_ushort v29, v[30:31], off
	v_add_co_u32_e32 v30, vcc, s22, v30
	v_addc_co_u32_e32 v31, vcc, v31, v23, vcc
	global_load_ushort v34, v[32:33], off
	v_add_co_u32_e32 v32, vcc, s22, v32
	v_addc_co_u32_e32 v33, vcc, v33, v23, vcc
	global_load_ushort v35, v[30:31], off
	v_add_co_u32_e32 v30, vcc, s22, v30
	v_addc_co_u32_e32 v31, vcc, v31, v23, vcc
	global_load_ushort v36, v[32:33], off
	v_add_co_u32_e32 v32, vcc, s22, v32
	v_addc_co_u32_e32 v33, vcc, v33, v23, vcc
	global_load_ushort v37, v[30:31], off
	v_add_co_u32_e32 v30, vcc, s22, v30
	v_addc_co_u32_e32 v31, vcc, v31, v23, vcc
	global_load_ushort v38, v[32:33], off
	v_add_co_u32_e32 v32, vcc, s22, v32
	v_addc_co_u32_e32 v33, vcc, v33, v23, vcc
	global_load_ushort v39, v[30:31], off
	v_add_co_u32_e32 v30, vcc, s22, v30
	v_addc_co_u32_e32 v31, vcc, v31, v23, vcc
	global_load_ushort v40, v[32:33], off
	v_add_co_u32_e32 v32, vcc, s22, v32
	v_addc_co_u32_e32 v33, vcc, v33, v23, vcc
	global_load_ushort v41, v[30:31], off
	v_add_co_u32_e32 v30, vcc, s22, v30
	v_addc_co_u32_e32 v31, vcc, v31, v23, vcc
	global_load_ushort v42, v[32:33], off
	v_add_co_u32_e32 v32, vcc, s22, v32
	v_addc_co_u32_e32 v33, vcc, v33, v23, vcc
	global_load_ushort v43, v[30:31], off
	v_add_co_u32_e32 v30, vcc, s22, v30
	v_addc_co_u32_e32 v31, vcc, v31, v23, vcc
	global_load_ushort v44, v[32:33], off
	v_add_co_u32_e32 v32, vcc, s22, v32
	v_addc_co_u32_e32 v33, vcc, v33, v23, vcc
	global_load_ushort v45, v[30:31], off
	global_load_ushort v46, v[32:33], off
	v_add_co_u32_e32 v30, vcc, s22, v30
	v_addc_co_u32_e32 v31, vcc, v31, v23, vcc
	global_load_ushort v47, v[30:31], off
	v_add_co_u32_e32 v30, vcc, s22, v32
	v_addc_co_u32_e32 v31, vcc, v33, v23, vcc
	;; [unrolled: 3-line block ×3, first 2 shown]
	v_add_co_u32_e32 v2, vcc, s4, v2
	v_addc_co_u32_e32 v3, vcc, v3, v25, vcc
	s_waitcnt vmcnt(15)
	v_lshlrev_b32_e32 v30, 16, v29
	s_add_u32 s2, s2, s4
	v_add_co_u32_e32 v6, vcc, s26, v6
	s_addc_u32 s3, s3, 0
	s_waitcnt vmcnt(14)
	v_lshlrev_b32_e32 v29, 16, v34
	v_addc_co_u32_e32 v7, vcc, v7, v26, vcc
	v_cmp_lt_i64_e32 vcc, s[2:3], v[8:9]
	s_and_b64 vcc, exec, vcc
	s_waitcnt vmcnt(13)
	v_lshlrev_b32_e32 v32, 16, v35
	s_waitcnt vmcnt(12)
	v_lshlrev_b32_e32 v33, 16, v36
	;; [unrolled: 2-line block ×9, first 2 shown]
	ds_bpermute_b32 v43, v13, v28
	s_waitcnt vmcnt(4)
	v_lshlrev_b32_e32 v41, 16, v44
	s_waitcnt lgkmcnt(0)
	v_sub_f32_e32 v29, v29, v43
	ds_bpermute_b32 v43, v14, v28
	v_mul_f32_e32 v29, v29, v30
	s_waitcnt vmcnt(3)
	v_lshlrev_b32_e32 v42, 16, v45
	s_waitcnt vmcnt(2)
	v_lshlrev_b32_e32 v45, 16, v46
	ds_bpermute_b32 v46, v13, v27
	s_waitcnt lgkmcnt(1)
	v_sub_f32_e32 v33, v33, v43
	ds_bpermute_b32 v43, v15, v27
	v_mul_f32_e32 v33, v33, v32
	s_waitcnt vmcnt(1)
	v_lshlrev_b32_e32 v44, 16, v47
	s_waitcnt vmcnt(0)
	v_lshlrev_b32_e32 v47, 16, v31
	s_waitcnt lgkmcnt(1)
	v_mul_f32_e32 v31, v29, v46
	ds_bpermute_b32 v29, v14, v27
	ds_bpermute_b32 v46, v15, v28
	v_pk_add_f32 v[0:1], v[0:1], v[30:31]
	s_waitcnt lgkmcnt(1)
	v_mul_f32_e32 v33, v33, v29
	s_waitcnt lgkmcnt(0)
	v_sub_f32_e32 v29, v35, v46
	ds_bpermute_b32 v46, v16, v28
	v_mul_f32_e32 v29, v29, v34
	v_mul_f32_e32 v35, v29, v43
	ds_bpermute_b32 v29, v16, v27
	ds_bpermute_b32 v43, v17, v28
	s_waitcnt lgkmcnt(2)
	v_sub_f32_e32 v37, v37, v46
	ds_bpermute_b32 v46, v17, v27
	v_mul_f32_e32 v37, v37, v36
	s_waitcnt lgkmcnt(2)
	v_mul_f32_e32 v37, v37, v29
	s_waitcnt lgkmcnt(1)
	v_sub_f32_e32 v29, v39, v43
	ds_bpermute_b32 v43, v18, v28
	v_mul_f32_e32 v29, v29, v38
	s_waitcnt lgkmcnt(1)
	v_mul_f32_e32 v39, v29, v46
	ds_bpermute_b32 v29, v18, v27
	ds_bpermute_b32 v46, v19, v28
	;; [unrolled: 1-line block ×3, first 2 shown]
	s_waitcnt lgkmcnt(3)
	v_sub_f32_e32 v41, v41, v43
	ds_bpermute_b32 v43, v19, v27
	v_pk_add_f32 v[0:1], v[0:1], v[32:33]
	ds_bpermute_b32 v27, v20, v27
	v_mul_f32_e32 v41, v41, v40
	v_pk_add_f32 v[0:1], v[0:1], v[34:35]
	s_waitcnt lgkmcnt(4)
	v_mul_f32_e32 v41, v41, v29
	s_waitcnt lgkmcnt(3)
	v_sub_f32_e32 v29, v45, v46
	v_pk_add_f32 v[0:1], v[0:1], v[36:37]
	v_mul_f32_e32 v29, v29, v42
	v_pk_add_f32 v[0:1], v[0:1], v[38:39]
	s_waitcnt lgkmcnt(2)
	v_sub_f32_e32 v28, v47, v28
	s_waitcnt lgkmcnt(1)
	v_mul_f32_e32 v43, v29, v43
	v_pk_add_f32 v[0:1], v[0:1], v[40:41]
	v_mul_f32_e32 v28, v28, v44
	v_pk_add_f32 v[0:1], v[0:1], v[42:43]
	s_waitcnt lgkmcnt(0)
	v_mul_f32_e32 v45, v28, v27
	v_pk_add_f32 v[0:1], v[0:1], v[44:45]
	s_cbranch_vccz .LBB110_10
.LBB110_7:                              ; =>This Inner Loop Header: Depth=1
	v_mov_b32_e32 v27, 0
	v_mov_b32_e32 v28, 0
	s_and_saveexec_b64 s[28:29], s[0:1]
	s_cbranch_execz .LBB110_6
; %bb.8:                                ;   in Loop: Header=BB110_7 Depth=1
	v_cmp_gt_i64_e32 vcc, s[20:21], v[2:3]
	v_mov_b32_e32 v28, 0
	v_mov_b32_e32 v27, 0
	s_and_saveexec_b64 s[30:31], vcc
	s_cbranch_execz .LBB110_5
; %bb.9:                                ;   in Loop: Header=BB110_7 Depth=1
	v_mov_b32_e32 v27, s15
	v_add_co_u32_e32 v30, vcc, s14, v4
	v_addc_co_u32_e32 v31, vcc, v27, v5, vcc
	v_mov_b32_e32 v27, s13
	v_add_co_u32_e32 v32, vcc, s12, v4
	v_addc_co_u32_e32 v33, vcc, v27, v5, vcc
	global_load_dword v28, v[32:33], off
	global_load_dword v27, v[30:31], off
	s_branch .LBB110_5
.LBB110_10:
	v_mov_b32_e32 v2, v12
.LBB110_11:
	v_mad_u32_u24 v3, v2, 33, v10
	v_lshl_add_u32 v4, v3, 2, 0
	ds_write_b32 v4, v1
	ds_write_b32 v4, v0 offset:1056
	v_sub_u32_e32 v0, v3, v2
	s_movk_i32 s0, 0x800
	s_mov_b32 s7, 0
	v_cmp_gt_u32_e32 vcc, s0, v0
	s_waitcnt lgkmcnt(0)
	s_barrier
	s_and_saveexec_b64 s[0:1], vcc
	s_cbranch_execz .LBB110_21
; %bb.12:
	v_lshrrev_b32_e32 v4, 6, v0
	v_and_b32_e32 v5, 63, v0
	v_mbcnt_hi_u32_b32 v0, -1, v11
	v_and_b32_e32 v1, 64, v0
	v_add_u32_e32 v1, 64, v1
	v_xor_b32_e32 v2, 4, v0
	v_cmp_lt_i32_e32 vcc, v2, v1
	v_cndmask_b32_e32 v2, v0, v2, vcc
	v_lshlrev_b32_e32 v6, 2, v2
	v_xor_b32_e32 v2, 2, v0
	v_cmp_lt_i32_e32 vcc, v2, v1
	v_cndmask_b32_e32 v2, v0, v2, vcc
	v_lshlrev_b32_e32 v7, 2, v2
	v_xor_b32_e32 v2, 1, v0
	s_cmp_lg_u64 s[16:17], 0
	v_cmp_lt_i32_e32 vcc, v2, v1
	s_cselect_b64 s[4:5], -1, 0
	s_cmp_lg_u64 s[18:19], 0
	v_cndmask_b32_e32 v0, v0, v2, vcc
	s_cselect_b64 s[10:11], -1, 0
	v_lshlrev_b32_e32 v8, 2, v0
	s_lshl_b64 s[6:7], s[6:7], 6
	v_lshlrev_b32_e32 v0, 1, v4
	v_mov_b32_e32 v1, s7
	v_add_co_u32_e32 v2, vcc, s6, v0
	v_addc_co_u32_e32 v3, vcc, 0, v1, vcc
	v_mov_b32_e32 v1, s19
	v_add_co_u32_e32 v0, vcc, s18, v2
	v_addc_co_u32_e32 v1, vcc, v1, v3, vcc
	v_cmp_eq_u32_e64 s[2:3], 0, v10
	v_add_u32_e32 v9, -4, v4
	v_mov_b32_e32 v10, s17
	v_add_co_u32_e32 v2, vcc, s16, v2
	v_mad_u32_u24 v4, v5, 33, v4
	v_addc_co_u32_e32 v3, vcc, v10, v3, vcc
	v_lshl_add_u32 v10, v4, 2, 0
	v_cndmask_b32_e64 v4, 0, 1, s[4:5]
	v_cmp_ne_u32_e64 s[4:5], 1, v4
	v_cndmask_b32_e64 v4, 0, 1, s[10:11]
	v_cmp_gt_u32_e64 s[0:1], 8, v5
	s_mov_b64 s[8:9], 0
	s_movk_i32 s12, 0x7fff
	v_cmp_ne_u32_e64 s[6:7], 1, v4
	v_mov_b32_e32 v11, 0x7fc0
                                        ; implicit-def: $vgpr4
	s_branch .LBB110_14
.LBB110_13:                             ;   in Loop: Header=BB110_14 Depth=1
	s_or_b64 exec, exec, s[10:11]
	v_add_co_u32_e32 v0, vcc, 8, v0
	v_addc_co_u32_e32 v1, vcc, 0, v1, vcc
	v_add_co_u32_e32 v2, vcc, 8, v2
	v_add_u32_e32 v9, 4, v9
	v_addc_co_u32_e32 v3, vcc, 0, v3, vcc
	v_cmp_lt_u32_e32 vcc, 27, v9
	s_or_b64 s[8:9], vcc, s[8:9]
	v_add_u32_e32 v10, 16, v10
	s_andn2_b64 exec, exec, s[8:9]
	s_cbranch_execz .LBB110_21
.LBB110_14:                             ; =>This Inner Loop Header: Depth=1
	s_and_saveexec_b64 s[10:11], s[0:1]
	s_cbranch_execz .LBB110_16
; %bb.15:                               ;   in Loop: Header=BB110_14 Depth=1
	ds_read_b32 v5, v10
	ds_read_b32 v4, v10 offset:1056
.LBB110_16:                             ;   in Loop: Header=BB110_14 Depth=1
	s_or_b64 exec, exec, s[10:11]
	s_waitcnt lgkmcnt(1)
	ds_bpermute_b32 v13, v6, v5
	s_waitcnt lgkmcnt(1)
	ds_bpermute_b32 v12, v6, v4
	s_waitcnt lgkmcnt(0)
	v_pk_add_f32 v[4:5], v[4:5], v[12:13]
	ds_bpermute_b32 v13, v7, v5
	ds_bpermute_b32 v12, v7, v4
	s_waitcnt lgkmcnt(0)
	v_pk_add_f32 v[4:5], v[4:5], v[12:13]
	ds_bpermute_b32 v13, v8, v5
	ds_bpermute_b32 v12, v8, v4
	s_waitcnt lgkmcnt(0)
	v_pk_add_f32 v[4:5], v[4:5], v[12:13]
	s_and_saveexec_b64 s[10:11], s[2:3]
	s_cbranch_execz .LBB110_13
; %bb.17:                               ;   in Loop: Header=BB110_14 Depth=1
	s_and_b64 vcc, exec, s[4:5]
	s_cbranch_vccnz .LBB110_19
; %bb.18:                               ;   in Loop: Header=BB110_14 Depth=1
	v_bfe_u32 v12, v5, 16, 1
	v_add3_u32 v12, v5, v12, s12
	v_lshrrev_b32_e32 v12, 16, v12
	v_cmp_o_f32_e32 vcc, v5, v5
	v_cndmask_b32_e32 v12, v11, v12, vcc
	global_store_short v[2:3], v12, off
.LBB110_19:                             ;   in Loop: Header=BB110_14 Depth=1
	s_and_b64 vcc, exec, s[6:7]
	s_cbranch_vccnz .LBB110_13
; %bb.20:                               ;   in Loop: Header=BB110_14 Depth=1
	v_bfe_u32 v12, v4, 16, 1
	v_add3_u32 v12, v4, v12, s12
	v_lshrrev_b32_e32 v12, 16, v12
	v_cmp_o_f32_e32 vcc, v4, v4
	v_cndmask_b32_e32 v12, v11, v12, vcc
	global_store_short v[0:1], v12, off
	s_branch .LBB110_13
.LBB110_21:
	s_endpgm
	.section	.rodata,"a",@progbits
	.p2align	6, 0x0
	.amdhsa_kernel _ZN2at6native12_GLOBAL__N_135GammaBetaBackwardCUDAKernelTemplateIN3c108BFloat16EfLj32ELj8ELj64ELb0ELb1ELb0EEEvllPKT_S7_PKT0_SA_PS5_SB_
		.amdhsa_group_segment_fixed_size 0
		.amdhsa_private_segment_fixed_size 0
		.amdhsa_kernarg_size 320
		.amdhsa_user_sgpr_count 6
		.amdhsa_user_sgpr_private_segment_buffer 1
		.amdhsa_user_sgpr_dispatch_ptr 0
		.amdhsa_user_sgpr_queue_ptr 0
		.amdhsa_user_sgpr_kernarg_segment_ptr 1
		.amdhsa_user_sgpr_dispatch_id 0
		.amdhsa_user_sgpr_flat_scratch_init 0
		.amdhsa_user_sgpr_kernarg_preload_length 0
		.amdhsa_user_sgpr_kernarg_preload_offset 0
		.amdhsa_user_sgpr_private_segment_size 0
		.amdhsa_uses_dynamic_stack 0
		.amdhsa_system_sgpr_private_segment_wavefront_offset 0
		.amdhsa_system_sgpr_workgroup_id_x 1
		.amdhsa_system_sgpr_workgroup_id_y 1
		.amdhsa_system_sgpr_workgroup_id_z 0
		.amdhsa_system_sgpr_workgroup_info 0
		.amdhsa_system_vgpr_workitem_id 1
		.amdhsa_next_free_vgpr 48
		.amdhsa_next_free_sgpr 32
		.amdhsa_accum_offset 48
		.amdhsa_reserve_vcc 1
		.amdhsa_reserve_flat_scratch 0
		.amdhsa_float_round_mode_32 0
		.amdhsa_float_round_mode_16_64 0
		.amdhsa_float_denorm_mode_32 3
		.amdhsa_float_denorm_mode_16_64 3
		.amdhsa_dx10_clamp 1
		.amdhsa_ieee_mode 1
		.amdhsa_fp16_overflow 0
		.amdhsa_tg_split 0
		.amdhsa_exception_fp_ieee_invalid_op 0
		.amdhsa_exception_fp_denorm_src 0
		.amdhsa_exception_fp_ieee_div_zero 0
		.amdhsa_exception_fp_ieee_overflow 0
		.amdhsa_exception_fp_ieee_underflow 0
		.amdhsa_exception_fp_ieee_inexact 0
		.amdhsa_exception_int_div_zero 0
	.end_amdhsa_kernel
	.section	.text._ZN2at6native12_GLOBAL__N_135GammaBetaBackwardCUDAKernelTemplateIN3c108BFloat16EfLj32ELj8ELj64ELb0ELb1ELb0EEEvllPKT_S7_PKT0_SA_PS5_SB_,"axG",@progbits,_ZN2at6native12_GLOBAL__N_135GammaBetaBackwardCUDAKernelTemplateIN3c108BFloat16EfLj32ELj8ELj64ELb0ELb1ELb0EEEvllPKT_S7_PKT0_SA_PS5_SB_,comdat
.Lfunc_end110:
	.size	_ZN2at6native12_GLOBAL__N_135GammaBetaBackwardCUDAKernelTemplateIN3c108BFloat16EfLj32ELj8ELj64ELb0ELb1ELb0EEEvllPKT_S7_PKT0_SA_PS5_SB_, .Lfunc_end110-_ZN2at6native12_GLOBAL__N_135GammaBetaBackwardCUDAKernelTemplateIN3c108BFloat16EfLj32ELj8ELj64ELb0ELb1ELb0EEEvllPKT_S7_PKT0_SA_PS5_SB_
                                        ; -- End function
	.section	.AMDGPU.csdata,"",@progbits
; Kernel info:
; codeLenInByte = 1804
; NumSgprs: 36
; NumVgprs: 48
; NumAgprs: 0
; TotalNumVgprs: 48
; ScratchSize: 0
; MemoryBound: 0
; FloatMode: 240
; IeeeMode: 1
; LDSByteSize: 0 bytes/workgroup (compile time only)
; SGPRBlocks: 4
; VGPRBlocks: 5
; NumSGPRsForWavesPerEU: 36
; NumVGPRsForWavesPerEU: 48
; AccumOffset: 48
; Occupancy: 8
; WaveLimiterHint : 0
; COMPUTE_PGM_RSRC2:SCRATCH_EN: 0
; COMPUTE_PGM_RSRC2:USER_SGPR: 6
; COMPUTE_PGM_RSRC2:TRAP_HANDLER: 0
; COMPUTE_PGM_RSRC2:TGID_X_EN: 1
; COMPUTE_PGM_RSRC2:TGID_Y_EN: 1
; COMPUTE_PGM_RSRC2:TGID_Z_EN: 0
; COMPUTE_PGM_RSRC2:TIDIG_COMP_CNT: 1
; COMPUTE_PGM_RSRC3_GFX90A:ACCUM_OFFSET: 11
; COMPUTE_PGM_RSRC3_GFX90A:TG_SPLIT: 0
	.section	.text._ZN2at6native12_GLOBAL__N_135GammaBetaBackwardCUDAKernelTemplateIN3c108BFloat16EfLj32ELj8ELj64ELb0ELb0ELb0EEEvllPKT_S7_PKT0_SA_PS5_SB_,"axG",@progbits,_ZN2at6native12_GLOBAL__N_135GammaBetaBackwardCUDAKernelTemplateIN3c108BFloat16EfLj32ELj8ELj64ELb0ELb0ELb0EEEvllPKT_S7_PKT0_SA_PS5_SB_,comdat
	.globl	_ZN2at6native12_GLOBAL__N_135GammaBetaBackwardCUDAKernelTemplateIN3c108BFloat16EfLj32ELj8ELj64ELb0ELb0ELb0EEEvllPKT_S7_PKT0_SA_PS5_SB_ ; -- Begin function _ZN2at6native12_GLOBAL__N_135GammaBetaBackwardCUDAKernelTemplateIN3c108BFloat16EfLj32ELj8ELj64ELb0ELb0ELb0EEEvllPKT_S7_PKT0_SA_PS5_SB_
	.p2align	8
	.type	_ZN2at6native12_GLOBAL__N_135GammaBetaBackwardCUDAKernelTemplateIN3c108BFloat16EfLj32ELj8ELj64ELb0ELb0ELb0EEEvllPKT_S7_PKT0_SA_PS5_SB_,@function
_ZN2at6native12_GLOBAL__N_135GammaBetaBackwardCUDAKernelTemplateIN3c108BFloat16EfLj32ELj8ELj64ELb0ELb0ELb0EEEvllPKT_S7_PKT0_SA_PS5_SB_: ; @_ZN2at6native12_GLOBAL__N_135GammaBetaBackwardCUDAKernelTemplateIN3c108BFloat16EfLj32ELj8ELj64ELb0ELb0ELb0EEEvllPKT_S7_PKT0_SA_PS5_SB_
; %bb.0:
	s_load_dwordx8 s[12:19], s[4:5], 0x0
	s_load_dwordx4 s[28:31], s[4:5], 0x20
	s_lshl_b32 s33, s6, 5
	s_mov_b32 s20, 0
	s_or_b32 s0, s33, 31
	s_mov_b32 s1, s20
	s_waitcnt lgkmcnt(0)
	v_pk_mov_b32 v[2:3], s[14:15], s[14:15] op_sel:[0,1]
	v_cmp_ge_i64_e32 vcc, s[0:1], v[2:3]
	s_lshl_b32 s10, s7, 6
	s_mov_b32 s11, s20
	v_pk_mov_b32 v[2:3], s[12:13], s[12:13] op_sel:[0,1]
	v_cmp_lt_i64_e64 s[0:1], s[10:11], v[2:3]
	v_cndmask_b32_e64 v1, 0, 1, s[0:1]
	v_cmp_ne_u32_e64 s[0:1], 1, v1
	s_cbranch_vccz .LBB111_48
; %bb.1:
	v_mov_b32_e32 v27, 0
	s_and_b64 vcc, exec, s[0:1]
	v_mov_b32_e32 v26, v27
	s_cbranch_vccnz .LBB111_49
; %bb.2:
	v_and_b32_e32 v61, 0x3ff, v0
	v_bfe_u32 v63, v0, 10, 10
	v_add_u32_e32 v2, s33, v61
	v_mov_b32_e32 v3, 0
	v_lshlrev_b32_e32 v28, 3, v63
	v_cmp_gt_i64_e64 s[2:3], s[14:15], v[2:3]
	v_lshlrev_b64 v[30:31], 1, v[2:3]
	v_mov_b32_e32 v1, s11
	v_add_co_u32_e32 v2, vcc, s10, v28
	v_addc_co_u32_e32 v6, vcc, 0, v1, vcc
	v_add_co_u32_e32 v1, vcc, 7, v2
	v_addc_co_u32_e32 v4, vcc, 0, v6, vcc
	v_mul_lo_u32 v7, s15, v1
	v_mul_lo_u32 v8, s14, v4
	v_mad_u64_u32 v[4:5], s[8:9], s14, v1, 0
	s_load_dword s7, s[4:5], 0x44
	v_add3_u32 v5, v5, v8, v7
	v_lshlrev_b64 v[4:5], 1, v[4:5]
	v_mov_b32_e32 v7, s17
	v_add_co_u32_e32 v32, vcc, s16, v4
	v_addc_co_u32_e32 v1, vcc, v7, v5, vcc
	s_add_u32 s34, s4, 64
	v_mov_b32_e32 v8, s19
	v_add_co_u32_e32 v34, vcc, s18, v4
	s_addc_u32 s35, s5, 0
	s_waitcnt lgkmcnt(0)
	s_lshl_b32 s7, s7, 6
	v_addc_co_u32_e32 v29, vcc, v8, v5, vcc
	s_mul_i32 s8, s15, s7
	s_mul_hi_u32 s9, s14, s7
	v_add_co_u32_e32 v4, vcc, 6, v2
	s_add_i32 s9, s9, s8
	s_mul_i32 s8, s14, s7
	v_addc_co_u32_e32 v5, vcc, 0, v6, vcc
	s_lshl_b64 s[36:37], s[8:9], 1
	v_mul_lo_u32 v9, s15, v4
	v_mul_lo_u32 v10, s14, v5
	v_mad_u64_u32 v[4:5], s[8:9], s14, v4, 0
	v_add3_u32 v5, v5, v10, v9
	v_lshlrev_b64 v[4:5], 1, v[4:5]
	v_add_co_u32_e32 v36, vcc, s16, v4
	v_addc_co_u32_e32 v33, vcc, v7, v5, vcc
	v_add_co_u32_e32 v38, vcc, s18, v4
	v_addc_co_u32_e32 v35, vcc, v8, v5, vcc
	v_add_co_u32_e32 v4, vcc, 5, v2
	v_addc_co_u32_e32 v5, vcc, 0, v6, vcc
	v_mul_lo_u32 v9, s15, v4
	v_mul_lo_u32 v10, s14, v5
	v_mad_u64_u32 v[4:5], s[8:9], s14, v4, 0
	v_add3_u32 v5, v5, v10, v9
	v_lshlrev_b64 v[4:5], 1, v[4:5]
	v_add_co_u32_e32 v40, vcc, s16, v4
	v_addc_co_u32_e32 v37, vcc, v7, v5, vcc
	v_add_co_u32_e32 v42, vcc, s18, v4
	v_addc_co_u32_e32 v39, vcc, v8, v5, vcc
	v_add_co_u32_e32 v4, vcc, 4, v2
	v_addc_co_u32_e32 v5, vcc, 0, v6, vcc
	;; [unrolled: 11-line block ×4, first 2 shown]
	v_mul_lo_u32 v9, s15, v4
	v_mul_lo_u32 v10, s14, v5
	v_mad_u64_u32 v[4:5], s[8:9], s14, v4, 0
	v_add3_u32 v5, v5, v10, v9
	v_lshlrev_b64 v[4:5], 1, v[4:5]
	v_add_co_u32_e32 v52, vcc, s16, v4
	v_addc_co_u32_e32 v49, vcc, v7, v5, vcc
	v_add_co_u32_e32 v54, vcc, s18, v4
	v_addc_co_u32_e32 v51, vcc, v8, v5, vcc
	v_pk_mov_b32 v[4:5], s[14:15], s[14:15] op_sel:[0,1]
	v_mad_u64_u32 v[4:5], s[8:9], s14, v2, v[4:5]
	v_mul_lo_u32 v6, s14, v6
	v_mul_lo_u32 v9, s15, v2
	v_add3_u32 v5, v9, v5, v6
	v_lshlrev_b64 v[4:5], 1, v[4:5]
	v_add_co_u32_e32 v56, vcc, s16, v4
	v_addc_co_u32_e32 v53, vcc, v7, v5, vcc
	v_add_co_u32_e32 v58, vcc, s18, v4
	v_addc_co_u32_e32 v55, vcc, v8, v5, vcc
	v_mad_u64_u32 v[4:5], s[8:9], s14, v2, 0
	v_add3_u32 v5, v5, v6, v9
	v_lshlrev_b64 v[4:5], 1, v[4:5]
	v_add_co_u32_e32 v60, vcc, s16, v4
	v_mbcnt_lo_u32_b32 v2, -1, 0
	v_addc_co_u32_e32 v57, vcc, v7, v5, vcc
	v_mbcnt_hi_u32_b32 v2, -1, v2
	s_add_u32 s38, s10, 63
	v_add_co_u32_e32 v62, vcc, s18, v4
	v_lshlrev_b32_e32 v2, 2, v2
	s_addc_u32 s39, 0, 0
	v_addc_co_u32_e32 v59, vcc, v8, v5, vcc
	v_and_b32_e32 v64, 0x100, v2
	s_mov_b64 s[40:41], s[10:11]
	v_mov_b32_e32 v26, v3
	v_mov_b32_e32 v27, v3
	s_branch .LBB111_5
.LBB111_3:                              ;   in Loop: Header=BB111_5 Depth=1
	s_or_b64 exec, exec, s[8:9]
	s_waitcnt vmcnt(1)
	ds_bpermute_b32 v2, v64, v68
	ds_bpermute_b32 v4, v64, v68 offset:4
	s_waitcnt vmcnt(0)
	ds_bpermute_b32 v5, v64, v67
	ds_bpermute_b32 v6, v64, v67 offset:4
	ds_bpermute_b32 v8, v64, v67 offset:12
	s_waitcnt lgkmcnt(4)
	v_sub_f32_e32 v2, v10, v2
	v_mul_f32_e32 v2, v18, v2
	s_waitcnt lgkmcnt(3)
	v_sub_f32_e32 v4, v11, v4
	s_waitcnt lgkmcnt(2)
	v_mul_f32_e32 v5, v2, v5
	ds_bpermute_b32 v2, v64, v68 offset:8
	v_mul_f32_e32 v4, v19, v4
	s_waitcnt lgkmcnt(2)
	v_mul_f32_e32 v7, v4, v6
	ds_bpermute_b32 v4, v64, v67 offset:8
	ds_bpermute_b32 v6, v64, v68 offset:12
	s_waitcnt lgkmcnt(2)
	v_sub_f32_e32 v2, v12, v2
	v_mul_f32_e32 v2, v20, v2
	v_mov_b32_e32 v10, v21
	s_waitcnt lgkmcnt(1)
	v_mul_f32_e32 v9, v2, v4
	s_waitcnt lgkmcnt(0)
	v_sub_f32_e32 v2, v13, v6
	ds_bpermute_b32 v4, v64, v68 offset:16
	v_mul_f32_e32 v2, v21, v2
	v_mul_f32_e32 v11, v2, v8
	ds_bpermute_b32 v2, v64, v67 offset:16
	ds_bpermute_b32 v6, v64, v68 offset:20
	;; [unrolled: 1-line block ×3, first 2 shown]
	s_waitcnt lgkmcnt(3)
	v_sub_f32_e32 v4, v14, v4
	v_mul_f32_e32 v4, v22, v4
	s_waitcnt lgkmcnt(2)
	v_mul_f32_e32 v13, v4, v2
	s_waitcnt lgkmcnt(1)
	v_sub_f32_e32 v2, v15, v6
	v_mul_f32_e32 v2, v23, v2
	s_waitcnt lgkmcnt(0)
	v_mul_f32_e32 v15, v2, v8
	v_mov_b32_e32 v4, v18
	ds_bpermute_b32 v2, v64, v68 offset:24
	v_pk_add_f32 v[4:5], v[26:27], v[4:5]
	v_mov_b32_e32 v6, v19
	v_pk_add_f32 v[4:5], v[6:7], v[4:5]
	ds_bpermute_b32 v7, v64, v67 offset:24
	v_mov_b32_e32 v8, v20
	v_pk_add_f32 v[4:5], v[8:9], v[4:5]
	v_pk_add_f32 v[4:5], v[10:11], v[4:5]
	v_mov_b32_e32 v12, v22
	s_waitcnt lgkmcnt(1)
	v_sub_f32_e32 v8, v16, v2
	v_pk_add_f32 v[4:5], v[12:13], v[4:5]
	v_mov_b32_e32 v14, v23
	v_mul_f32_e32 v8, v24, v8
	v_pk_add_f32 v[4:5], v[14:15], v[4:5]
	s_waitcnt lgkmcnt(0)
	v_mul_f32_e32 v9, v8, v7
	v_mov_b32_e32 v8, v24
	ds_bpermute_b32 v2, v64, v67 offset:28
	ds_bpermute_b32 v6, v64, v68 offset:28
	v_pk_add_f32 v[4:5], v[8:9], v[4:5]
.LBB111_4:                              ;   in Loop: Header=BB111_5 Depth=1
	s_waitcnt lgkmcnt(0)
	v_sub_f32_e32 v6, v17, v6
	v_mul_f32_e32 v6, v25, v6
	v_mul_f32_e32 v7, v6, v2
	v_mov_b32_e32 v2, s37
	v_add_co_u32_e32 v32, vcc, s36, v32
	v_addc_co_u32_e32 v1, vcc, v1, v2, vcc
	v_add_co_u32_e32 v34, vcc, s36, v34
	v_addc_co_u32_e32 v29, vcc, v29, v2, vcc
	;; [unrolled: 2-line block ×15, first 2 shown]
	v_mov_b32_e32 v6, v25
	s_add_u32 s40, s40, s7
	v_add_co_u32_e32 v62, vcc, s36, v62
	v_pk_add_f32 v[26:27], v[4:5], v[6:7]
	s_addc_u32 s41, s41, 0
	v_addc_co_u32_e32 v59, vcc, v59, v2, vcc
	v_pk_mov_b32 v[4:5], s[12:13], s[12:13] op_sel:[0,1]
	s_add_u32 s38, s38, s7
	v_cmp_lt_i64_e32 vcc, s[40:41], v[4:5]
	s_addc_u32 s39, s39, 0
	s_cbranch_vccz .LBB111_49
.LBB111_5:                              ; =>This Inner Loop Header: Depth=1
	v_pk_mov_b32 v[4:5], s[12:13], s[12:13] op_sel:[0,1]
	v_cmp_ge_i64_e32 vcc, s[38:39], v[4:5]
	v_mov_b32_e32 v2, s39
	v_add_co_u32_e64 v65, s[8:9], s38, v28
	v_addc_co_u32_e64 v66, s[8:9], 0, v2, s[8:9]
	s_cbranch_vccz .LBB111_27
; %bb.6:                                ;   in Loop: Header=BB111_5 Depth=1
	s_load_dword s8, s[34:35], 0xc
	v_mov_b32_e32 v67, 0
	v_mov_b32_e32 v68, 0
	s_waitcnt lgkmcnt(0)
	s_and_b32 s8, s8, 0xffff
	v_mad_u32_u24 v2, v63, s8, v61
	v_and_b32_e32 v2, 63, v2
	v_cmp_gt_u32_e32 vcc, 8, v2
	s_and_saveexec_b64 s[8:9], vcc
	s_cbranch_execz .LBB111_10
; %bb.7:                                ;   in Loop: Header=BB111_5 Depth=1
	v_add_co_u32_e32 v2, vcc, v65, v2
	v_addc_co_u32_e32 v5, vcc, 0, v66, vcc
	v_add_co_u32_e32 v4, vcc, 0xffffffc1, v2
	v_addc_co_u32_e32 v5, vcc, -1, v5, vcc
	v_cmp_gt_i64_e32 vcc, s[12:13], v[4:5]
	v_mov_b32_e32 v68, 0
	v_mov_b32_e32 v67, 0
	s_and_saveexec_b64 s[22:23], vcc
	s_cbranch_execz .LBB111_9
; %bb.8:                                ;   in Loop: Header=BB111_5 Depth=1
	v_lshlrev_b64 v[4:5], 2, v[4:5]
	v_mov_b32_e32 v2, s31
	v_add_co_u32_e32 v6, vcc, s30, v4
	v_addc_co_u32_e32 v7, vcc, v2, v5, vcc
	v_mov_b32_e32 v2, s29
	v_add_co_u32_e32 v4, vcc, s28, v4
	v_addc_co_u32_e32 v5, vcc, v2, v5, vcc
	global_load_dword v68, v[4:5], off
	global_load_dword v67, v[6:7], off
.LBB111_9:                              ;   in Loop: Header=BB111_5 Depth=1
	s_or_b64 exec, exec, s[22:23]
.LBB111_10:                             ;   in Loop: Header=BB111_5 Depth=1
	s_or_b64 exec, exec, s[8:9]
	s_mov_b32 s21, s20
	v_add_co_u32_e32 v4, vcc, 0xffffffc1, v65
	s_mov_b32 s22, s20
	s_mov_b32 s23, s20
	;; [unrolled: 1-line block ×6, first 2 shown]
	v_pk_mov_b32 v[10:11], s[20:21], s[20:21] op_sel:[0,1]
	v_addc_co_u32_e32 v5, vcc, -1, v66, vcc
	v_pk_mov_b32 v[16:17], s[26:27], s[26:27] op_sel:[0,1]
	v_cmp_gt_i64_e32 vcc, s[12:13], v[4:5]
	v_pk_mov_b32 v[12:13], s[22:23], s[22:23] op_sel:[0,1]
	v_pk_mov_b32 v[14:15], s[24:25], s[24:25] op_sel:[0,1]
	;; [unrolled: 1-line block ×3, first 2 shown]
	s_and_b64 s[42:43], s[2:3], vcc
	v_pk_mov_b32 v[22:23], v[14:15], v[14:15] op_sel:[0,1]
	v_pk_mov_b32 v[20:21], v[12:13], v[12:13] op_sel:[0,1]
	;; [unrolled: 1-line block ×3, first 2 shown]
	s_and_saveexec_b64 s[8:9], s[42:43]
	s_cbranch_execz .LBB111_12
; %bb.11:                               ;   in Loop: Header=BB111_5 Depth=1
	v_add_co_u32_e32 v4, vcc, v60, v30
	v_addc_co_u32_e32 v5, vcc, v57, v31, vcc
	global_load_ushort v2, v[4:5], off
	v_add_co_u32_e32 v4, vcc, v62, v30
	v_addc_co_u32_e32 v5, vcc, v59, v31, vcc
	global_load_ushort v10, v[4:5], off
	v_mov_b32_e32 v8, v3
	v_mov_b32_e32 v9, v3
	;; [unrolled: 1-line block ×13, first 2 shown]
	s_waitcnt vmcnt(1)
	v_lshlrev_b32_e32 v2, 16, v2
	v_pk_mov_b32 v[24:25], v[8:9], v[8:9] op_sel:[0,1]
	v_pk_mov_b32 v[22:23], v[6:7], v[6:7] op_sel:[0,1]
	;; [unrolled: 1-line block ×4, first 2 shown]
	s_waitcnt vmcnt(0)
	v_lshlrev_b32_e32 v10, 16, v10
.LBB111_12:                             ;   in Loop: Header=BB111_5 Depth=1
	s_or_b64 exec, exec, s[8:9]
	v_add_co_u32_e32 v4, vcc, 0xffffffc2, v65
	v_addc_co_u32_e32 v5, vcc, -1, v66, vcc
	v_cmp_gt_i64_e32 vcc, s[12:13], v[4:5]
	s_and_b64 s[22:23], s[2:3], vcc
	s_and_saveexec_b64 s[8:9], s[22:23]
	s_cbranch_execz .LBB111_14
; %bb.13:                               ;   in Loop: Header=BB111_5 Depth=1
	v_add_co_u32_e32 v4, vcc, v56, v30
	v_addc_co_u32_e32 v5, vcc, v53, v31, vcc
	global_load_ushort v2, v[4:5], off
	v_add_co_u32_e32 v4, vcc, v58, v30
	v_addc_co_u32_e32 v5, vcc, v55, v31, vcc
	global_load_ushort v4, v[4:5], off
	s_waitcnt vmcnt(1)
	v_lshlrev_b32_e32 v19, 16, v2
	s_waitcnt vmcnt(0)
	v_lshlrev_b32_e32 v11, 16, v4
.LBB111_14:                             ;   in Loop: Header=BB111_5 Depth=1
	s_or_b64 exec, exec, s[8:9]
	v_add_co_u32_e32 v4, vcc, 0xffffffc3, v65
	v_addc_co_u32_e32 v5, vcc, -1, v66, vcc
	v_cmp_gt_i64_e32 vcc, s[12:13], v[4:5]
	s_and_b64 s[22:23], s[2:3], vcc
	s_and_saveexec_b64 s[8:9], s[22:23]
	s_cbranch_execz .LBB111_16
; %bb.15:                               ;   in Loop: Header=BB111_5 Depth=1
	v_add_co_u32_e32 v4, vcc, v52, v30
	v_addc_co_u32_e32 v5, vcc, v49, v31, vcc
	global_load_ushort v2, v[4:5], off
	v_add_co_u32_e32 v4, vcc, v54, v30
	v_addc_co_u32_e32 v5, vcc, v51, v31, vcc
	global_load_ushort v4, v[4:5], off
	s_waitcnt vmcnt(1)
	v_lshlrev_b32_e32 v20, 16, v2
	s_waitcnt vmcnt(0)
	v_lshlrev_b32_e32 v12, 16, v4
.LBB111_16:                             ;   in Loop: Header=BB111_5 Depth=1
	;; [unrolled: 19-line block ×7, first 2 shown]
	s_or_b64 exec, exec, s[8:9]
	s_waitcnt vmcnt(1)
	ds_bpermute_b32 v2, v64, v68
	ds_bpermute_b32 v4, v64, v68 offset:4
	s_waitcnt vmcnt(0)
	ds_bpermute_b32 v5, v64, v67
	ds_bpermute_b32 v6, v64, v67 offset:4
	ds_bpermute_b32 v8, v64, v67 offset:12
	s_waitcnt lgkmcnt(4)
	v_sub_f32_e32 v2, v10, v2
	v_mul_f32_e32 v2, v18, v2
	s_waitcnt lgkmcnt(3)
	v_sub_f32_e32 v4, v11, v4
	s_waitcnt lgkmcnt(2)
	v_mul_f32_e32 v5, v2, v5
	ds_bpermute_b32 v2, v64, v68 offset:8
	v_mul_f32_e32 v4, v19, v4
	s_waitcnt lgkmcnt(2)
	v_mul_f32_e32 v7, v4, v6
	ds_bpermute_b32 v4, v64, v67 offset:8
	ds_bpermute_b32 v6, v64, v68 offset:12
	s_waitcnt lgkmcnt(2)
	v_sub_f32_e32 v2, v12, v2
	v_mul_f32_e32 v2, v20, v2
	v_mov_b32_e32 v10, v21
	s_waitcnt lgkmcnt(1)
	v_mul_f32_e32 v9, v2, v4
	s_waitcnt lgkmcnt(0)
	v_sub_f32_e32 v2, v13, v6
	ds_bpermute_b32 v4, v64, v68 offset:16
	v_mul_f32_e32 v2, v21, v2
	v_mul_f32_e32 v11, v2, v8
	ds_bpermute_b32 v2, v64, v67 offset:16
	ds_bpermute_b32 v6, v64, v68 offset:20
	;; [unrolled: 1-line block ×3, first 2 shown]
	s_waitcnt lgkmcnt(3)
	v_sub_f32_e32 v4, v14, v4
	v_mul_f32_e32 v4, v22, v4
	s_waitcnt lgkmcnt(2)
	v_mul_f32_e32 v13, v4, v2
	s_waitcnt lgkmcnt(1)
	v_sub_f32_e32 v2, v15, v6
	v_mul_f32_e32 v2, v23, v2
	s_waitcnt lgkmcnt(0)
	v_mul_f32_e32 v15, v2, v8
	ds_bpermute_b32 v2, v64, v68 offset:24
	v_mov_b32_e32 v4, v18
	v_pk_add_f32 v[4:5], v[26:27], v[4:5]
	v_mov_b32_e32 v6, v19
	v_pk_add_f32 v[4:5], v[6:7], v[4:5]
	ds_bpermute_b32 v7, v64, v67 offset:24
	v_mov_b32_e32 v8, v20
	s_waitcnt lgkmcnt(1)
	v_sub_f32_e32 v2, v16, v2
	v_pk_add_f32 v[4:5], v[8:9], v[4:5]
	v_mul_f32_e32 v8, v24, v2
	ds_bpermute_b32 v2, v64, v67 offset:28
	ds_bpermute_b32 v6, v64, v68 offset:28
	v_pk_add_f32 v[4:5], v[10:11], v[4:5]
	v_mov_b32_e32 v12, v22
	v_pk_add_f32 v[4:5], v[12:13], v[4:5]
	v_mov_b32_e32 v14, v23
	v_pk_add_f32 v[4:5], v[14:15], v[4:5]
	s_waitcnt lgkmcnt(2)
	v_mul_f32_e32 v9, v8, v7
	v_mov_b32_e32 v8, v24
	v_pk_add_f32 v[4:5], v[8:9], v[4:5]
	s_branch .LBB111_4
.LBB111_27:                             ;   in Loop: Header=BB111_5 Depth=1
                                        ; implicit-def: $vgpr4_vgpr5
                                        ; implicit-def: $vgpr2
                                        ; implicit-def: $vgpr10_vgpr11_vgpr12_vgpr13_vgpr14_vgpr15_vgpr16_vgpr17
                                        ; implicit-def: $vgpr18_vgpr19_vgpr20_vgpr21_vgpr22_vgpr23_vgpr24_vgpr25
                                        ; implicit-def: $vgpr6
	s_cbranch_execz .LBB111_4
; %bb.28:                               ;   in Loop: Header=BB111_5 Depth=1
	s_load_dword s8, s[34:35], 0x0
	v_mov_b32_e32 v67, 0
	v_mov_b32_e32 v68, 0
	s_waitcnt lgkmcnt(0)
	s_cmp_lt_u32 s6, s8
	s_cselect_b32 s8, 12, 18
	s_add_u32 s8, s34, s8
	s_addc_u32 s9, s35, 0
	global_load_ushort v2, v3, s[8:9]
	s_waitcnt vmcnt(0)
	v_mad_u32_u24 v2, v63, v2, v61
	v_and_b32_e32 v2, 63, v2
	v_cmp_gt_u32_e32 vcc, 8, v2
	s_and_saveexec_b64 s[8:9], vcc
	s_cbranch_execz .LBB111_32
; %bb.29:                               ;   in Loop: Header=BB111_5 Depth=1
	v_add_co_u32_e32 v2, vcc, v65, v2
	v_addc_co_u32_e32 v5, vcc, 0, v66, vcc
	v_add_co_u32_e32 v4, vcc, 0xffffffc1, v2
	v_addc_co_u32_e32 v5, vcc, -1, v5, vcc
	v_cmp_gt_i64_e32 vcc, s[12:13], v[4:5]
	v_mov_b32_e32 v68, 0
	v_mov_b32_e32 v67, 0
	s_and_saveexec_b64 s[22:23], vcc
	s_cbranch_execz .LBB111_31
; %bb.30:                               ;   in Loop: Header=BB111_5 Depth=1
	v_lshlrev_b64 v[4:5], 2, v[4:5]
	v_mov_b32_e32 v2, s31
	v_add_co_u32_e32 v6, vcc, s30, v4
	v_addc_co_u32_e32 v7, vcc, v2, v5, vcc
	v_mov_b32_e32 v2, s29
	v_add_co_u32_e32 v4, vcc, s28, v4
	v_addc_co_u32_e32 v5, vcc, v2, v5, vcc
	global_load_dword v68, v[4:5], off
	global_load_dword v67, v[6:7], off
.LBB111_31:                             ;   in Loop: Header=BB111_5 Depth=1
	s_or_b64 exec, exec, s[22:23]
.LBB111_32:                             ;   in Loop: Header=BB111_5 Depth=1
	s_or_b64 exec, exec, s[8:9]
	s_mov_b32 s21, s20
	s_mov_b32 s22, s20
	;; [unrolled: 1-line block ×7, first 2 shown]
	v_pk_mov_b32 v[10:11], s[20:21], s[20:21] op_sel:[0,1]
	v_pk_mov_b32 v[16:17], s[26:27], s[26:27] op_sel:[0,1]
	;; [unrolled: 1-line block ×8, first 2 shown]
	s_and_saveexec_b64 s[8:9], s[2:3]
	s_cbranch_execnz .LBB111_40
; %bb.33:                               ;   in Loop: Header=BB111_5 Depth=1
	s_or_b64 exec, exec, s[8:9]
	s_and_saveexec_b64 s[8:9], s[2:3]
	s_cbranch_execnz .LBB111_41
.LBB111_34:                             ;   in Loop: Header=BB111_5 Depth=1
	s_or_b64 exec, exec, s[8:9]
	s_and_saveexec_b64 s[8:9], s[2:3]
	s_cbranch_execnz .LBB111_42
.LBB111_35:                             ;   in Loop: Header=BB111_5 Depth=1
	s_or_b64 exec, exec, s[8:9]
	s_and_saveexec_b64 s[8:9], s[2:3]
	s_cbranch_execnz .LBB111_43
.LBB111_36:                             ;   in Loop: Header=BB111_5 Depth=1
	s_or_b64 exec, exec, s[8:9]
	s_and_saveexec_b64 s[8:9], s[2:3]
	s_cbranch_execnz .LBB111_44
.LBB111_37:                             ;   in Loop: Header=BB111_5 Depth=1
	s_or_b64 exec, exec, s[8:9]
	s_and_saveexec_b64 s[8:9], s[2:3]
	s_cbranch_execnz .LBB111_45
.LBB111_38:                             ;   in Loop: Header=BB111_5 Depth=1
	s_or_b64 exec, exec, s[8:9]
	s_and_saveexec_b64 s[8:9], s[2:3]
	s_cbranch_execnz .LBB111_46
.LBB111_39:                             ;   in Loop: Header=BB111_5 Depth=1
	s_or_b64 exec, exec, s[8:9]
	s_and_saveexec_b64 s[8:9], s[2:3]
	s_cbranch_execz .LBB111_3
	s_branch .LBB111_47
.LBB111_40:                             ;   in Loop: Header=BB111_5 Depth=1
	v_add_co_u32_e32 v4, vcc, v60, v30
	v_addc_co_u32_e32 v5, vcc, v57, v31, vcc
	global_load_ushort v2, v[4:5], off
	v_add_co_u32_e32 v4, vcc, v62, v30
	v_addc_co_u32_e32 v5, vcc, v59, v31, vcc
	global_load_ushort v10, v[4:5], off
	v_mov_b32_e32 v8, v3
	v_mov_b32_e32 v9, v3
	;; [unrolled: 1-line block ×13, first 2 shown]
	s_waitcnt vmcnt(1)
	v_lshlrev_b32_e32 v2, 16, v2
	v_pk_mov_b32 v[24:25], v[8:9], v[8:9] op_sel:[0,1]
	v_pk_mov_b32 v[22:23], v[6:7], v[6:7] op_sel:[0,1]
	v_pk_mov_b32 v[20:21], v[4:5], v[4:5] op_sel:[0,1]
	v_pk_mov_b32 v[18:19], v[2:3], v[2:3] op_sel:[0,1]
	s_waitcnt vmcnt(0)
	v_lshlrev_b32_e32 v10, 16, v10
	s_or_b64 exec, exec, s[8:9]
	s_and_saveexec_b64 s[8:9], s[2:3]
	s_cbranch_execz .LBB111_34
.LBB111_41:                             ;   in Loop: Header=BB111_5 Depth=1
	v_add_co_u32_e32 v4, vcc, v56, v30
	v_addc_co_u32_e32 v5, vcc, v53, v31, vcc
	global_load_ushort v2, v[4:5], off
	v_add_co_u32_e32 v4, vcc, v58, v30
	v_addc_co_u32_e32 v5, vcc, v55, v31, vcc
	global_load_ushort v4, v[4:5], off
	s_waitcnt vmcnt(1)
	v_lshlrev_b32_e32 v19, 16, v2
	s_waitcnt vmcnt(0)
	v_lshlrev_b32_e32 v11, 16, v4
	s_or_b64 exec, exec, s[8:9]
	s_and_saveexec_b64 s[8:9], s[2:3]
	s_cbranch_execz .LBB111_35
.LBB111_42:                             ;   in Loop: Header=BB111_5 Depth=1
	v_add_co_u32_e32 v4, vcc, v52, v30
	v_addc_co_u32_e32 v5, vcc, v49, v31, vcc
	global_load_ushort v2, v[4:5], off
	v_add_co_u32_e32 v4, vcc, v54, v30
	v_addc_co_u32_e32 v5, vcc, v51, v31, vcc
	global_load_ushort v4, v[4:5], off
	s_waitcnt vmcnt(1)
	v_lshlrev_b32_e32 v20, 16, v2
	s_waitcnt vmcnt(0)
	v_lshlrev_b32_e32 v12, 16, v4
	s_or_b64 exec, exec, s[8:9]
	s_and_saveexec_b64 s[8:9], s[2:3]
	s_cbranch_execz .LBB111_36
.LBB111_43:                             ;   in Loop: Header=BB111_5 Depth=1
	v_add_co_u32_e32 v4, vcc, v48, v30
	v_addc_co_u32_e32 v5, vcc, v45, v31, vcc
	global_load_ushort v2, v[4:5], off
	v_add_co_u32_e32 v4, vcc, v50, v30
	v_addc_co_u32_e32 v5, vcc, v47, v31, vcc
	global_load_ushort v4, v[4:5], off
	s_waitcnt vmcnt(1)
	v_lshlrev_b32_e32 v21, 16, v2
	s_waitcnt vmcnt(0)
	v_lshlrev_b32_e32 v13, 16, v4
	s_or_b64 exec, exec, s[8:9]
	s_and_saveexec_b64 s[8:9], s[2:3]
	s_cbranch_execz .LBB111_37
.LBB111_44:                             ;   in Loop: Header=BB111_5 Depth=1
	v_add_co_u32_e32 v4, vcc, v44, v30
	v_addc_co_u32_e32 v5, vcc, v41, v31, vcc
	global_load_ushort v2, v[4:5], off
	v_add_co_u32_e32 v4, vcc, v46, v30
	v_addc_co_u32_e32 v5, vcc, v43, v31, vcc
	global_load_ushort v4, v[4:5], off
	s_waitcnt vmcnt(1)
	v_lshlrev_b32_e32 v22, 16, v2
	s_waitcnt vmcnt(0)
	v_lshlrev_b32_e32 v14, 16, v4
	s_or_b64 exec, exec, s[8:9]
	s_and_saveexec_b64 s[8:9], s[2:3]
	s_cbranch_execz .LBB111_38
.LBB111_45:                             ;   in Loop: Header=BB111_5 Depth=1
	v_add_co_u32_e32 v4, vcc, v40, v30
	v_addc_co_u32_e32 v5, vcc, v37, v31, vcc
	global_load_ushort v2, v[4:5], off
	v_add_co_u32_e32 v4, vcc, v42, v30
	v_addc_co_u32_e32 v5, vcc, v39, v31, vcc
	global_load_ushort v4, v[4:5], off
	s_waitcnt vmcnt(1)
	v_lshlrev_b32_e32 v23, 16, v2
	s_waitcnt vmcnt(0)
	v_lshlrev_b32_e32 v15, 16, v4
	s_or_b64 exec, exec, s[8:9]
	s_and_saveexec_b64 s[8:9], s[2:3]
	s_cbranch_execz .LBB111_39
.LBB111_46:                             ;   in Loop: Header=BB111_5 Depth=1
	v_add_co_u32_e32 v4, vcc, v36, v30
	v_addc_co_u32_e32 v5, vcc, v33, v31, vcc
	global_load_ushort v2, v[4:5], off
	v_add_co_u32_e32 v4, vcc, v38, v30
	v_addc_co_u32_e32 v5, vcc, v35, v31, vcc
	global_load_ushort v4, v[4:5], off
	s_waitcnt vmcnt(1)
	v_lshlrev_b32_e32 v24, 16, v2
	s_waitcnt vmcnt(0)
	v_lshlrev_b32_e32 v16, 16, v4
	s_or_b64 exec, exec, s[8:9]
	s_and_saveexec_b64 s[8:9], s[2:3]
	s_cbranch_execz .LBB111_3
.LBB111_47:                             ;   in Loop: Header=BB111_5 Depth=1
	v_add_co_u32_e32 v4, vcc, v32, v30
	v_addc_co_u32_e32 v5, vcc, v1, v31, vcc
	global_load_ushort v2, v[4:5], off
	v_add_co_u32_e32 v4, vcc, v34, v30
	v_addc_co_u32_e32 v5, vcc, v29, v31, vcc
	global_load_ushort v4, v[4:5], off
	s_waitcnt vmcnt(1)
	v_lshlrev_b32_e32 v25, 16, v2
	s_waitcnt vmcnt(0)
	v_lshlrev_b32_e32 v17, 16, v4
	s_branch .LBB111_3
.LBB111_48:
                                        ; implicit-def: $vgpr27
	s_branch .LBB111_50
.LBB111_49:
	s_cbranch_execnz .LBB111_81
.LBB111_50:
	v_mov_b32_e32 v27, 0
	s_mov_b32 s20, 0
	s_and_b64 vcc, exec, s[0:1]
	v_mov_b32_e32 v26, v27
	s_cbranch_vccnz .LBB111_81
; %bb.51:
	s_load_dword s0, s[4:5], 0x44
	s_add_u32 s2, s4, 64
	s_addc_u32 s3, s5, 0
	v_bfe_u32 v87, v0, 10, 10
	v_lshlrev_b32_e32 v1, 4, v87
	s_waitcnt lgkmcnt(0)
	s_lshl_b32 s7, s0, 6
	s_add_u32 s8, s10, 63
	s_addc_u32 s9, 0, 0
	s_lshl_b64 s[0:1], s[10:11], 1
	v_mov_b32_e32 v2, s1
	v_add_co_u32_e32 v1, vcc, s0, v1
	v_addc_co_u32_e32 v4, vcc, 0, v2, vcc
	v_add_co_u32_e32 v6, vcc, 2, v1
	v_addc_co_u32_e32 v5, vcc, 0, v4, vcc
	v_add_co_u32_e32 v9, vcc, 4, v1
	v_mul_lo_u32 v7, s14, v5
	v_addc_co_u32_e32 v5, vcc, 0, v4, vcc
	v_add_co_u32_e32 v12, vcc, 6, v1
	v_mul_lo_u32 v10, s14, v5
	;; [unrolled: 3-line block ×5, first 2 shown]
	v_addc_co_u32_e32 v5, vcc, 0, v4, vcc
	v_add_co_u32_e32 v24, vcc, 14, v1
	v_lshlrev_b32_e32 v28, 3, v87
	v_addc_co_u32_e32 v1, vcc, 0, v4, vcc
	v_mul_lo_u32 v25, s14, v1
	v_mov_b32_e32 v1, s11
	v_add_co_u32_e32 v27, vcc, s10, v28
	v_pk_mov_b32 v[2:3], s[16:17], s[16:17] op_sel:[0,1]
	v_addc_co_u32_e32 v45, vcc, 0, v1, vcc
	v_mad_u64_u32 v[30:31], s[0:1], s14, v6, v[2:3]
	v_mad_u64_u32 v[32:33], s[0:1], s14, v9, v[2:3]
	;; [unrolled: 1-line block ×7, first 2 shown]
	v_mul_lo_u32 v61, s15, v27
	v_mul_lo_u32 v62, s14, v45
	v_mad_u64_u32 v[2:3], s[0:1], s14, v27, 0
	v_add3_u32 v3, v3, v62, v61
	v_lshlrev_b64 v[2:3], 1, v[2:3]
	v_mul_lo_u32 v22, s14, v5
	v_mov_b32_e32 v83, s17
	v_add_co_u32_e32 v44, vcc, s16, v2
	v_pk_mov_b32 v[4:5], s[18:19], s[18:19] op_sel:[0,1]
	v_mul_lo_u32 v17, s15, v15
	v_addc_co_u32_e32 v1, vcc, v83, v3, vcc
	v_mad_u64_u32 v[52:53], s[0:1], s14, v15, v[4:5]
	v_add3_u32 v37, v17, v37, v16
	v_add3_u32 v53, v17, v53, v16
	v_mov_b32_e32 v16, s19
	v_add_co_u32_e32 v60, vcc, s18, v2
	v_addc_co_u32_e32 v29, vcc, v16, v3, vcc
	v_add_co_u32_e32 v2, vcc, 7, v27
	v_addc_co_u32_e32 v3, vcc, 0, v45, vcc
	v_mad_u64_u32 v[46:47], s[0:1], s14, v6, v[4:5]
	v_mad_u64_u32 v[48:49], s[0:1], s14, v9, v[4:5]
	;; [unrolled: 1-line block ×6, first 2 shown]
	v_mul_lo_u32 v4, s15, v2
	v_mul_lo_u32 v5, s14, v3
	v_mad_u64_u32 v[2:3], s[0:1], s14, v2, 0
	v_add3_u32 v3, v3, v5, v4
	v_add_co_u32_e32 v4, vcc, 6, v27
	v_mul_lo_u32 v8, s15, v6
	v_addc_co_u32_e32 v5, vcc, 0, v45, vcc
	v_add3_u32 v31, v8, v31, v7
	v_add3_u32 v47, v8, v47, v7
	v_mul_lo_u32 v6, s15, v4
	v_mul_lo_u32 v7, s14, v5
	v_mad_u64_u32 v[4:5], s[0:1], s14, v4, 0
	v_add3_u32 v5, v5, v7, v6
	v_add_co_u32_e32 v6, vcc, 5, v27
	v_addc_co_u32_e32 v7, vcc, 0, v45, vcc
	v_mul_lo_u32 v11, s15, v9
	v_mul_lo_u32 v8, s15, v6
	;; [unrolled: 1-line block ×3, first 2 shown]
	v_mad_u64_u32 v[6:7], s[0:1], s14, v6, 0
	v_add3_u32 v7, v7, v9, v8
	v_add_co_u32_e32 v8, vcc, 4, v27
	v_addc_co_u32_e32 v9, vcc, 0, v45, vcc
	v_add3_u32 v33, v11, v33, v10
	v_add3_u32 v49, v11, v49, v10
	v_mul_lo_u32 v10, s15, v8
	v_mul_lo_u32 v11, s14, v9
	v_mad_u64_u32 v[8:9], s[0:1], s14, v8, 0
	v_add3_u32 v9, v9, v11, v10
	v_add_co_u32_e32 v10, vcc, 3, v27
	v_mul_lo_u32 v14, s15, v12
	v_addc_co_u32_e32 v11, vcc, 0, v45, vcc
	v_add3_u32 v35, v14, v35, v13
	v_add3_u32 v51, v14, v51, v13
	v_mul_lo_u32 v12, s15, v10
	v_mul_lo_u32 v13, s14, v11
	v_mad_u64_u32 v[10:11], s[0:1], s14, v10, 0
	v_add3_u32 v11, v11, v13, v12
	v_add_co_u32_e32 v12, vcc, 2, v27
	v_addc_co_u32_e32 v13, vcc, 0, v45, vcc
	v_mul_lo_u32 v14, s15, v12
	v_mul_lo_u32 v15, s14, v13
	v_mad_u64_u32 v[12:13], s[0:1], s14, v12, 0
	v_add3_u32 v13, v13, v15, v14
	v_pk_mov_b32 v[14:15], s[14:15], s[14:15] op_sel:[0,1]
	v_lshlrev_b64 v[2:3], 1, v[2:3]
	v_mad_u64_u32 v[14:15], s[0:1], s14, v27, v[14:15]
	v_add3_u32 v15, v61, v15, v62
	v_add_co_u32_e32 v62, vcc, s16, v2
	v_addc_co_u32_e32 v45, vcc, v83, v3, vcc
	v_add_co_u32_e32 v64, vcc, s18, v2
	v_addc_co_u32_e32 v61, vcc, v16, v3, vcc
	v_lshlrev_b64 v[2:3], 1, v[4:5]
	v_add_co_u32_e32 v66, vcc, s16, v2
	v_addc_co_u32_e32 v63, vcc, v83, v3, vcc
	v_add_co_u32_e32 v68, vcc, s18, v2
	v_addc_co_u32_e32 v65, vcc, v16, v3, vcc
	v_lshlrev_b64 v[2:3], 1, v[6:7]
	;; [unrolled: 5-line block ×6, first 2 shown]
	v_add_co_u32_e32 v86, vcc, s16, v2
	v_addc_co_u32_e32 v83, vcc, v83, v3, vcc
	v_mbcnt_lo_u32_b32 v4, -1, 0
	v_add_co_u32_e32 v88, vcc, s18, v2
	v_and_b32_e32 v89, 0x3ff, v0
	s_mul_i32 s0, s15, s7
	s_mul_hi_u32 s1, s14, s7
	v_mbcnt_hi_u32_b32 v4, -1, v4
	v_mul_lo_u32 v20, s15, v18
	v_mul_lo_u32 v23, s15, v21
	;; [unrolled: 1-line block ×3, first 2 shown]
	v_addc_co_u32_e32 v85, vcc, v16, v3, vcc
	v_add_u32_e32 v2, s33, v89
	v_mov_b32_e32 v3, 0
	s_add_i32 s1, s1, s0
	s_mul_i32 s0, s14, s7
	v_lshlrev_b32_e32 v4, 2, v4
	v_add3_u32 v39, v20, v39, v19
	v_add3_u32 v41, v23, v41, v22
	;; [unrolled: 1-line block ×6, first 2 shown]
	s_lshl_b64 s[16:17], s[0:1], 1
	v_and_b32_e32 v94, 0x100, v4
	v_mov_b32_e32 v26, v3
	v_mov_b32_e32 v27, v3
	v_lshlrev_b64 v[90:91], 1, v[2:3]
	s_branch .LBB111_55
.LBB111_52:                             ;   in Loop: Header=BB111_55 Depth=1
	s_or_b64 exec, exec, s[18:19]
.LBB111_53:                             ;   in Loop: Header=BB111_55 Depth=1
	s_or_b64 exec, exec, s[0:1]
	v_add_co_u32_e32 v4, vcc, v44, v90
	v_addc_co_u32_e32 v5, vcc, v1, v91, vcc
	global_load_ushort v7, v[4:5], off
	v_add_co_u32_e32 v4, vcc, v60, v90
	v_addc_co_u32_e32 v5, vcc, v29, v91, vcc
	global_load_ushort v8, v[4:5], off
	;; [unrolled: 3-line block ×16, first 2 shown]
	s_waitcnt vmcnt(16)
	ds_bpermute_b32 v24, v94, v2 offset:8
	s_waitcnt vmcnt(15)
	v_lshlrev_b32_e32 v4, 16, v7
	s_waitcnt vmcnt(14)
	v_lshlrev_b32_e32 v7, 16, v8
	;; [unrolled: 2-line block ×13, first 2 shown]
	ds_bpermute_b32 v19, v94, v6
	s_waitcnt vmcnt(2)
	v_lshlrev_b32_e32 v22, 16, v20
	s_waitcnt vmcnt(1)
	v_lshlrev_b32_e32 v20, 16, v21
	ds_bpermute_b32 v21, v94, v2
	s_waitcnt vmcnt(0)
	v_lshlrev_b32_e32 v23, 16, v5
	s_waitcnt lgkmcnt(1)
	v_sub_f32_e32 v5, v7, v19
	ds_bpermute_b32 v7, v94, v6 offset:4
	v_mul_f32_e32 v5, v5, v4
	s_waitcnt lgkmcnt(1)
	v_mul_f32_e32 v5, v5, v21
	ds_bpermute_b32 v19, v94, v2 offset:4
	ds_bpermute_b32 v21, v94, v6 offset:8
	s_waitcnt lgkmcnt(2)
	v_sub_f32_e32 v7, v9, v7
	v_mul_f32_e32 v7, v7, v8
	v_pk_add_f32 v[4:5], v[92:93], v[4:5]
	s_waitcnt lgkmcnt(1)
	v_mul_f32_e32 v9, v7, v19
	s_waitcnt lgkmcnt(0)
	v_sub_f32_e32 v7, v11, v21
	ds_bpermute_b32 v19, v94, v6 offset:12
	v_mul_f32_e32 v7, v7, v10
	v_mul_f32_e32 v11, v7, v24
	ds_bpermute_b32 v7, v94, v2 offset:12
	ds_bpermute_b32 v21, v94, v6 offset:16
	s_waitcnt lgkmcnt(2)
	v_sub_f32_e32 v13, v13, v19
	ds_bpermute_b32 v19, v94, v2 offset:16
	v_mul_f32_e32 v13, v13, v12
	s_waitcnt lgkmcnt(2)
	v_mul_f32_e32 v13, v13, v7
	s_waitcnt lgkmcnt(1)
	v_sub_f32_e32 v7, v15, v21
	ds_bpermute_b32 v21, v94, v6 offset:20
	v_mul_f32_e32 v7, v7, v14
	s_waitcnt lgkmcnt(1)
	v_mul_f32_e32 v15, v7, v19
	ds_bpermute_b32 v7, v94, v2 offset:20
	ds_bpermute_b32 v19, v94, v6 offset:24
	;; [unrolled: 1-line block ×3, first 2 shown]
	s_waitcnt lgkmcnt(3)
	v_sub_f32_e32 v17, v17, v21
	ds_bpermute_b32 v21, v94, v2 offset:24
	v_pk_add_f32 v[4:5], v[4:5], v[8:9]
	ds_bpermute_b32 v2, v94, v2 offset:28
	v_mul_f32_e32 v17, v17, v16
	v_pk_add_f32 v[4:5], v[4:5], v[10:11]
	s_waitcnt lgkmcnt(4)
	v_mul_f32_e32 v17, v17, v7
	s_waitcnt lgkmcnt(3)
	v_sub_f32_e32 v7, v22, v19
	v_pk_add_f32 v[4:5], v[4:5], v[12:13]
	v_mul_f32_e32 v7, v7, v18
	v_pk_add_f32 v[4:5], v[4:5], v[14:15]
	s_waitcnt lgkmcnt(2)
	v_sub_f32_e32 v6, v23, v6
	s_waitcnt lgkmcnt(1)
	v_mul_f32_e32 v19, v7, v21
	v_pk_add_f32 v[4:5], v[4:5], v[16:17]
	v_mul_f32_e32 v6, v6, v20
	v_pk_add_f32 v[4:5], v[4:5], v[18:19]
	s_waitcnt lgkmcnt(0)
	v_mul_f32_e32 v21, v6, v2
	v_pk_add_f32 v[26:27], v[4:5], v[20:21]
.LBB111_54:                             ;   in Loop: Header=BB111_55 Depth=1
	v_mov_b32_e32 v2, s17
	v_add_co_u32_e32 v30, vcc, s16, v30
	v_addc_co_u32_e32 v31, vcc, v31, v2, vcc
	v_add_co_u32_e32 v32, vcc, s16, v32
	v_addc_co_u32_e32 v33, vcc, v33, v2, vcc
	;; [unrolled: 2-line block ×29, first 2 shown]
	s_add_u32 s10, s10, s7
	v_add_co_u32_e32 v88, vcc, s16, v88
	s_addc_u32 s11, s11, 0
	v_addc_co_u32_e32 v85, vcc, v85, v2, vcc
	v_pk_mov_b32 v[4:5], s[12:13], s[12:13] op_sel:[0,1]
	s_add_u32 s8, s8, s7
	v_cmp_ge_i64_e32 vcc, s[10:11], v[4:5]
	s_addc_u32 s9, s9, 0
	s_cbranch_vccnz .LBB111_81
.LBB111_55:                             ; =>This Inner Loop Header: Depth=1
	v_pk_mov_b32 v[4:5], s[12:13], s[12:13] op_sel:[0,1]
	v_cmp_ge_i64_e32 vcc, s[8:9], v[4:5]
	v_mov_b32_e32 v2, s9
	v_add_co_u32_e64 v95, s[0:1], s8, v28
	v_mov_b32_e32 v92, v26
	v_mov_b32_e32 v93, v27
	v_addc_co_u32_e64 v96, s[0:1], 0, v2, s[0:1]
	s_cbranch_vccz .LBB111_77
; %bb.56:                               ;   in Loop: Header=BB111_55 Depth=1
	s_load_dword s0, s[2:3], 0xc
	v_mov_b32_e32 v26, 0
	v_mov_b32_e32 v27, 0
	s_waitcnt lgkmcnt(0)
	s_and_b32 s0, s0, 0xffff
	v_mad_u32_u24 v2, v87, s0, v89
	v_and_b32_e32 v2, 63, v2
	v_cmp_gt_u32_e32 vcc, 8, v2
	s_and_saveexec_b64 s[0:1], vcc
	s_cbranch_execz .LBB111_60
; %bb.57:                               ;   in Loop: Header=BB111_55 Depth=1
	v_add_co_u32_e32 v2, vcc, v95, v2
	v_addc_co_u32_e32 v5, vcc, 0, v96, vcc
	v_add_co_u32_e32 v4, vcc, 0xffffffc1, v2
	v_addc_co_u32_e32 v5, vcc, -1, v5, vcc
	v_cmp_gt_i64_e32 vcc, s[12:13], v[4:5]
	v_mov_b32_e32 v27, 0
	v_mov_b32_e32 v26, 0
	s_and_saveexec_b64 s[18:19], vcc
	s_cbranch_execz .LBB111_59
; %bb.58:                               ;   in Loop: Header=BB111_55 Depth=1
	v_lshlrev_b64 v[4:5], 2, v[4:5]
	v_mov_b32_e32 v2, s31
	v_add_co_u32_e32 v6, vcc, s30, v4
	v_addc_co_u32_e32 v7, vcc, v2, v5, vcc
	v_mov_b32_e32 v2, s29
	v_add_co_u32_e32 v4, vcc, s28, v4
	v_addc_co_u32_e32 v5, vcc, v2, v5, vcc
	global_load_dword v27, v[4:5], off
	global_load_dword v26, v[6:7], off
.LBB111_59:                             ;   in Loop: Header=BB111_55 Depth=1
	s_or_b64 exec, exec, s[18:19]
.LBB111_60:                             ;   in Loop: Header=BB111_55 Depth=1
	s_or_b64 exec, exec, s[0:1]
	s_mov_b32 s21, s20
	s_mov_b32 s22, s20
	;; [unrolled: 1-line block ×7, first 2 shown]
	v_pk_mov_b32 v[10:11], s[20:21], s[20:21] op_sel:[0,1]
	v_add_co_u32_e32 v4, vcc, 0xffffffc1, v95
	v_pk_mov_b32 v[16:17], s[26:27], s[26:27] op_sel:[0,1]
	v_addc_co_u32_e32 v5, vcc, -1, v96, vcc
	v_pk_mov_b32 v[12:13], s[22:23], s[22:23] op_sel:[0,1]
	v_pk_mov_b32 v[14:15], s[24:25], s[24:25] op_sel:[0,1]
	;; [unrolled: 1-line block ×3, first 2 shown]
	v_cmp_gt_i64_e32 vcc, s[12:13], v[4:5]
	v_pk_mov_b32 v[22:23], v[14:15], v[14:15] op_sel:[0,1]
	v_pk_mov_b32 v[20:21], v[12:13], v[12:13] op_sel:[0,1]
	;; [unrolled: 1-line block ×3, first 2 shown]
	s_and_saveexec_b64 s[0:1], vcc
	s_cbranch_execz .LBB111_62
; %bb.61:                               ;   in Loop: Header=BB111_55 Depth=1
	v_add_co_u32_e32 v4, vcc, v44, v90
	v_addc_co_u32_e32 v5, vcc, v1, v91, vcc
	global_load_ushort v2, v[4:5], off
	v_add_co_u32_e32 v4, vcc, v60, v90
	v_addc_co_u32_e32 v5, vcc, v29, v91, vcc
	global_load_ushort v10, v[4:5], off
	v_mov_b32_e32 v8, v3
	v_mov_b32_e32 v9, v3
	;; [unrolled: 1-line block ×13, first 2 shown]
	s_waitcnt vmcnt(1)
	v_lshlrev_b32_e32 v2, 16, v2
	v_pk_mov_b32 v[24:25], v[8:9], v[8:9] op_sel:[0,1]
	v_pk_mov_b32 v[22:23], v[6:7], v[6:7] op_sel:[0,1]
	v_pk_mov_b32 v[20:21], v[4:5], v[4:5] op_sel:[0,1]
	v_pk_mov_b32 v[18:19], v[2:3], v[2:3] op_sel:[0,1]
	s_waitcnt vmcnt(0)
	v_lshlrev_b32_e32 v10, 16, v10
.LBB111_62:                             ;   in Loop: Header=BB111_55 Depth=1
	s_or_b64 exec, exec, s[0:1]
	v_add_co_u32_e32 v4, vcc, 0xffffffc2, v95
	v_addc_co_u32_e32 v5, vcc, -1, v96, vcc
	v_cmp_gt_i64_e32 vcc, s[12:13], v[4:5]
	s_and_saveexec_b64 s[0:1], vcc
	s_cbranch_execz .LBB111_64
; %bb.63:                               ;   in Loop: Header=BB111_55 Depth=1
	v_add_co_u32_e32 v4, vcc, v86, v90
	v_addc_co_u32_e32 v5, vcc, v83, v91, vcc
	global_load_ushort v2, v[4:5], off
	v_add_co_u32_e32 v4, vcc, v88, v90
	v_addc_co_u32_e32 v5, vcc, v85, v91, vcc
	global_load_ushort v4, v[4:5], off
	s_waitcnt vmcnt(1)
	v_lshlrev_b32_e32 v19, 16, v2
	s_waitcnt vmcnt(0)
	v_lshlrev_b32_e32 v11, 16, v4
.LBB111_64:                             ;   in Loop: Header=BB111_55 Depth=1
	s_or_b64 exec, exec, s[0:1]
	v_add_co_u32_e32 v4, vcc, 0xffffffc3, v95
	v_addc_co_u32_e32 v5, vcc, -1, v96, vcc
	v_cmp_gt_i64_e32 vcc, s[12:13], v[4:5]
	s_and_saveexec_b64 s[0:1], vcc
	s_cbranch_execz .LBB111_66
; %bb.65:                               ;   in Loop: Header=BB111_55 Depth=1
	v_add_co_u32_e32 v4, vcc, v82, v90
	v_addc_co_u32_e32 v5, vcc, v79, v91, vcc
	global_load_ushort v2, v[4:5], off
	v_add_co_u32_e32 v4, vcc, v84, v90
	v_addc_co_u32_e32 v5, vcc, v81, v91, vcc
	global_load_ushort v4, v[4:5], off
	s_waitcnt vmcnt(1)
	v_lshlrev_b32_e32 v20, 16, v2
	s_waitcnt vmcnt(0)
	v_lshlrev_b32_e32 v12, 16, v4
.LBB111_66:                             ;   in Loop: Header=BB111_55 Depth=1
	;; [unrolled: 18-line block ×7, first 2 shown]
	s_or_b64 exec, exec, s[0:1]
	s_waitcnt vmcnt(1)
	ds_bpermute_b32 v2, v94, v27
	s_waitcnt vmcnt(0)
	ds_bpermute_b32 v4, v94, v26
	ds_bpermute_b32 v7, v94, v27 offset:4
	ds_bpermute_b32 v6, v94, v26 offset:4
	;; [unrolled: 1-line block ×3, first 2 shown]
	s_waitcnt lgkmcnt(4)
	v_sub_f32_e32 v2, v10, v2
	v_mul_f32_e32 v2, v18, v2
	s_waitcnt lgkmcnt(3)
	v_mul_f32_e32 v5, v2, v4
	ds_bpermute_b32 v4, v94, v26 offset:8
	s_waitcnt lgkmcnt(3)
	v_sub_f32_e32 v2, v11, v7
	v_mul_f32_e32 v2, v19, v2
	s_waitcnt lgkmcnt(2)
	v_mul_f32_e32 v7, v2, v6
	s_waitcnt lgkmcnt(1)
	v_sub_f32_e32 v2, v12, v8
	ds_bpermute_b32 v6, v94, v27 offset:12
	v_mul_f32_e32 v2, v20, v2
	s_waitcnt lgkmcnt(1)
	v_mul_f32_e32 v9, v2, v4
	ds_bpermute_b32 v2, v94, v26 offset:12
	ds_bpermute_b32 v4, v94, v27 offset:16
	;; [unrolled: 1-line block ×3, first 2 shown]
	s_waitcnt lgkmcnt(3)
	v_sub_f32_e32 v6, v13, v6
	v_mul_f32_e32 v6, v21, v6
	s_waitcnt lgkmcnt(2)
	v_mul_f32_e32 v11, v6, v2
	s_waitcnt lgkmcnt(1)
	v_sub_f32_e32 v2, v14, v4
	ds_bpermute_b32 v4, v94, v27 offset:20
	v_mul_f32_e32 v2, v22, v2
	s_waitcnt lgkmcnt(1)
	v_mul_f32_e32 v13, v2, v8
	ds_bpermute_b32 v2, v94, v26 offset:20
	ds_bpermute_b32 v6, v94, v27 offset:24
	;; [unrolled: 1-line block ×3, first 2 shown]
	s_waitcnt lgkmcnt(3)
	v_sub_f32_e32 v4, v15, v4
	v_mul_f32_e32 v4, v23, v4
	s_waitcnt lgkmcnt(2)
	v_mul_f32_e32 v15, v4, v2
	s_waitcnt lgkmcnt(1)
	v_sub_f32_e32 v2, v16, v6
	v_mul_f32_e32 v2, v24, v2
	s_waitcnt lgkmcnt(0)
	v_mul_f32_e32 v99, v2, v8
	v_mov_b32_e32 v4, v18
	ds_bpermute_b32 v2, v94, v27 offset:28
	v_pk_add_f32 v[4:5], v[92:93], v[4:5]
	v_mov_b32_e32 v6, v19
	v_pk_add_f32 v[4:5], v[6:7], v[4:5]
	v_mov_b32_e32 v8, v20
	ds_bpermute_b32 v6, v94, v26 offset:28
	v_pk_add_f32 v[4:5], v[8:9], v[4:5]
	v_mov_b32_e32 v10, v21
	v_pk_add_f32 v[4:5], v[10:11], v[4:5]
	v_mov_b32_e32 v12, v22
	;; [unrolled: 2-line block ×3, first 2 shown]
	s_waitcnt lgkmcnt(1)
	v_sub_f32_e32 v2, v17, v2
	v_pk_add_f32 v[4:5], v[14:15], v[4:5]
	v_mov_b32_e32 v98, v24
	v_mul_f32_e32 v2, v25, v2
	v_pk_add_f32 v[4:5], v[98:99], v[4:5]
	s_waitcnt lgkmcnt(0)
	v_mul_f32_e32 v7, v2, v6
	v_mov_b32_e32 v6, v25
	v_pk_add_f32 v[26:27], v[6:7], v[4:5]
	s_branch .LBB111_54
.LBB111_77:                             ;   in Loop: Header=BB111_55 Depth=1
                                        ; implicit-def: $vgpr27
	s_cbranch_execz .LBB111_54
; %bb.78:                               ;   in Loop: Header=BB111_55 Depth=1
	s_load_dword s0, s[2:3], 0x0
	v_mov_b32_e32 v2, 0
	v_mov_b32_e32 v6, 0
	s_waitcnt lgkmcnt(0)
	s_cmp_lt_u32 s6, s0
	s_cselect_b32 s0, 12, 18
	s_add_u32 s0, s2, s0
	s_addc_u32 s1, s3, 0
	global_load_ushort v4, v3, s[0:1]
	s_waitcnt vmcnt(0)
	v_mad_u32_u24 v4, v87, v4, v89
	v_and_b32_e32 v4, 63, v4
	v_cmp_gt_u32_e32 vcc, 8, v4
	s_and_saveexec_b64 s[0:1], vcc
	s_cbranch_execz .LBB111_53
; %bb.79:                               ;   in Loop: Header=BB111_55 Depth=1
	v_add_co_u32_e32 v2, vcc, v95, v4
	v_addc_co_u32_e32 v5, vcc, 0, v96, vcc
	v_add_co_u32_e32 v4, vcc, 0xffffffc1, v2
	v_addc_co_u32_e32 v5, vcc, -1, v5, vcc
	v_cmp_gt_i64_e32 vcc, s[12:13], v[4:5]
	v_mov_b32_e32 v6, 0
	v_mov_b32_e32 v2, 0
	s_and_saveexec_b64 s[18:19], vcc
	s_cbranch_execz .LBB111_52
; %bb.80:                               ;   in Loop: Header=BB111_55 Depth=1
	v_lshlrev_b64 v[4:5], 2, v[4:5]
	v_mov_b32_e32 v2, s31
	v_add_co_u32_e32 v8, vcc, s30, v4
	v_addc_co_u32_e32 v9, vcc, v2, v5, vcc
	v_mov_b32_e32 v2, s29
	v_add_co_u32_e32 v4, vcc, s28, v4
	v_addc_co_u32_e32 v5, vcc, v2, v5, vcc
	global_load_dword v6, v[4:5], off
	global_load_dword v2, v[8:9], off
	s_branch .LBB111_52
.LBB111_81:
	v_and_b32_e32 v2, 0x3ff, v0
	v_bfe_u32 v0, v0, 10, 10
	v_mad_u32_u24 v1, v0, 33, v2
	v_lshl_add_u32 v3, v1, 2, 0
	v_sub_u32_e32 v1, v1, v0
	s_movk_i32 s0, 0x800
	s_mov_b32 s7, 0
	v_cmp_gt_u32_e32 vcc, s0, v1
	ds_write_b32 v3, v27
	ds_write_b32 v3, v26 offset:1056
	s_waitcnt lgkmcnt(0)
	s_barrier
	s_and_saveexec_b64 s[0:1], vcc
	s_cbranch_execz .LBB111_91
; %bb.82:
	v_mbcnt_lo_u32_b32 v3, -1, 0
	v_mbcnt_hi_u32_b32 v3, -1, v3
	v_and_b32_e32 v4, 64, v3
	v_add_u32_e32 v4, 64, v4
	v_cmp_eq_u32_e64 s[2:3], 0, v2
	v_xor_b32_e32 v2, 4, v3
	v_cmp_lt_i32_e32 vcc, v2, v4
	s_load_dwordx4 s[8:11], s[4:5], 0x30
	v_cndmask_b32_e32 v2, v3, v2, vcc
	v_lshlrev_b32_e32 v8, 2, v2
	v_xor_b32_e32 v2, 2, v3
	v_cmp_lt_i32_e32 vcc, v2, v4
	v_cndmask_b32_e32 v2, v3, v2, vcc
	s_lshl_b64 s[12:13], s[6:7], 5
	v_lshlrev_b32_e32 v9, 2, v2
	v_xor_b32_e32 v2, 1, v3
	s_waitcnt lgkmcnt(0)
	s_cmp_lg_u64 s[8:9], 0
	v_cmp_lt_i32_e32 vcc, v2, v4
	v_lshrrev_b32_e32 v0, 6, v1
	s_cselect_b64 s[4:5], -1, 0
	s_cmp_lg_u64 s[10:11], 0
	v_cndmask_b32_e32 v2, v3, v2, vcc
	s_cselect_b64 s[18:19], -1, 0
	v_lshlrev_b32_e32 v10, 2, v2
	s_lshl_b64 s[6:7], s[6:7], 6
	v_lshlrev_b32_e32 v2, 1, v0
	v_mov_b32_e32 v3, s7
	v_add_co_u32_e32 v4, vcc, s6, v2
	v_and_b32_e32 v6, 63, v1
	v_addc_co_u32_e32 v5, vcc, 0, v3, vcc
	v_cmp_gt_u32_e64 s[0:1], 8, v6
	v_mov_b32_e32 v3, s11
	v_add_co_u32_e32 v2, vcc, s10, v4
	v_mad_u32_u24 v6, v6, 33, v0
	v_addc_co_u32_e32 v3, vcc, v3, v5, vcc
	v_lshl_add_u32 v11, v6, 2, 0
	v_cndmask_b32_e64 v6, 0, 1, s[4:5]
	v_mov_b32_e32 v7, s9
	v_add_co_u32_e32 v4, vcc, s8, v4
	v_cmp_ne_u32_e64 s[4:5], 1, v6
	v_cndmask_b32_e64 v6, 0, 1, s[18:19]
	v_mov_b32_e32 v1, 0
	s_mov_b64 s[16:17], 0
	v_addc_co_u32_e32 v5, vcc, v7, v5, vcc
	v_mov_b32_e32 v12, s13
	s_movk_i32 s10, 0x7fff
	v_cmp_ne_u32_e64 s[6:7], 1, v6
	v_mov_b32_e32 v13, 0x7fc0
                                        ; implicit-def: $vgpr6
	s_branch .LBB111_84
.LBB111_83:                             ;   in Loop: Header=BB111_84 Depth=1
	s_or_b64 exec, exec, s[8:9]
	v_add_co_u32_e32 v0, vcc, 4, v0
	v_addc_co_u32_e32 v1, vcc, 0, v1, vcc
	v_add_co_u32_e32 v2, vcc, 8, v2
	v_addc_co_u32_e32 v3, vcc, 0, v3, vcc
	v_add_co_u32_e32 v4, vcc, 8, v4
	v_add_u32_e32 v14, -4, v0
	v_addc_co_u32_e32 v5, vcc, 0, v5, vcc
	v_cmp_lt_u32_e32 vcc, 27, v14
	s_or_b64 s[16:17], vcc, s[16:17]
	v_add_u32_e32 v11, 16, v11
	s_andn2_b64 exec, exec, s[16:17]
	s_cbranch_execz .LBB111_91
.LBB111_84:                             ; =>This Inner Loop Header: Depth=1
	s_and_saveexec_b64 s[8:9], s[0:1]
	s_cbranch_execz .LBB111_86
; %bb.85:                               ;   in Loop: Header=BB111_84 Depth=1
	ds_read_b32 v7, v11
	ds_read_b32 v6, v11 offset:1056
.LBB111_86:                             ;   in Loop: Header=BB111_84 Depth=1
	s_or_b64 exec, exec, s[8:9]
	s_waitcnt lgkmcnt(1)
	ds_bpermute_b32 v15, v8, v7
	s_waitcnt lgkmcnt(1)
	ds_bpermute_b32 v14, v8, v6
	v_add_co_u32_e32 v16, vcc, s12, v0
	v_addc_co_u32_e32 v17, vcc, v12, v1, vcc
	s_waitcnt lgkmcnt(0)
	v_pk_add_f32 v[6:7], v[6:7], v[14:15]
	ds_bpermute_b32 v15, v9, v7
	ds_bpermute_b32 v14, v9, v6
	v_cmp_gt_i64_e32 vcc, s[14:15], v[16:17]
	s_and_b64 s[18:19], s[2:3], vcc
	s_waitcnt lgkmcnt(0)
	v_pk_add_f32 v[6:7], v[6:7], v[14:15]
	ds_bpermute_b32 v15, v10, v7
	ds_bpermute_b32 v14, v10, v6
	s_waitcnt lgkmcnt(0)
	v_pk_add_f32 v[6:7], v[6:7], v[14:15]
	s_and_saveexec_b64 s[8:9], s[18:19]
	s_cbranch_execz .LBB111_83
; %bb.87:                               ;   in Loop: Header=BB111_84 Depth=1
	s_and_b64 vcc, exec, s[4:5]
	s_cbranch_vccnz .LBB111_89
; %bb.88:                               ;   in Loop: Header=BB111_84 Depth=1
	v_bfe_u32 v14, v7, 16, 1
	v_add3_u32 v14, v7, v14, s10
	v_lshrrev_b32_e32 v14, 16, v14
	v_cmp_o_f32_e32 vcc, v7, v7
	v_cndmask_b32_e32 v14, v13, v14, vcc
	global_store_short v[4:5], v14, off
.LBB111_89:                             ;   in Loop: Header=BB111_84 Depth=1
	s_and_b64 vcc, exec, s[6:7]
	s_cbranch_vccnz .LBB111_83
; %bb.90:                               ;   in Loop: Header=BB111_84 Depth=1
	v_bfe_u32 v14, v6, 16, 1
	v_add3_u32 v14, v6, v14, s10
	v_lshrrev_b32_e32 v14, 16, v14
	v_cmp_o_f32_e32 vcc, v6, v6
	v_cndmask_b32_e32 v14, v13, v14, vcc
	global_store_short v[2:3], v14, off
	s_branch .LBB111_83
.LBB111_91:
	s_endpgm
	.section	.rodata,"a",@progbits
	.p2align	6, 0x0
	.amdhsa_kernel _ZN2at6native12_GLOBAL__N_135GammaBetaBackwardCUDAKernelTemplateIN3c108BFloat16EfLj32ELj8ELj64ELb0ELb0ELb0EEEvllPKT_S7_PKT0_SA_PS5_SB_
		.amdhsa_group_segment_fixed_size 0
		.amdhsa_private_segment_fixed_size 0
		.amdhsa_kernarg_size 320
		.amdhsa_user_sgpr_count 6
		.amdhsa_user_sgpr_private_segment_buffer 1
		.amdhsa_user_sgpr_dispatch_ptr 0
		.amdhsa_user_sgpr_queue_ptr 0
		.amdhsa_user_sgpr_kernarg_segment_ptr 1
		.amdhsa_user_sgpr_dispatch_id 0
		.amdhsa_user_sgpr_flat_scratch_init 0
		.amdhsa_user_sgpr_kernarg_preload_length 0
		.amdhsa_user_sgpr_kernarg_preload_offset 0
		.amdhsa_user_sgpr_private_segment_size 0
		.amdhsa_uses_dynamic_stack 0
		.amdhsa_system_sgpr_private_segment_wavefront_offset 0
		.amdhsa_system_sgpr_workgroup_id_x 1
		.amdhsa_system_sgpr_workgroup_id_y 1
		.amdhsa_system_sgpr_workgroup_id_z 0
		.amdhsa_system_sgpr_workgroup_info 0
		.amdhsa_system_vgpr_workitem_id 1
		.amdhsa_next_free_vgpr 100
		.amdhsa_next_free_sgpr 44
		.amdhsa_accum_offset 100
		.amdhsa_reserve_vcc 1
		.amdhsa_reserve_flat_scratch 0
		.amdhsa_float_round_mode_32 0
		.amdhsa_float_round_mode_16_64 0
		.amdhsa_float_denorm_mode_32 3
		.amdhsa_float_denorm_mode_16_64 3
		.amdhsa_dx10_clamp 1
		.amdhsa_ieee_mode 1
		.amdhsa_fp16_overflow 0
		.amdhsa_tg_split 0
		.amdhsa_exception_fp_ieee_invalid_op 0
		.amdhsa_exception_fp_denorm_src 0
		.amdhsa_exception_fp_ieee_div_zero 0
		.amdhsa_exception_fp_ieee_overflow 0
		.amdhsa_exception_fp_ieee_underflow 0
		.amdhsa_exception_fp_ieee_inexact 0
		.amdhsa_exception_int_div_zero 0
	.end_amdhsa_kernel
	.section	.text._ZN2at6native12_GLOBAL__N_135GammaBetaBackwardCUDAKernelTemplateIN3c108BFloat16EfLj32ELj8ELj64ELb0ELb0ELb0EEEvllPKT_S7_PKT0_SA_PS5_SB_,"axG",@progbits,_ZN2at6native12_GLOBAL__N_135GammaBetaBackwardCUDAKernelTemplateIN3c108BFloat16EfLj32ELj8ELj64ELb0ELb0ELb0EEEvllPKT_S7_PKT0_SA_PS5_SB_,comdat
.Lfunc_end111:
	.size	_ZN2at6native12_GLOBAL__N_135GammaBetaBackwardCUDAKernelTemplateIN3c108BFloat16EfLj32ELj8ELj64ELb0ELb0ELb0EEEvllPKT_S7_PKT0_SA_PS5_SB_, .Lfunc_end111-_ZN2at6native12_GLOBAL__N_135GammaBetaBackwardCUDAKernelTemplateIN3c108BFloat16EfLj32ELj8ELj64ELb0ELb0ELb0EEEvllPKT_S7_PKT0_SA_PS5_SB_
                                        ; -- End function
	.section	.AMDGPU.csdata,"",@progbits
; Kernel info:
; codeLenInByte = 7856
; NumSgprs: 48
; NumVgprs: 100
; NumAgprs: 0
; TotalNumVgprs: 100
; ScratchSize: 0
; MemoryBound: 0
; FloatMode: 240
; IeeeMode: 1
; LDSByteSize: 0 bytes/workgroup (compile time only)
; SGPRBlocks: 5
; VGPRBlocks: 12
; NumSGPRsForWavesPerEU: 48
; NumVGPRsForWavesPerEU: 100
; AccumOffset: 100
; Occupancy: 4
; WaveLimiterHint : 0
; COMPUTE_PGM_RSRC2:SCRATCH_EN: 0
; COMPUTE_PGM_RSRC2:USER_SGPR: 6
; COMPUTE_PGM_RSRC2:TRAP_HANDLER: 0
; COMPUTE_PGM_RSRC2:TGID_X_EN: 1
; COMPUTE_PGM_RSRC2:TGID_Y_EN: 1
; COMPUTE_PGM_RSRC2:TGID_Z_EN: 0
; COMPUTE_PGM_RSRC2:TIDIG_COMP_CNT: 1
; COMPUTE_PGM_RSRC3_GFX90A:ACCUM_OFFSET: 24
; COMPUTE_PGM_RSRC3_GFX90A:TG_SPLIT: 0
	.section	.text._ZN2at6native12_GLOBAL__N_135GammaBetaBackwardCUDAKernelTemplateIN3c108BFloat16EfLj32ELj16ELj128ELb0ELb1ELb0EEEvllPKT_S7_PKT0_SA_PS5_SB_,"axG",@progbits,_ZN2at6native12_GLOBAL__N_135GammaBetaBackwardCUDAKernelTemplateIN3c108BFloat16EfLj32ELj16ELj128ELb0ELb1ELb0EEEvllPKT_S7_PKT0_SA_PS5_SB_,comdat
	.globl	_ZN2at6native12_GLOBAL__N_135GammaBetaBackwardCUDAKernelTemplateIN3c108BFloat16EfLj32ELj16ELj128ELb0ELb1ELb0EEEvllPKT_S7_PKT0_SA_PS5_SB_ ; -- Begin function _ZN2at6native12_GLOBAL__N_135GammaBetaBackwardCUDAKernelTemplateIN3c108BFloat16EfLj32ELj16ELj128ELb0ELb1ELb0EEEvllPKT_S7_PKT0_SA_PS5_SB_
	.p2align	8
	.type	_ZN2at6native12_GLOBAL__N_135GammaBetaBackwardCUDAKernelTemplateIN3c108BFloat16EfLj32ELj16ELj128ELb0ELb1ELb0EEEvllPKT_S7_PKT0_SA_PS5_SB_,@function
_ZN2at6native12_GLOBAL__N_135GammaBetaBackwardCUDAKernelTemplateIN3c108BFloat16EfLj32ELj16ELj128ELb0ELb1ELb0EEEvllPKT_S7_PKT0_SA_PS5_SB_: ; @_ZN2at6native12_GLOBAL__N_135GammaBetaBackwardCUDAKernelTemplateIN3c108BFloat16EfLj32ELj16ELj128ELb0ELb1ELb0EEEvllPKT_S7_PKT0_SA_PS5_SB_
; %bb.0:
	s_load_dwordx4 s[20:23], s[4:5], 0x0
	s_lshl_b32 s2, s7, 7
	s_mov_b32 s3, 0
	v_bfe_u32 v12, v0, 10, 10
	s_waitcnt lgkmcnt(0)
	v_pk_mov_b32 v[2:3], s[20:21], s[20:21] op_sel:[0,1]
	v_cmp_lt_i64_e32 vcc, s[2:3], v[2:3]
	s_cbranch_vccnz .LBB112_2
; %bb.1:
	s_mov_b64 s[0:1], 0
	v_bfe_u32 v2, v0, 10, 10
	s_branch .LBB112_3
.LBB112_2:
	s_mov_b64 s[0:1], -1
                                        ; implicit-def: $vgpr2
.LBB112_3:
	s_load_dwordx4 s[16:19], s[4:5], 0x30
	v_and_b32_e32 v10, 0x3ff, v0
	s_andn2_b64 vcc, exec, s[0:1]
	v_mov_b32_e32 v1, s3
	v_mbcnt_lo_u32_b32 v11, -1, 0
	v_mov_b32_e32 v0, s3
	s_cbranch_vccnz .LBB112_11
; %bb.4:
	s_load_dword s0, s[4:5], 0x4c
	s_load_dword s7, s[4:5], 0x44
	s_load_dwordx8 s[8:15], s[4:5], 0x10
	v_mbcnt_hi_u32_b32 v4, -1, v11
	v_lshlrev_b32_e32 v2, 3, v12
	s_waitcnt lgkmcnt(0)
	s_and_b32 s0, s0, 0xffff
	v_lshlrev_b32_e32 v4, 2, v4
	v_mad_u32_u24 v0, v12, s0, v10
	v_and_b32_e32 v13, 0x100, v4
	v_mov_b32_e32 v4, s3
	v_add_co_u32_e32 v6, vcc, s2, v2
	v_and_b32_e32 v3, 63, v0
	v_addc_co_u32_e32 v7, vcc, 0, v4, vcc
	v_add_co_u32_e32 v2, vcc, v6, v3
	v_cmp_gt_u32_e64 s[0:1], 8, v3
	s_lshl_b32 s4, s7, 7
	v_addc_co_u32_e32 v3, vcc, 0, v7, vcc
	v_mul_lo_u32 v8, s23, v6
	v_mul_lo_u32 v9, s22, v7
	v_mad_u64_u32 v[6:7], s[26:27], s22, v6, 0
	v_mov_b32_e32 v1, 0
	v_lshl_add_u32 v0, s6, 5, v10
	v_add3_u32 v7, v7, v9, v8
	s_mul_i32 s7, s23, s4
	s_mul_hi_u32 s26, s22, s4
	s_mov_b32 s5, 0
	v_lshlrev_b64 v[6:7], 1, v[6:7]
	v_lshlrev_b64 v[8:9], 1, v[0:1]
	s_add_i32 s27, s26, s7
	s_mul_i32 s26, s22, s4
	s_lshl_b64 s[24:25], s[4:5], 2
	v_add_co_u32_e32 v6, vcc, v6, v8
	s_lshl_b64 s[26:27], s[26:27], 1
	s_lshl_b64 s[22:23], s[22:23], 1
	v_or_b32_e32 v14, 4, v13
	v_or_b32_e32 v15, 8, v13
	;; [unrolled: 1-line block ×7, first 2 shown]
	v_lshlrev_b64 v[4:5], 2, v[2:3]
	v_addc_co_u32_e32 v7, vcc, v7, v9, vcc
	v_mov_b32_e32 v21, s9
	v_mov_b32_e32 v22, s11
	;; [unrolled: 1-line block ×6, first 2 shown]
	v_pk_mov_b32 v[8:9], s[20:21], s[20:21] op_sel:[0,1]
	v_mov_b32_e32 v0, v1
	s_branch .LBB112_7
.LBB112_5:                              ;   in Loop: Header=BB112_7 Depth=1
	s_or_b64 exec, exec, s[30:31]
.LBB112_6:                              ;   in Loop: Header=BB112_7 Depth=1
	s_or_b64 exec, exec, s[28:29]
	v_add_co_u32_e32 v30, vcc, s8, v6
	v_addc_co_u32_e32 v31, vcc, v21, v7, vcc
	v_add_co_u32_e32 v32, vcc, s10, v6
	v_addc_co_u32_e32 v33, vcc, v22, v7, vcc
	global_load_ushort v29, v[30:31], off
	v_add_co_u32_e32 v30, vcc, s22, v30
	v_addc_co_u32_e32 v31, vcc, v31, v23, vcc
	global_load_ushort v34, v[32:33], off
	;; [unrolled: 3-line block ×13, first 2 shown]
	global_load_ushort v46, v[32:33], off
	v_add_co_u32_e32 v30, vcc, s22, v30
	v_addc_co_u32_e32 v31, vcc, v31, v23, vcc
	global_load_ushort v47, v[30:31], off
	v_add_co_u32_e32 v30, vcc, s22, v32
	v_addc_co_u32_e32 v31, vcc, v33, v23, vcc
	;; [unrolled: 3-line block ×3, first 2 shown]
	v_add_co_u32_e32 v2, vcc, s4, v2
	v_addc_co_u32_e32 v3, vcc, v3, v25, vcc
	s_waitcnt vmcnt(15)
	v_lshlrev_b32_e32 v30, 16, v29
	s_add_u32 s2, s2, s4
	v_add_co_u32_e32 v6, vcc, s26, v6
	s_addc_u32 s3, s3, 0
	s_waitcnt vmcnt(14)
	v_lshlrev_b32_e32 v29, 16, v34
	v_addc_co_u32_e32 v7, vcc, v7, v26, vcc
	v_cmp_lt_i64_e32 vcc, s[2:3], v[8:9]
	s_and_b64 vcc, exec, vcc
	s_waitcnt vmcnt(13)
	v_lshlrev_b32_e32 v32, 16, v35
	s_waitcnt vmcnt(12)
	v_lshlrev_b32_e32 v33, 16, v36
	;; [unrolled: 2-line block ×9, first 2 shown]
	ds_bpermute_b32 v43, v13, v28
	s_waitcnt vmcnt(4)
	v_lshlrev_b32_e32 v41, 16, v44
	s_waitcnt lgkmcnt(0)
	v_sub_f32_e32 v29, v29, v43
	ds_bpermute_b32 v43, v14, v28
	v_mul_f32_e32 v29, v29, v30
	s_waitcnt vmcnt(3)
	v_lshlrev_b32_e32 v42, 16, v45
	s_waitcnt vmcnt(2)
	v_lshlrev_b32_e32 v45, 16, v46
	ds_bpermute_b32 v46, v13, v27
	s_waitcnt lgkmcnt(1)
	v_sub_f32_e32 v33, v33, v43
	ds_bpermute_b32 v43, v15, v27
	v_mul_f32_e32 v33, v33, v32
	s_waitcnt vmcnt(1)
	v_lshlrev_b32_e32 v44, 16, v47
	s_waitcnt vmcnt(0)
	v_lshlrev_b32_e32 v47, 16, v31
	s_waitcnt lgkmcnt(1)
	v_mul_f32_e32 v31, v29, v46
	ds_bpermute_b32 v29, v14, v27
	ds_bpermute_b32 v46, v15, v28
	v_pk_add_f32 v[0:1], v[0:1], v[30:31]
	s_waitcnt lgkmcnt(1)
	v_mul_f32_e32 v33, v33, v29
	s_waitcnt lgkmcnt(0)
	v_sub_f32_e32 v29, v35, v46
	ds_bpermute_b32 v46, v16, v28
	v_mul_f32_e32 v29, v29, v34
	v_mul_f32_e32 v35, v29, v43
	ds_bpermute_b32 v29, v16, v27
	ds_bpermute_b32 v43, v17, v28
	s_waitcnt lgkmcnt(2)
	v_sub_f32_e32 v37, v37, v46
	ds_bpermute_b32 v46, v17, v27
	v_mul_f32_e32 v37, v37, v36
	s_waitcnt lgkmcnt(2)
	v_mul_f32_e32 v37, v37, v29
	s_waitcnt lgkmcnt(1)
	v_sub_f32_e32 v29, v39, v43
	ds_bpermute_b32 v43, v18, v28
	v_mul_f32_e32 v29, v29, v38
	s_waitcnt lgkmcnt(1)
	v_mul_f32_e32 v39, v29, v46
	ds_bpermute_b32 v29, v18, v27
	ds_bpermute_b32 v46, v19, v28
	;; [unrolled: 1-line block ×3, first 2 shown]
	s_waitcnt lgkmcnt(3)
	v_sub_f32_e32 v41, v41, v43
	ds_bpermute_b32 v43, v19, v27
	v_pk_add_f32 v[0:1], v[0:1], v[32:33]
	ds_bpermute_b32 v27, v20, v27
	v_mul_f32_e32 v41, v41, v40
	v_pk_add_f32 v[0:1], v[0:1], v[34:35]
	s_waitcnt lgkmcnt(4)
	v_mul_f32_e32 v41, v41, v29
	s_waitcnt lgkmcnt(3)
	v_sub_f32_e32 v29, v45, v46
	v_pk_add_f32 v[0:1], v[0:1], v[36:37]
	v_mul_f32_e32 v29, v29, v42
	v_pk_add_f32 v[0:1], v[0:1], v[38:39]
	s_waitcnt lgkmcnt(2)
	v_sub_f32_e32 v28, v47, v28
	s_waitcnt lgkmcnt(1)
	v_mul_f32_e32 v43, v29, v43
	v_pk_add_f32 v[0:1], v[0:1], v[40:41]
	v_mul_f32_e32 v28, v28, v44
	v_pk_add_f32 v[0:1], v[0:1], v[42:43]
	s_waitcnt lgkmcnt(0)
	v_mul_f32_e32 v45, v28, v27
	v_pk_add_f32 v[0:1], v[0:1], v[44:45]
	s_cbranch_vccz .LBB112_10
.LBB112_7:                              ; =>This Inner Loop Header: Depth=1
	v_mov_b32_e32 v27, 0
	v_mov_b32_e32 v28, 0
	s_and_saveexec_b64 s[28:29], s[0:1]
	s_cbranch_execz .LBB112_6
; %bb.8:                                ;   in Loop: Header=BB112_7 Depth=1
	v_cmp_gt_i64_e32 vcc, s[20:21], v[2:3]
	v_mov_b32_e32 v28, 0
	v_mov_b32_e32 v27, 0
	s_and_saveexec_b64 s[30:31], vcc
	s_cbranch_execz .LBB112_5
; %bb.9:                                ;   in Loop: Header=BB112_7 Depth=1
	v_mov_b32_e32 v27, s15
	v_add_co_u32_e32 v30, vcc, s14, v4
	v_addc_co_u32_e32 v31, vcc, v27, v5, vcc
	v_mov_b32_e32 v27, s13
	v_add_co_u32_e32 v32, vcc, s12, v4
	v_addc_co_u32_e32 v33, vcc, v27, v5, vcc
	global_load_dword v28, v[32:33], off
	global_load_dword v27, v[30:31], off
	s_branch .LBB112_5
.LBB112_10:
	v_mov_b32_e32 v2, v12
.LBB112_11:
	v_mad_u32_u24 v3, v2, 33, v10
	v_lshl_add_u32 v4, v3, 2, 0
	ds_write_b32 v4, v1
	ds_write_b32 v4, v0 offset:2112
	v_sub_u32_e32 v0, v3, v2
	s_movk_i32 s0, 0x800
	s_mov_b32 s7, 0
	v_cmp_gt_u32_e32 vcc, s0, v0
	s_waitcnt lgkmcnt(0)
	s_barrier
	s_and_saveexec_b64 s[0:1], vcc
	s_cbranch_execz .LBB112_21
; %bb.12:
	v_lshrrev_b32_e32 v4, 6, v0
	v_and_b32_e32 v5, 63, v0
	v_mbcnt_hi_u32_b32 v0, -1, v11
	v_and_b32_e32 v1, 64, v0
	v_add_u32_e32 v1, 64, v1
	v_xor_b32_e32 v2, 8, v0
	v_cmp_lt_i32_e32 vcc, v2, v1
	v_cndmask_b32_e32 v2, v0, v2, vcc
	v_lshlrev_b32_e32 v6, 2, v2
	v_xor_b32_e32 v2, 4, v0
	v_cmp_lt_i32_e32 vcc, v2, v1
	v_cndmask_b32_e32 v2, v0, v2, vcc
	v_lshlrev_b32_e32 v7, 2, v2
	v_xor_b32_e32 v2, 2, v0
	v_cmp_lt_i32_e32 vcc, v2, v1
	v_cndmask_b32_e32 v2, v0, v2, vcc
	v_lshlrev_b32_e32 v8, 2, v2
	v_xor_b32_e32 v2, 1, v0
	s_cmp_lg_u64 s[16:17], 0
	v_cmp_lt_i32_e32 vcc, v2, v1
	s_cselect_b64 s[4:5], -1, 0
	s_cmp_lg_u64 s[18:19], 0
	v_cndmask_b32_e32 v0, v0, v2, vcc
	s_cselect_b64 s[10:11], -1, 0
	v_lshlrev_b32_e32 v9, 2, v0
	s_lshl_b64 s[6:7], s[6:7], 6
	v_lshlrev_b32_e32 v0, 1, v4
	v_mov_b32_e32 v1, s7
	v_add_co_u32_e32 v2, vcc, s6, v0
	v_addc_co_u32_e32 v3, vcc, 0, v1, vcc
	v_mov_b32_e32 v1, s19
	v_add_co_u32_e32 v0, vcc, s18, v2
	v_addc_co_u32_e32 v1, vcc, v1, v3, vcc
	v_cmp_eq_u32_e64 s[2:3], 0, v10
	v_add_u32_e32 v10, -8, v4
	v_mov_b32_e32 v11, s17
	v_add_co_u32_e32 v2, vcc, s16, v2
	v_mad_u32_u24 v4, v5, 33, v4
	v_addc_co_u32_e32 v3, vcc, v11, v3, vcc
	v_lshl_add_u32 v11, v4, 2, 0
	v_cndmask_b32_e64 v4, 0, 1, s[4:5]
	v_cmp_ne_u32_e64 s[4:5], 1, v4
	v_cndmask_b32_e64 v4, 0, 1, s[10:11]
	v_cmp_gt_u32_e64 s[0:1], 16, v5
	s_mov_b64 s[8:9], 0
	s_movk_i32 s12, 0x7fff
	v_cmp_ne_u32_e64 s[6:7], 1, v4
	v_mov_b32_e32 v12, 0x7fc0
                                        ; implicit-def: $vgpr4
	s_branch .LBB112_14
.LBB112_13:                             ;   in Loop: Header=BB112_14 Depth=1
	s_or_b64 exec, exec, s[10:11]
	v_add_co_u32_e32 v0, vcc, 16, v0
	v_addc_co_u32_e32 v1, vcc, 0, v1, vcc
	v_add_co_u32_e32 v2, vcc, 16, v2
	v_add_u32_e32 v10, 8, v10
	v_addc_co_u32_e32 v3, vcc, 0, v3, vcc
	v_cmp_lt_u32_e32 vcc, 23, v10
	s_or_b64 s[8:9], vcc, s[8:9]
	v_add_u32_e32 v11, 32, v11
	s_andn2_b64 exec, exec, s[8:9]
	s_cbranch_execz .LBB112_21
.LBB112_14:                             ; =>This Inner Loop Header: Depth=1
	s_and_saveexec_b64 s[10:11], s[0:1]
	s_cbranch_execz .LBB112_16
; %bb.15:                               ;   in Loop: Header=BB112_14 Depth=1
	ds_read_b32 v5, v11
	ds_read_b32 v4, v11 offset:2112
.LBB112_16:                             ;   in Loop: Header=BB112_14 Depth=1
	s_or_b64 exec, exec, s[10:11]
	s_waitcnt lgkmcnt(1)
	ds_bpermute_b32 v15, v6, v5
	s_waitcnt lgkmcnt(1)
	ds_bpermute_b32 v14, v6, v4
	s_waitcnt lgkmcnt(0)
	v_pk_add_f32 v[4:5], v[4:5], v[14:15]
	ds_bpermute_b32 v15, v7, v5
	ds_bpermute_b32 v14, v7, v4
	s_waitcnt lgkmcnt(0)
	v_pk_add_f32 v[4:5], v[4:5], v[14:15]
	ds_bpermute_b32 v15, v8, v5
	;; [unrolled: 4-line block ×3, first 2 shown]
	ds_bpermute_b32 v14, v9, v4
	s_waitcnt lgkmcnt(0)
	v_pk_add_f32 v[4:5], v[4:5], v[14:15]
	s_and_saveexec_b64 s[10:11], s[2:3]
	s_cbranch_execz .LBB112_13
; %bb.17:                               ;   in Loop: Header=BB112_14 Depth=1
	s_and_b64 vcc, exec, s[4:5]
	s_cbranch_vccnz .LBB112_19
; %bb.18:                               ;   in Loop: Header=BB112_14 Depth=1
	v_bfe_u32 v13, v5, 16, 1
	v_add3_u32 v13, v5, v13, s12
	v_lshrrev_b32_e32 v13, 16, v13
	v_cmp_o_f32_e32 vcc, v5, v5
	v_cndmask_b32_e32 v13, v12, v13, vcc
	global_store_short v[2:3], v13, off
.LBB112_19:                             ;   in Loop: Header=BB112_14 Depth=1
	s_and_b64 vcc, exec, s[6:7]
	s_cbranch_vccnz .LBB112_13
; %bb.20:                               ;   in Loop: Header=BB112_14 Depth=1
	v_bfe_u32 v13, v4, 16, 1
	v_add3_u32 v13, v4, v13, s12
	v_lshrrev_b32_e32 v13, 16, v13
	v_cmp_o_f32_e32 vcc, v4, v4
	v_cndmask_b32_e32 v13, v12, v13, vcc
	global_store_short v[0:1], v13, off
	s_branch .LBB112_13
.LBB112_21:
	s_endpgm
	.section	.rodata,"a",@progbits
	.p2align	6, 0x0
	.amdhsa_kernel _ZN2at6native12_GLOBAL__N_135GammaBetaBackwardCUDAKernelTemplateIN3c108BFloat16EfLj32ELj16ELj128ELb0ELb1ELb0EEEvllPKT_S7_PKT0_SA_PS5_SB_
		.amdhsa_group_segment_fixed_size 0
		.amdhsa_private_segment_fixed_size 0
		.amdhsa_kernarg_size 320
		.amdhsa_user_sgpr_count 6
		.amdhsa_user_sgpr_private_segment_buffer 1
		.amdhsa_user_sgpr_dispatch_ptr 0
		.amdhsa_user_sgpr_queue_ptr 0
		.amdhsa_user_sgpr_kernarg_segment_ptr 1
		.amdhsa_user_sgpr_dispatch_id 0
		.amdhsa_user_sgpr_flat_scratch_init 0
		.amdhsa_user_sgpr_kernarg_preload_length 0
		.amdhsa_user_sgpr_kernarg_preload_offset 0
		.amdhsa_user_sgpr_private_segment_size 0
		.amdhsa_uses_dynamic_stack 0
		.amdhsa_system_sgpr_private_segment_wavefront_offset 0
		.amdhsa_system_sgpr_workgroup_id_x 1
		.amdhsa_system_sgpr_workgroup_id_y 1
		.amdhsa_system_sgpr_workgroup_id_z 0
		.amdhsa_system_sgpr_workgroup_info 0
		.amdhsa_system_vgpr_workitem_id 1
		.amdhsa_next_free_vgpr 48
		.amdhsa_next_free_sgpr 32
		.amdhsa_accum_offset 48
		.amdhsa_reserve_vcc 1
		.amdhsa_reserve_flat_scratch 0
		.amdhsa_float_round_mode_32 0
		.amdhsa_float_round_mode_16_64 0
		.amdhsa_float_denorm_mode_32 3
		.amdhsa_float_denorm_mode_16_64 3
		.amdhsa_dx10_clamp 1
		.amdhsa_ieee_mode 1
		.amdhsa_fp16_overflow 0
		.amdhsa_tg_split 0
		.amdhsa_exception_fp_ieee_invalid_op 0
		.amdhsa_exception_fp_denorm_src 0
		.amdhsa_exception_fp_ieee_div_zero 0
		.amdhsa_exception_fp_ieee_overflow 0
		.amdhsa_exception_fp_ieee_underflow 0
		.amdhsa_exception_fp_ieee_inexact 0
		.amdhsa_exception_int_div_zero 0
	.end_amdhsa_kernel
	.section	.text._ZN2at6native12_GLOBAL__N_135GammaBetaBackwardCUDAKernelTemplateIN3c108BFloat16EfLj32ELj16ELj128ELb0ELb1ELb0EEEvllPKT_S7_PKT0_SA_PS5_SB_,"axG",@progbits,_ZN2at6native12_GLOBAL__N_135GammaBetaBackwardCUDAKernelTemplateIN3c108BFloat16EfLj32ELj16ELj128ELb0ELb1ELb0EEEvllPKT_S7_PKT0_SA_PS5_SB_,comdat
.Lfunc_end112:
	.size	_ZN2at6native12_GLOBAL__N_135GammaBetaBackwardCUDAKernelTemplateIN3c108BFloat16EfLj32ELj16ELj128ELb0ELb1ELb0EEEvllPKT_S7_PKT0_SA_PS5_SB_, .Lfunc_end112-_ZN2at6native12_GLOBAL__N_135GammaBetaBackwardCUDAKernelTemplateIN3c108BFloat16EfLj32ELj16ELj128ELb0ELb1ELb0EEEvllPKT_S7_PKT0_SA_PS5_SB_
                                        ; -- End function
	.section	.AMDGPU.csdata,"",@progbits
; Kernel info:
; codeLenInByte = 1848
; NumSgprs: 36
; NumVgprs: 48
; NumAgprs: 0
; TotalNumVgprs: 48
; ScratchSize: 0
; MemoryBound: 0
; FloatMode: 240
; IeeeMode: 1
; LDSByteSize: 0 bytes/workgroup (compile time only)
; SGPRBlocks: 4
; VGPRBlocks: 5
; NumSGPRsForWavesPerEU: 36
; NumVGPRsForWavesPerEU: 48
; AccumOffset: 48
; Occupancy: 8
; WaveLimiterHint : 0
; COMPUTE_PGM_RSRC2:SCRATCH_EN: 0
; COMPUTE_PGM_RSRC2:USER_SGPR: 6
; COMPUTE_PGM_RSRC2:TRAP_HANDLER: 0
; COMPUTE_PGM_RSRC2:TGID_X_EN: 1
; COMPUTE_PGM_RSRC2:TGID_Y_EN: 1
; COMPUTE_PGM_RSRC2:TGID_Z_EN: 0
; COMPUTE_PGM_RSRC2:TIDIG_COMP_CNT: 1
; COMPUTE_PGM_RSRC3_GFX90A:ACCUM_OFFSET: 11
; COMPUTE_PGM_RSRC3_GFX90A:TG_SPLIT: 0
	.section	.text._ZN2at6native12_GLOBAL__N_135GammaBetaBackwardCUDAKernelTemplateIN3c108BFloat16EfLj32ELj16ELj128ELb0ELb0ELb0EEEvllPKT_S7_PKT0_SA_PS5_SB_,"axG",@progbits,_ZN2at6native12_GLOBAL__N_135GammaBetaBackwardCUDAKernelTemplateIN3c108BFloat16EfLj32ELj16ELj128ELb0ELb0ELb0EEEvllPKT_S7_PKT0_SA_PS5_SB_,comdat
	.globl	_ZN2at6native12_GLOBAL__N_135GammaBetaBackwardCUDAKernelTemplateIN3c108BFloat16EfLj32ELj16ELj128ELb0ELb0ELb0EEEvllPKT_S7_PKT0_SA_PS5_SB_ ; -- Begin function _ZN2at6native12_GLOBAL__N_135GammaBetaBackwardCUDAKernelTemplateIN3c108BFloat16EfLj32ELj16ELj128ELb0ELb0ELb0EEEvllPKT_S7_PKT0_SA_PS5_SB_
	.p2align	8
	.type	_ZN2at6native12_GLOBAL__N_135GammaBetaBackwardCUDAKernelTemplateIN3c108BFloat16EfLj32ELj16ELj128ELb0ELb0ELb0EEEvllPKT_S7_PKT0_SA_PS5_SB_,@function
_ZN2at6native12_GLOBAL__N_135GammaBetaBackwardCUDAKernelTemplateIN3c108BFloat16EfLj32ELj16ELj128ELb0ELb0ELb0EEEvllPKT_S7_PKT0_SA_PS5_SB_: ; @_ZN2at6native12_GLOBAL__N_135GammaBetaBackwardCUDAKernelTemplateIN3c108BFloat16EfLj32ELj16ELj128ELb0ELb0ELb0EEEvllPKT_S7_PKT0_SA_PS5_SB_
; %bb.0:
	s_load_dwordx8 s[12:19], s[4:5], 0x0
	s_load_dwordx4 s[28:31], s[4:5], 0x20
	s_lshl_b32 s33, s6, 5
	s_mov_b32 s20, 0
	s_or_b32 s0, s33, 31
	s_mov_b32 s1, s20
	s_waitcnt lgkmcnt(0)
	v_pk_mov_b32 v[2:3], s[14:15], s[14:15] op_sel:[0,1]
	v_cmp_ge_i64_e32 vcc, s[0:1], v[2:3]
	s_lshl_b32 s10, s7, 7
	s_mov_b32 s11, s20
	v_pk_mov_b32 v[2:3], s[12:13], s[12:13] op_sel:[0,1]
	v_cmp_lt_i64_e64 s[0:1], s[10:11], v[2:3]
	v_cndmask_b32_e64 v1, 0, 1, s[0:1]
	v_cmp_ne_u32_e64 s[0:1], 1, v1
	s_cbranch_vccz .LBB113_48
; %bb.1:
	v_mov_b32_e32 v27, 0
	s_and_b64 vcc, exec, s[0:1]
	v_mov_b32_e32 v26, v27
	s_cbranch_vccnz .LBB113_49
; %bb.2:
	v_and_b32_e32 v61, 0x3ff, v0
	v_bfe_u32 v63, v0, 10, 10
	v_add_u32_e32 v2, s33, v61
	v_mov_b32_e32 v3, 0
	v_lshlrev_b32_e32 v28, 3, v63
	v_cmp_gt_i64_e64 s[2:3], s[14:15], v[2:3]
	v_lshlrev_b64 v[30:31], 1, v[2:3]
	v_mov_b32_e32 v1, s11
	v_add_co_u32_e32 v2, vcc, s10, v28
	v_addc_co_u32_e32 v6, vcc, 0, v1, vcc
	v_add_co_u32_e32 v1, vcc, 7, v2
	v_addc_co_u32_e32 v4, vcc, 0, v6, vcc
	v_mul_lo_u32 v7, s15, v1
	v_mul_lo_u32 v8, s14, v4
	v_mad_u64_u32 v[4:5], s[8:9], s14, v1, 0
	s_load_dword s7, s[4:5], 0x44
	v_add3_u32 v5, v5, v8, v7
	v_lshlrev_b64 v[4:5], 1, v[4:5]
	v_mov_b32_e32 v7, s17
	v_add_co_u32_e32 v32, vcc, s16, v4
	v_addc_co_u32_e32 v1, vcc, v7, v5, vcc
	s_add_u32 s34, s4, 64
	v_mov_b32_e32 v8, s19
	v_add_co_u32_e32 v34, vcc, s18, v4
	s_addc_u32 s35, s5, 0
	s_waitcnt lgkmcnt(0)
	s_lshl_b32 s7, s7, 7
	v_addc_co_u32_e32 v29, vcc, v8, v5, vcc
	s_mul_i32 s8, s15, s7
	s_mul_hi_u32 s9, s14, s7
	v_add_co_u32_e32 v4, vcc, 6, v2
	s_add_i32 s9, s9, s8
	s_mul_i32 s8, s14, s7
	v_addc_co_u32_e32 v5, vcc, 0, v6, vcc
	s_lshl_b64 s[36:37], s[8:9], 1
	v_mul_lo_u32 v9, s15, v4
	v_mul_lo_u32 v10, s14, v5
	v_mad_u64_u32 v[4:5], s[8:9], s14, v4, 0
	v_add3_u32 v5, v5, v10, v9
	v_lshlrev_b64 v[4:5], 1, v[4:5]
	v_add_co_u32_e32 v36, vcc, s16, v4
	v_addc_co_u32_e32 v33, vcc, v7, v5, vcc
	v_add_co_u32_e32 v38, vcc, s18, v4
	v_addc_co_u32_e32 v35, vcc, v8, v5, vcc
	v_add_co_u32_e32 v4, vcc, 5, v2
	v_addc_co_u32_e32 v5, vcc, 0, v6, vcc
	v_mul_lo_u32 v9, s15, v4
	v_mul_lo_u32 v10, s14, v5
	v_mad_u64_u32 v[4:5], s[8:9], s14, v4, 0
	v_add3_u32 v5, v5, v10, v9
	v_lshlrev_b64 v[4:5], 1, v[4:5]
	v_add_co_u32_e32 v40, vcc, s16, v4
	v_addc_co_u32_e32 v37, vcc, v7, v5, vcc
	v_add_co_u32_e32 v42, vcc, s18, v4
	v_addc_co_u32_e32 v39, vcc, v8, v5, vcc
	v_add_co_u32_e32 v4, vcc, 4, v2
	v_addc_co_u32_e32 v5, vcc, 0, v6, vcc
	;; [unrolled: 11-line block ×4, first 2 shown]
	v_mul_lo_u32 v9, s15, v4
	v_mul_lo_u32 v10, s14, v5
	v_mad_u64_u32 v[4:5], s[8:9], s14, v4, 0
	v_add3_u32 v5, v5, v10, v9
	v_lshlrev_b64 v[4:5], 1, v[4:5]
	v_add_co_u32_e32 v52, vcc, s16, v4
	v_addc_co_u32_e32 v49, vcc, v7, v5, vcc
	v_add_co_u32_e32 v54, vcc, s18, v4
	v_addc_co_u32_e32 v51, vcc, v8, v5, vcc
	v_pk_mov_b32 v[4:5], s[14:15], s[14:15] op_sel:[0,1]
	v_mad_u64_u32 v[4:5], s[8:9], s14, v2, v[4:5]
	v_mul_lo_u32 v6, s14, v6
	v_mul_lo_u32 v9, s15, v2
	v_add3_u32 v5, v9, v5, v6
	v_lshlrev_b64 v[4:5], 1, v[4:5]
	v_add_co_u32_e32 v56, vcc, s16, v4
	v_addc_co_u32_e32 v53, vcc, v7, v5, vcc
	v_add_co_u32_e32 v58, vcc, s18, v4
	v_addc_co_u32_e32 v55, vcc, v8, v5, vcc
	v_mad_u64_u32 v[4:5], s[8:9], s14, v2, 0
	v_add3_u32 v5, v5, v6, v9
	v_lshlrev_b64 v[4:5], 1, v[4:5]
	v_add_co_u32_e32 v60, vcc, s16, v4
	v_mbcnt_lo_u32_b32 v2, -1, 0
	v_addc_co_u32_e32 v57, vcc, v7, v5, vcc
	v_mbcnt_hi_u32_b32 v2, -1, v2
	s_add_u32 s38, s10, 0x7f
	v_add_co_u32_e32 v62, vcc, s18, v4
	v_lshlrev_b32_e32 v2, 2, v2
	s_addc_u32 s39, 0, 0
	v_addc_co_u32_e32 v59, vcc, v8, v5, vcc
	v_and_b32_e32 v64, 0x100, v2
	s_mov_b64 s[40:41], s[10:11]
	v_mov_b32_e32 v26, v3
	v_mov_b32_e32 v27, v3
	s_branch .LBB113_5
.LBB113_3:                              ;   in Loop: Header=BB113_5 Depth=1
	s_or_b64 exec, exec, s[8:9]
	s_waitcnt vmcnt(1)
	ds_bpermute_b32 v2, v64, v68
	ds_bpermute_b32 v4, v64, v68 offset:4
	s_waitcnt vmcnt(0)
	ds_bpermute_b32 v5, v64, v67
	ds_bpermute_b32 v6, v64, v67 offset:4
	ds_bpermute_b32 v8, v64, v67 offset:12
	s_waitcnt lgkmcnt(4)
	v_sub_f32_e32 v2, v10, v2
	v_mul_f32_e32 v2, v18, v2
	s_waitcnt lgkmcnt(3)
	v_sub_f32_e32 v4, v11, v4
	s_waitcnt lgkmcnt(2)
	v_mul_f32_e32 v5, v2, v5
	ds_bpermute_b32 v2, v64, v68 offset:8
	v_mul_f32_e32 v4, v19, v4
	s_waitcnt lgkmcnt(2)
	v_mul_f32_e32 v7, v4, v6
	ds_bpermute_b32 v4, v64, v67 offset:8
	ds_bpermute_b32 v6, v64, v68 offset:12
	s_waitcnt lgkmcnt(2)
	v_sub_f32_e32 v2, v12, v2
	v_mul_f32_e32 v2, v20, v2
	v_mov_b32_e32 v10, v21
	s_waitcnt lgkmcnt(1)
	v_mul_f32_e32 v9, v2, v4
	s_waitcnt lgkmcnt(0)
	v_sub_f32_e32 v2, v13, v6
	ds_bpermute_b32 v4, v64, v68 offset:16
	v_mul_f32_e32 v2, v21, v2
	v_mul_f32_e32 v11, v2, v8
	ds_bpermute_b32 v2, v64, v67 offset:16
	ds_bpermute_b32 v6, v64, v68 offset:20
	;; [unrolled: 1-line block ×3, first 2 shown]
	s_waitcnt lgkmcnt(3)
	v_sub_f32_e32 v4, v14, v4
	v_mul_f32_e32 v4, v22, v4
	s_waitcnt lgkmcnt(2)
	v_mul_f32_e32 v13, v4, v2
	s_waitcnt lgkmcnt(1)
	v_sub_f32_e32 v2, v15, v6
	v_mul_f32_e32 v2, v23, v2
	s_waitcnt lgkmcnt(0)
	v_mul_f32_e32 v15, v2, v8
	v_mov_b32_e32 v4, v18
	ds_bpermute_b32 v2, v64, v68 offset:24
	v_pk_add_f32 v[4:5], v[26:27], v[4:5]
	v_mov_b32_e32 v6, v19
	v_pk_add_f32 v[4:5], v[6:7], v[4:5]
	ds_bpermute_b32 v7, v64, v67 offset:24
	v_mov_b32_e32 v8, v20
	v_pk_add_f32 v[4:5], v[8:9], v[4:5]
	v_pk_add_f32 v[4:5], v[10:11], v[4:5]
	v_mov_b32_e32 v12, v22
	s_waitcnt lgkmcnt(1)
	v_sub_f32_e32 v8, v16, v2
	v_pk_add_f32 v[4:5], v[12:13], v[4:5]
	v_mov_b32_e32 v14, v23
	v_mul_f32_e32 v8, v24, v8
	v_pk_add_f32 v[4:5], v[14:15], v[4:5]
	s_waitcnt lgkmcnt(0)
	v_mul_f32_e32 v9, v8, v7
	v_mov_b32_e32 v8, v24
	ds_bpermute_b32 v2, v64, v67 offset:28
	ds_bpermute_b32 v6, v64, v68 offset:28
	v_pk_add_f32 v[4:5], v[8:9], v[4:5]
.LBB113_4:                              ;   in Loop: Header=BB113_5 Depth=1
	s_waitcnt lgkmcnt(0)
	v_sub_f32_e32 v6, v17, v6
	v_mul_f32_e32 v6, v25, v6
	v_mul_f32_e32 v7, v6, v2
	v_mov_b32_e32 v2, s37
	v_add_co_u32_e32 v32, vcc, s36, v32
	v_addc_co_u32_e32 v1, vcc, v1, v2, vcc
	v_add_co_u32_e32 v34, vcc, s36, v34
	v_addc_co_u32_e32 v29, vcc, v29, v2, vcc
	;; [unrolled: 2-line block ×15, first 2 shown]
	v_mov_b32_e32 v6, v25
	s_add_u32 s40, s40, s7
	v_add_co_u32_e32 v62, vcc, s36, v62
	v_pk_add_f32 v[26:27], v[4:5], v[6:7]
	s_addc_u32 s41, s41, 0
	v_addc_co_u32_e32 v59, vcc, v59, v2, vcc
	v_pk_mov_b32 v[4:5], s[12:13], s[12:13] op_sel:[0,1]
	s_add_u32 s38, s38, s7
	v_cmp_lt_i64_e32 vcc, s[40:41], v[4:5]
	s_addc_u32 s39, s39, 0
	s_cbranch_vccz .LBB113_49
.LBB113_5:                              ; =>This Inner Loop Header: Depth=1
	v_pk_mov_b32 v[4:5], s[12:13], s[12:13] op_sel:[0,1]
	v_cmp_ge_i64_e32 vcc, s[38:39], v[4:5]
	v_mov_b32_e32 v2, s39
	v_add_co_u32_e64 v65, s[8:9], s38, v28
	v_addc_co_u32_e64 v66, s[8:9], 0, v2, s[8:9]
	s_cbranch_vccz .LBB113_27
; %bb.6:                                ;   in Loop: Header=BB113_5 Depth=1
	s_load_dword s8, s[34:35], 0xc
	v_mov_b32_e32 v67, 0
	v_mov_b32_e32 v68, 0
	s_waitcnt lgkmcnt(0)
	s_and_b32 s8, s8, 0xffff
	v_mad_u32_u24 v2, v63, s8, v61
	v_and_b32_e32 v2, 63, v2
	v_cmp_gt_u32_e32 vcc, 8, v2
	s_and_saveexec_b64 s[8:9], vcc
	s_cbranch_execz .LBB113_10
; %bb.7:                                ;   in Loop: Header=BB113_5 Depth=1
	v_add_co_u32_e32 v2, vcc, v65, v2
	v_addc_co_u32_e32 v5, vcc, 0, v66, vcc
	v_add_co_u32_e32 v4, vcc, 0xffffff81, v2
	v_addc_co_u32_e32 v5, vcc, -1, v5, vcc
	v_cmp_gt_i64_e32 vcc, s[12:13], v[4:5]
	v_mov_b32_e32 v68, 0
	v_mov_b32_e32 v67, 0
	s_and_saveexec_b64 s[22:23], vcc
	s_cbranch_execz .LBB113_9
; %bb.8:                                ;   in Loop: Header=BB113_5 Depth=1
	v_lshlrev_b64 v[4:5], 2, v[4:5]
	v_mov_b32_e32 v2, s31
	v_add_co_u32_e32 v6, vcc, s30, v4
	v_addc_co_u32_e32 v7, vcc, v2, v5, vcc
	v_mov_b32_e32 v2, s29
	v_add_co_u32_e32 v4, vcc, s28, v4
	v_addc_co_u32_e32 v5, vcc, v2, v5, vcc
	global_load_dword v68, v[4:5], off
	global_load_dword v67, v[6:7], off
.LBB113_9:                              ;   in Loop: Header=BB113_5 Depth=1
	s_or_b64 exec, exec, s[22:23]
.LBB113_10:                             ;   in Loop: Header=BB113_5 Depth=1
	s_or_b64 exec, exec, s[8:9]
	s_mov_b32 s21, s20
	v_add_co_u32_e32 v4, vcc, 0xffffff81, v65
	s_mov_b32 s22, s20
	s_mov_b32 s23, s20
	;; [unrolled: 1-line block ×6, first 2 shown]
	v_pk_mov_b32 v[10:11], s[20:21], s[20:21] op_sel:[0,1]
	v_addc_co_u32_e32 v5, vcc, -1, v66, vcc
	v_pk_mov_b32 v[16:17], s[26:27], s[26:27] op_sel:[0,1]
	v_cmp_gt_i64_e32 vcc, s[12:13], v[4:5]
	v_pk_mov_b32 v[12:13], s[22:23], s[22:23] op_sel:[0,1]
	v_pk_mov_b32 v[14:15], s[24:25], s[24:25] op_sel:[0,1]
	v_pk_mov_b32 v[24:25], v[16:17], v[16:17] op_sel:[0,1]
	s_and_b64 s[42:43], s[2:3], vcc
	v_pk_mov_b32 v[22:23], v[14:15], v[14:15] op_sel:[0,1]
	v_pk_mov_b32 v[20:21], v[12:13], v[12:13] op_sel:[0,1]
	;; [unrolled: 1-line block ×3, first 2 shown]
	s_and_saveexec_b64 s[8:9], s[42:43]
	s_cbranch_execz .LBB113_12
; %bb.11:                               ;   in Loop: Header=BB113_5 Depth=1
	v_add_co_u32_e32 v4, vcc, v60, v30
	v_addc_co_u32_e32 v5, vcc, v57, v31, vcc
	global_load_ushort v2, v[4:5], off
	v_add_co_u32_e32 v4, vcc, v62, v30
	v_addc_co_u32_e32 v5, vcc, v59, v31, vcc
	global_load_ushort v10, v[4:5], off
	v_mov_b32_e32 v8, v3
	v_mov_b32_e32 v9, v3
	;; [unrolled: 1-line block ×13, first 2 shown]
	s_waitcnt vmcnt(1)
	v_lshlrev_b32_e32 v2, 16, v2
	v_pk_mov_b32 v[24:25], v[8:9], v[8:9] op_sel:[0,1]
	v_pk_mov_b32 v[22:23], v[6:7], v[6:7] op_sel:[0,1]
	;; [unrolled: 1-line block ×4, first 2 shown]
	s_waitcnt vmcnt(0)
	v_lshlrev_b32_e32 v10, 16, v10
.LBB113_12:                             ;   in Loop: Header=BB113_5 Depth=1
	s_or_b64 exec, exec, s[8:9]
	v_add_co_u32_e32 v4, vcc, 0xffffff82, v65
	v_addc_co_u32_e32 v5, vcc, -1, v66, vcc
	v_cmp_gt_i64_e32 vcc, s[12:13], v[4:5]
	s_and_b64 s[22:23], s[2:3], vcc
	s_and_saveexec_b64 s[8:9], s[22:23]
	s_cbranch_execz .LBB113_14
; %bb.13:                               ;   in Loop: Header=BB113_5 Depth=1
	v_add_co_u32_e32 v4, vcc, v56, v30
	v_addc_co_u32_e32 v5, vcc, v53, v31, vcc
	global_load_ushort v2, v[4:5], off
	v_add_co_u32_e32 v4, vcc, v58, v30
	v_addc_co_u32_e32 v5, vcc, v55, v31, vcc
	global_load_ushort v4, v[4:5], off
	s_waitcnt vmcnt(1)
	v_lshlrev_b32_e32 v19, 16, v2
	s_waitcnt vmcnt(0)
	v_lshlrev_b32_e32 v11, 16, v4
.LBB113_14:                             ;   in Loop: Header=BB113_5 Depth=1
	s_or_b64 exec, exec, s[8:9]
	v_add_co_u32_e32 v4, vcc, 0xffffff83, v65
	v_addc_co_u32_e32 v5, vcc, -1, v66, vcc
	v_cmp_gt_i64_e32 vcc, s[12:13], v[4:5]
	s_and_b64 s[22:23], s[2:3], vcc
	s_and_saveexec_b64 s[8:9], s[22:23]
	s_cbranch_execz .LBB113_16
; %bb.15:                               ;   in Loop: Header=BB113_5 Depth=1
	v_add_co_u32_e32 v4, vcc, v52, v30
	v_addc_co_u32_e32 v5, vcc, v49, v31, vcc
	global_load_ushort v2, v[4:5], off
	v_add_co_u32_e32 v4, vcc, v54, v30
	v_addc_co_u32_e32 v5, vcc, v51, v31, vcc
	global_load_ushort v4, v[4:5], off
	s_waitcnt vmcnt(1)
	v_lshlrev_b32_e32 v20, 16, v2
	s_waitcnt vmcnt(0)
	v_lshlrev_b32_e32 v12, 16, v4
.LBB113_16:                             ;   in Loop: Header=BB113_5 Depth=1
	s_or_b64 exec, exec, s[8:9]
	v_add_co_u32_e32 v4, vcc, 0xffffff84, v65
	v_addc_co_u32_e32 v5, vcc, -1, v66, vcc
	v_cmp_gt_i64_e32 vcc, s[12:13], v[4:5]
	s_and_b64 s[22:23], s[2:3], vcc
	s_and_saveexec_b64 s[8:9], s[22:23]
	s_cbranch_execz .LBB113_18
; %bb.17:                               ;   in Loop: Header=BB113_5 Depth=1
	v_add_co_u32_e32 v4, vcc, v48, v30
	v_addc_co_u32_e32 v5, vcc, v45, v31, vcc
	global_load_ushort v2, v[4:5], off
	v_add_co_u32_e32 v4, vcc, v50, v30
	v_addc_co_u32_e32 v5, vcc, v47, v31, vcc
	global_load_ushort v4, v[4:5], off
	s_waitcnt vmcnt(1)
	v_lshlrev_b32_e32 v21, 16, v2
	s_waitcnt vmcnt(0)
	v_lshlrev_b32_e32 v13, 16, v4
.LBB113_18:                             ;   in Loop: Header=BB113_5 Depth=1
	s_or_b64 exec, exec, s[8:9]
	v_add_co_u32_e32 v4, vcc, 0xffffff85, v65
	v_addc_co_u32_e32 v5, vcc, -1, v66, vcc
	v_cmp_gt_i64_e32 vcc, s[12:13], v[4:5]
	s_and_b64 s[22:23], s[2:3], vcc
	s_and_saveexec_b64 s[8:9], s[22:23]
	s_cbranch_execz .LBB113_20
; %bb.19:                               ;   in Loop: Header=BB113_5 Depth=1
	v_add_co_u32_e32 v4, vcc, v44, v30
	v_addc_co_u32_e32 v5, vcc, v41, v31, vcc
	global_load_ushort v2, v[4:5], off
	v_add_co_u32_e32 v4, vcc, v46, v30
	v_addc_co_u32_e32 v5, vcc, v43, v31, vcc
	global_load_ushort v4, v[4:5], off
	s_waitcnt vmcnt(1)
	v_lshlrev_b32_e32 v22, 16, v2
	s_waitcnt vmcnt(0)
	v_lshlrev_b32_e32 v14, 16, v4
.LBB113_20:                             ;   in Loop: Header=BB113_5 Depth=1
	s_or_b64 exec, exec, s[8:9]
	v_add_co_u32_e32 v4, vcc, 0xffffff86, v65
	v_addc_co_u32_e32 v5, vcc, -1, v66, vcc
	v_cmp_gt_i64_e32 vcc, s[12:13], v[4:5]
	s_and_b64 s[22:23], s[2:3], vcc
	s_and_saveexec_b64 s[8:9], s[22:23]
	s_cbranch_execz .LBB113_22
; %bb.21:                               ;   in Loop: Header=BB113_5 Depth=1
	v_add_co_u32_e32 v4, vcc, v40, v30
	v_addc_co_u32_e32 v5, vcc, v37, v31, vcc
	global_load_ushort v2, v[4:5], off
	v_add_co_u32_e32 v4, vcc, v42, v30
	v_addc_co_u32_e32 v5, vcc, v39, v31, vcc
	global_load_ushort v4, v[4:5], off
	s_waitcnt vmcnt(1)
	v_lshlrev_b32_e32 v23, 16, v2
	s_waitcnt vmcnt(0)
	v_lshlrev_b32_e32 v15, 16, v4
.LBB113_22:                             ;   in Loop: Header=BB113_5 Depth=1
	s_or_b64 exec, exec, s[8:9]
	v_add_co_u32_e32 v4, vcc, 0xffffff87, v65
	v_addc_co_u32_e32 v5, vcc, -1, v66, vcc
	v_cmp_gt_i64_e32 vcc, s[12:13], v[4:5]
	s_and_b64 s[22:23], s[2:3], vcc
	s_and_saveexec_b64 s[8:9], s[22:23]
	s_cbranch_execz .LBB113_24
; %bb.23:                               ;   in Loop: Header=BB113_5 Depth=1
	v_add_co_u32_e32 v4, vcc, v36, v30
	v_addc_co_u32_e32 v5, vcc, v33, v31, vcc
	global_load_ushort v2, v[4:5], off
	v_add_co_u32_e32 v4, vcc, v38, v30
	v_addc_co_u32_e32 v5, vcc, v35, v31, vcc
	global_load_ushort v4, v[4:5], off
	s_waitcnt vmcnt(1)
	v_lshlrev_b32_e32 v24, 16, v2
	s_waitcnt vmcnt(0)
	v_lshlrev_b32_e32 v16, 16, v4
.LBB113_24:                             ;   in Loop: Header=BB113_5 Depth=1
	s_or_b64 exec, exec, s[8:9]
	v_add_co_u32_e32 v4, vcc, 0xffffff88, v65
	v_addc_co_u32_e32 v5, vcc, -1, v66, vcc
	v_cmp_gt_i64_e32 vcc, s[12:13], v[4:5]
	s_and_b64 s[22:23], s[2:3], vcc
	s_and_saveexec_b64 s[8:9], s[22:23]
	s_cbranch_execz .LBB113_26
; %bb.25:                               ;   in Loop: Header=BB113_5 Depth=1
	v_add_co_u32_e32 v4, vcc, v32, v30
	v_addc_co_u32_e32 v5, vcc, v1, v31, vcc
	global_load_ushort v2, v[4:5], off
	v_add_co_u32_e32 v4, vcc, v34, v30
	v_addc_co_u32_e32 v5, vcc, v29, v31, vcc
	global_load_ushort v4, v[4:5], off
	s_waitcnt vmcnt(1)
	v_lshlrev_b32_e32 v25, 16, v2
	s_waitcnt vmcnt(0)
	v_lshlrev_b32_e32 v17, 16, v4
.LBB113_26:                             ;   in Loop: Header=BB113_5 Depth=1
	s_or_b64 exec, exec, s[8:9]
	s_waitcnt vmcnt(1)
	ds_bpermute_b32 v2, v64, v68
	ds_bpermute_b32 v4, v64, v68 offset:4
	s_waitcnt vmcnt(0)
	ds_bpermute_b32 v5, v64, v67
	ds_bpermute_b32 v6, v64, v67 offset:4
	ds_bpermute_b32 v8, v64, v67 offset:12
	s_waitcnt lgkmcnt(4)
	v_sub_f32_e32 v2, v10, v2
	v_mul_f32_e32 v2, v18, v2
	s_waitcnt lgkmcnt(3)
	v_sub_f32_e32 v4, v11, v4
	s_waitcnt lgkmcnt(2)
	v_mul_f32_e32 v5, v2, v5
	ds_bpermute_b32 v2, v64, v68 offset:8
	v_mul_f32_e32 v4, v19, v4
	s_waitcnt lgkmcnt(2)
	v_mul_f32_e32 v7, v4, v6
	ds_bpermute_b32 v4, v64, v67 offset:8
	ds_bpermute_b32 v6, v64, v68 offset:12
	s_waitcnt lgkmcnt(2)
	v_sub_f32_e32 v2, v12, v2
	v_mul_f32_e32 v2, v20, v2
	v_mov_b32_e32 v10, v21
	s_waitcnt lgkmcnt(1)
	v_mul_f32_e32 v9, v2, v4
	s_waitcnt lgkmcnt(0)
	v_sub_f32_e32 v2, v13, v6
	ds_bpermute_b32 v4, v64, v68 offset:16
	v_mul_f32_e32 v2, v21, v2
	v_mul_f32_e32 v11, v2, v8
	ds_bpermute_b32 v2, v64, v67 offset:16
	ds_bpermute_b32 v6, v64, v68 offset:20
	;; [unrolled: 1-line block ×3, first 2 shown]
	s_waitcnt lgkmcnt(3)
	v_sub_f32_e32 v4, v14, v4
	v_mul_f32_e32 v4, v22, v4
	s_waitcnt lgkmcnt(2)
	v_mul_f32_e32 v13, v4, v2
	s_waitcnt lgkmcnt(1)
	v_sub_f32_e32 v2, v15, v6
	v_mul_f32_e32 v2, v23, v2
	s_waitcnt lgkmcnt(0)
	v_mul_f32_e32 v15, v2, v8
	ds_bpermute_b32 v2, v64, v68 offset:24
	v_mov_b32_e32 v4, v18
	v_pk_add_f32 v[4:5], v[26:27], v[4:5]
	v_mov_b32_e32 v6, v19
	v_pk_add_f32 v[4:5], v[6:7], v[4:5]
	ds_bpermute_b32 v7, v64, v67 offset:24
	v_mov_b32_e32 v8, v20
	s_waitcnt lgkmcnt(1)
	v_sub_f32_e32 v2, v16, v2
	v_pk_add_f32 v[4:5], v[8:9], v[4:5]
	v_mul_f32_e32 v8, v24, v2
	ds_bpermute_b32 v2, v64, v67 offset:28
	ds_bpermute_b32 v6, v64, v68 offset:28
	v_pk_add_f32 v[4:5], v[10:11], v[4:5]
	v_mov_b32_e32 v12, v22
	v_pk_add_f32 v[4:5], v[12:13], v[4:5]
	v_mov_b32_e32 v14, v23
	v_pk_add_f32 v[4:5], v[14:15], v[4:5]
	s_waitcnt lgkmcnt(2)
	v_mul_f32_e32 v9, v8, v7
	v_mov_b32_e32 v8, v24
	v_pk_add_f32 v[4:5], v[8:9], v[4:5]
	s_branch .LBB113_4
.LBB113_27:                             ;   in Loop: Header=BB113_5 Depth=1
                                        ; implicit-def: $vgpr4_vgpr5
                                        ; implicit-def: $vgpr2
                                        ; implicit-def: $vgpr10_vgpr11_vgpr12_vgpr13_vgpr14_vgpr15_vgpr16_vgpr17
                                        ; implicit-def: $vgpr18_vgpr19_vgpr20_vgpr21_vgpr22_vgpr23_vgpr24_vgpr25
                                        ; implicit-def: $vgpr6
	s_cbranch_execz .LBB113_4
; %bb.28:                               ;   in Loop: Header=BB113_5 Depth=1
	s_load_dword s8, s[34:35], 0x0
	v_mov_b32_e32 v67, 0
	v_mov_b32_e32 v68, 0
	s_waitcnt lgkmcnt(0)
	s_cmp_lt_u32 s6, s8
	s_cselect_b32 s8, 12, 18
	s_add_u32 s8, s34, s8
	s_addc_u32 s9, s35, 0
	global_load_ushort v2, v3, s[8:9]
	s_waitcnt vmcnt(0)
	v_mad_u32_u24 v2, v63, v2, v61
	v_and_b32_e32 v2, 63, v2
	v_cmp_gt_u32_e32 vcc, 8, v2
	s_and_saveexec_b64 s[8:9], vcc
	s_cbranch_execz .LBB113_32
; %bb.29:                               ;   in Loop: Header=BB113_5 Depth=1
	v_add_co_u32_e32 v2, vcc, v65, v2
	v_addc_co_u32_e32 v5, vcc, 0, v66, vcc
	v_add_co_u32_e32 v4, vcc, 0xffffff81, v2
	v_addc_co_u32_e32 v5, vcc, -1, v5, vcc
	v_cmp_gt_i64_e32 vcc, s[12:13], v[4:5]
	v_mov_b32_e32 v68, 0
	v_mov_b32_e32 v67, 0
	s_and_saveexec_b64 s[22:23], vcc
	s_cbranch_execz .LBB113_31
; %bb.30:                               ;   in Loop: Header=BB113_5 Depth=1
	v_lshlrev_b64 v[4:5], 2, v[4:5]
	v_mov_b32_e32 v2, s31
	v_add_co_u32_e32 v6, vcc, s30, v4
	v_addc_co_u32_e32 v7, vcc, v2, v5, vcc
	v_mov_b32_e32 v2, s29
	v_add_co_u32_e32 v4, vcc, s28, v4
	v_addc_co_u32_e32 v5, vcc, v2, v5, vcc
	global_load_dword v68, v[4:5], off
	global_load_dword v67, v[6:7], off
.LBB113_31:                             ;   in Loop: Header=BB113_5 Depth=1
	s_or_b64 exec, exec, s[22:23]
.LBB113_32:                             ;   in Loop: Header=BB113_5 Depth=1
	s_or_b64 exec, exec, s[8:9]
	s_mov_b32 s21, s20
	s_mov_b32 s22, s20
	;; [unrolled: 1-line block ×7, first 2 shown]
	v_pk_mov_b32 v[10:11], s[20:21], s[20:21] op_sel:[0,1]
	v_pk_mov_b32 v[16:17], s[26:27], s[26:27] op_sel:[0,1]
	;; [unrolled: 1-line block ×8, first 2 shown]
	s_and_saveexec_b64 s[8:9], s[2:3]
	s_cbranch_execnz .LBB113_40
; %bb.33:                               ;   in Loop: Header=BB113_5 Depth=1
	s_or_b64 exec, exec, s[8:9]
	s_and_saveexec_b64 s[8:9], s[2:3]
	s_cbranch_execnz .LBB113_41
.LBB113_34:                             ;   in Loop: Header=BB113_5 Depth=1
	s_or_b64 exec, exec, s[8:9]
	s_and_saveexec_b64 s[8:9], s[2:3]
	s_cbranch_execnz .LBB113_42
.LBB113_35:                             ;   in Loop: Header=BB113_5 Depth=1
	s_or_b64 exec, exec, s[8:9]
	s_and_saveexec_b64 s[8:9], s[2:3]
	s_cbranch_execnz .LBB113_43
.LBB113_36:                             ;   in Loop: Header=BB113_5 Depth=1
	s_or_b64 exec, exec, s[8:9]
	s_and_saveexec_b64 s[8:9], s[2:3]
	s_cbranch_execnz .LBB113_44
.LBB113_37:                             ;   in Loop: Header=BB113_5 Depth=1
	s_or_b64 exec, exec, s[8:9]
	s_and_saveexec_b64 s[8:9], s[2:3]
	s_cbranch_execnz .LBB113_45
.LBB113_38:                             ;   in Loop: Header=BB113_5 Depth=1
	s_or_b64 exec, exec, s[8:9]
	s_and_saveexec_b64 s[8:9], s[2:3]
	s_cbranch_execnz .LBB113_46
.LBB113_39:                             ;   in Loop: Header=BB113_5 Depth=1
	s_or_b64 exec, exec, s[8:9]
	s_and_saveexec_b64 s[8:9], s[2:3]
	s_cbranch_execz .LBB113_3
	s_branch .LBB113_47
.LBB113_40:                             ;   in Loop: Header=BB113_5 Depth=1
	v_add_co_u32_e32 v4, vcc, v60, v30
	v_addc_co_u32_e32 v5, vcc, v57, v31, vcc
	global_load_ushort v2, v[4:5], off
	v_add_co_u32_e32 v4, vcc, v62, v30
	v_addc_co_u32_e32 v5, vcc, v59, v31, vcc
	global_load_ushort v10, v[4:5], off
	v_mov_b32_e32 v8, v3
	v_mov_b32_e32 v9, v3
	;; [unrolled: 1-line block ×13, first 2 shown]
	s_waitcnt vmcnt(1)
	v_lshlrev_b32_e32 v2, 16, v2
	v_pk_mov_b32 v[24:25], v[8:9], v[8:9] op_sel:[0,1]
	v_pk_mov_b32 v[22:23], v[6:7], v[6:7] op_sel:[0,1]
	;; [unrolled: 1-line block ×4, first 2 shown]
	s_waitcnt vmcnt(0)
	v_lshlrev_b32_e32 v10, 16, v10
	s_or_b64 exec, exec, s[8:9]
	s_and_saveexec_b64 s[8:9], s[2:3]
	s_cbranch_execz .LBB113_34
.LBB113_41:                             ;   in Loop: Header=BB113_5 Depth=1
	v_add_co_u32_e32 v4, vcc, v56, v30
	v_addc_co_u32_e32 v5, vcc, v53, v31, vcc
	global_load_ushort v2, v[4:5], off
	v_add_co_u32_e32 v4, vcc, v58, v30
	v_addc_co_u32_e32 v5, vcc, v55, v31, vcc
	global_load_ushort v4, v[4:5], off
	s_waitcnt vmcnt(1)
	v_lshlrev_b32_e32 v19, 16, v2
	s_waitcnt vmcnt(0)
	v_lshlrev_b32_e32 v11, 16, v4
	s_or_b64 exec, exec, s[8:9]
	s_and_saveexec_b64 s[8:9], s[2:3]
	s_cbranch_execz .LBB113_35
.LBB113_42:                             ;   in Loop: Header=BB113_5 Depth=1
	v_add_co_u32_e32 v4, vcc, v52, v30
	v_addc_co_u32_e32 v5, vcc, v49, v31, vcc
	global_load_ushort v2, v[4:5], off
	v_add_co_u32_e32 v4, vcc, v54, v30
	v_addc_co_u32_e32 v5, vcc, v51, v31, vcc
	global_load_ushort v4, v[4:5], off
	s_waitcnt vmcnt(1)
	v_lshlrev_b32_e32 v20, 16, v2
	s_waitcnt vmcnt(0)
	v_lshlrev_b32_e32 v12, 16, v4
	s_or_b64 exec, exec, s[8:9]
	s_and_saveexec_b64 s[8:9], s[2:3]
	s_cbranch_execz .LBB113_36
.LBB113_43:                             ;   in Loop: Header=BB113_5 Depth=1
	v_add_co_u32_e32 v4, vcc, v48, v30
	v_addc_co_u32_e32 v5, vcc, v45, v31, vcc
	global_load_ushort v2, v[4:5], off
	v_add_co_u32_e32 v4, vcc, v50, v30
	v_addc_co_u32_e32 v5, vcc, v47, v31, vcc
	global_load_ushort v4, v[4:5], off
	s_waitcnt vmcnt(1)
	v_lshlrev_b32_e32 v21, 16, v2
	s_waitcnt vmcnt(0)
	v_lshlrev_b32_e32 v13, 16, v4
	s_or_b64 exec, exec, s[8:9]
	s_and_saveexec_b64 s[8:9], s[2:3]
	s_cbranch_execz .LBB113_37
.LBB113_44:                             ;   in Loop: Header=BB113_5 Depth=1
	v_add_co_u32_e32 v4, vcc, v44, v30
	v_addc_co_u32_e32 v5, vcc, v41, v31, vcc
	global_load_ushort v2, v[4:5], off
	v_add_co_u32_e32 v4, vcc, v46, v30
	v_addc_co_u32_e32 v5, vcc, v43, v31, vcc
	global_load_ushort v4, v[4:5], off
	s_waitcnt vmcnt(1)
	v_lshlrev_b32_e32 v22, 16, v2
	s_waitcnt vmcnt(0)
	v_lshlrev_b32_e32 v14, 16, v4
	s_or_b64 exec, exec, s[8:9]
	s_and_saveexec_b64 s[8:9], s[2:3]
	s_cbranch_execz .LBB113_38
.LBB113_45:                             ;   in Loop: Header=BB113_5 Depth=1
	v_add_co_u32_e32 v4, vcc, v40, v30
	v_addc_co_u32_e32 v5, vcc, v37, v31, vcc
	global_load_ushort v2, v[4:5], off
	v_add_co_u32_e32 v4, vcc, v42, v30
	v_addc_co_u32_e32 v5, vcc, v39, v31, vcc
	global_load_ushort v4, v[4:5], off
	s_waitcnt vmcnt(1)
	v_lshlrev_b32_e32 v23, 16, v2
	s_waitcnt vmcnt(0)
	v_lshlrev_b32_e32 v15, 16, v4
	s_or_b64 exec, exec, s[8:9]
	s_and_saveexec_b64 s[8:9], s[2:3]
	s_cbranch_execz .LBB113_39
.LBB113_46:                             ;   in Loop: Header=BB113_5 Depth=1
	v_add_co_u32_e32 v4, vcc, v36, v30
	v_addc_co_u32_e32 v5, vcc, v33, v31, vcc
	global_load_ushort v2, v[4:5], off
	v_add_co_u32_e32 v4, vcc, v38, v30
	v_addc_co_u32_e32 v5, vcc, v35, v31, vcc
	global_load_ushort v4, v[4:5], off
	s_waitcnt vmcnt(1)
	v_lshlrev_b32_e32 v24, 16, v2
	s_waitcnt vmcnt(0)
	v_lshlrev_b32_e32 v16, 16, v4
	s_or_b64 exec, exec, s[8:9]
	s_and_saveexec_b64 s[8:9], s[2:3]
	s_cbranch_execz .LBB113_3
.LBB113_47:                             ;   in Loop: Header=BB113_5 Depth=1
	v_add_co_u32_e32 v4, vcc, v32, v30
	v_addc_co_u32_e32 v5, vcc, v1, v31, vcc
	global_load_ushort v2, v[4:5], off
	v_add_co_u32_e32 v4, vcc, v34, v30
	v_addc_co_u32_e32 v5, vcc, v29, v31, vcc
	global_load_ushort v4, v[4:5], off
	s_waitcnt vmcnt(1)
	v_lshlrev_b32_e32 v25, 16, v2
	s_waitcnt vmcnt(0)
	v_lshlrev_b32_e32 v17, 16, v4
	s_branch .LBB113_3
.LBB113_48:
                                        ; implicit-def: $vgpr27
	s_branch .LBB113_50
.LBB113_49:
	s_cbranch_execnz .LBB113_81
.LBB113_50:
	v_mov_b32_e32 v27, 0
	s_mov_b32 s20, 0
	s_and_b64 vcc, exec, s[0:1]
	v_mov_b32_e32 v26, v27
	s_cbranch_vccnz .LBB113_81
; %bb.51:
	s_load_dword s0, s[4:5], 0x44
	s_add_u32 s2, s4, 64
	s_addc_u32 s3, s5, 0
	v_bfe_u32 v87, v0, 10, 10
	v_lshlrev_b32_e32 v1, 4, v87
	s_waitcnt lgkmcnt(0)
	s_lshl_b32 s7, s0, 7
	s_add_u32 s8, s10, 0x7f
	s_addc_u32 s9, 0, 0
	s_lshl_b64 s[0:1], s[10:11], 1
	v_mov_b32_e32 v2, s1
	v_add_co_u32_e32 v1, vcc, s0, v1
	v_addc_co_u32_e32 v4, vcc, 0, v2, vcc
	v_add_co_u32_e32 v6, vcc, 2, v1
	v_addc_co_u32_e32 v5, vcc, 0, v4, vcc
	v_add_co_u32_e32 v9, vcc, 4, v1
	v_mul_lo_u32 v7, s14, v5
	v_addc_co_u32_e32 v5, vcc, 0, v4, vcc
	v_add_co_u32_e32 v12, vcc, 6, v1
	v_mul_lo_u32 v10, s14, v5
	;; [unrolled: 3-line block ×5, first 2 shown]
	v_addc_co_u32_e32 v5, vcc, 0, v4, vcc
	v_add_co_u32_e32 v24, vcc, 14, v1
	v_lshlrev_b32_e32 v28, 3, v87
	v_addc_co_u32_e32 v1, vcc, 0, v4, vcc
	v_mul_lo_u32 v25, s14, v1
	v_mov_b32_e32 v1, s11
	v_add_co_u32_e32 v27, vcc, s10, v28
	v_pk_mov_b32 v[2:3], s[16:17], s[16:17] op_sel:[0,1]
	v_addc_co_u32_e32 v45, vcc, 0, v1, vcc
	v_mad_u64_u32 v[30:31], s[0:1], s14, v6, v[2:3]
	v_mad_u64_u32 v[32:33], s[0:1], s14, v9, v[2:3]
	;; [unrolled: 1-line block ×7, first 2 shown]
	v_mul_lo_u32 v61, s15, v27
	v_mul_lo_u32 v62, s14, v45
	v_mad_u64_u32 v[2:3], s[0:1], s14, v27, 0
	v_add3_u32 v3, v3, v62, v61
	v_lshlrev_b64 v[2:3], 1, v[2:3]
	v_mul_lo_u32 v22, s14, v5
	v_mov_b32_e32 v83, s17
	v_add_co_u32_e32 v44, vcc, s16, v2
	v_pk_mov_b32 v[4:5], s[18:19], s[18:19] op_sel:[0,1]
	v_mul_lo_u32 v17, s15, v15
	v_addc_co_u32_e32 v1, vcc, v83, v3, vcc
	v_mad_u64_u32 v[52:53], s[0:1], s14, v15, v[4:5]
	v_add3_u32 v37, v17, v37, v16
	v_add3_u32 v53, v17, v53, v16
	v_mov_b32_e32 v16, s19
	v_add_co_u32_e32 v60, vcc, s18, v2
	v_addc_co_u32_e32 v29, vcc, v16, v3, vcc
	v_add_co_u32_e32 v2, vcc, 7, v27
	v_addc_co_u32_e32 v3, vcc, 0, v45, vcc
	v_mad_u64_u32 v[46:47], s[0:1], s14, v6, v[4:5]
	v_mad_u64_u32 v[48:49], s[0:1], s14, v9, v[4:5]
	;; [unrolled: 1-line block ×6, first 2 shown]
	v_mul_lo_u32 v4, s15, v2
	v_mul_lo_u32 v5, s14, v3
	v_mad_u64_u32 v[2:3], s[0:1], s14, v2, 0
	v_add3_u32 v3, v3, v5, v4
	v_add_co_u32_e32 v4, vcc, 6, v27
	v_mul_lo_u32 v8, s15, v6
	v_addc_co_u32_e32 v5, vcc, 0, v45, vcc
	v_add3_u32 v31, v8, v31, v7
	v_add3_u32 v47, v8, v47, v7
	v_mul_lo_u32 v6, s15, v4
	v_mul_lo_u32 v7, s14, v5
	v_mad_u64_u32 v[4:5], s[0:1], s14, v4, 0
	v_add3_u32 v5, v5, v7, v6
	v_add_co_u32_e32 v6, vcc, 5, v27
	v_addc_co_u32_e32 v7, vcc, 0, v45, vcc
	v_mul_lo_u32 v11, s15, v9
	v_mul_lo_u32 v8, s15, v6
	;; [unrolled: 1-line block ×3, first 2 shown]
	v_mad_u64_u32 v[6:7], s[0:1], s14, v6, 0
	v_add3_u32 v7, v7, v9, v8
	v_add_co_u32_e32 v8, vcc, 4, v27
	v_addc_co_u32_e32 v9, vcc, 0, v45, vcc
	v_add3_u32 v33, v11, v33, v10
	v_add3_u32 v49, v11, v49, v10
	v_mul_lo_u32 v10, s15, v8
	v_mul_lo_u32 v11, s14, v9
	v_mad_u64_u32 v[8:9], s[0:1], s14, v8, 0
	v_add3_u32 v9, v9, v11, v10
	v_add_co_u32_e32 v10, vcc, 3, v27
	v_mul_lo_u32 v14, s15, v12
	v_addc_co_u32_e32 v11, vcc, 0, v45, vcc
	v_add3_u32 v35, v14, v35, v13
	v_add3_u32 v51, v14, v51, v13
	v_mul_lo_u32 v12, s15, v10
	v_mul_lo_u32 v13, s14, v11
	v_mad_u64_u32 v[10:11], s[0:1], s14, v10, 0
	v_add3_u32 v11, v11, v13, v12
	v_add_co_u32_e32 v12, vcc, 2, v27
	v_addc_co_u32_e32 v13, vcc, 0, v45, vcc
	v_mul_lo_u32 v14, s15, v12
	v_mul_lo_u32 v15, s14, v13
	v_mad_u64_u32 v[12:13], s[0:1], s14, v12, 0
	v_add3_u32 v13, v13, v15, v14
	v_pk_mov_b32 v[14:15], s[14:15], s[14:15] op_sel:[0,1]
	v_lshlrev_b64 v[2:3], 1, v[2:3]
	v_mad_u64_u32 v[14:15], s[0:1], s14, v27, v[14:15]
	v_add3_u32 v15, v61, v15, v62
	v_add_co_u32_e32 v62, vcc, s16, v2
	v_addc_co_u32_e32 v45, vcc, v83, v3, vcc
	v_add_co_u32_e32 v64, vcc, s18, v2
	v_addc_co_u32_e32 v61, vcc, v16, v3, vcc
	v_lshlrev_b64 v[2:3], 1, v[4:5]
	v_add_co_u32_e32 v66, vcc, s16, v2
	v_addc_co_u32_e32 v63, vcc, v83, v3, vcc
	v_add_co_u32_e32 v68, vcc, s18, v2
	v_addc_co_u32_e32 v65, vcc, v16, v3, vcc
	v_lshlrev_b64 v[2:3], 1, v[6:7]
	;; [unrolled: 5-line block ×6, first 2 shown]
	v_add_co_u32_e32 v86, vcc, s16, v2
	v_addc_co_u32_e32 v83, vcc, v83, v3, vcc
	v_mbcnt_lo_u32_b32 v4, -1, 0
	v_add_co_u32_e32 v88, vcc, s18, v2
	v_and_b32_e32 v89, 0x3ff, v0
	s_mul_i32 s0, s15, s7
	s_mul_hi_u32 s1, s14, s7
	v_mbcnt_hi_u32_b32 v4, -1, v4
	v_mul_lo_u32 v20, s15, v18
	v_mul_lo_u32 v23, s15, v21
	;; [unrolled: 1-line block ×3, first 2 shown]
	v_addc_co_u32_e32 v85, vcc, v16, v3, vcc
	v_add_u32_e32 v2, s33, v89
	v_mov_b32_e32 v3, 0
	s_add_i32 s1, s1, s0
	s_mul_i32 s0, s14, s7
	v_lshlrev_b32_e32 v4, 2, v4
	v_add3_u32 v39, v20, v39, v19
	v_add3_u32 v41, v23, v41, v22
	;; [unrolled: 1-line block ×6, first 2 shown]
	s_lshl_b64 s[16:17], s[0:1], 1
	v_and_b32_e32 v94, 0x100, v4
	v_mov_b32_e32 v26, v3
	v_mov_b32_e32 v27, v3
	v_lshlrev_b64 v[90:91], 1, v[2:3]
	s_branch .LBB113_55
.LBB113_52:                             ;   in Loop: Header=BB113_55 Depth=1
	s_or_b64 exec, exec, s[18:19]
.LBB113_53:                             ;   in Loop: Header=BB113_55 Depth=1
	s_or_b64 exec, exec, s[0:1]
	v_add_co_u32_e32 v4, vcc, v44, v90
	v_addc_co_u32_e32 v5, vcc, v1, v91, vcc
	global_load_ushort v7, v[4:5], off
	v_add_co_u32_e32 v4, vcc, v60, v90
	v_addc_co_u32_e32 v5, vcc, v29, v91, vcc
	global_load_ushort v8, v[4:5], off
	;; [unrolled: 3-line block ×16, first 2 shown]
	s_waitcnt vmcnt(16)
	ds_bpermute_b32 v24, v94, v2 offset:8
	s_waitcnt vmcnt(15)
	v_lshlrev_b32_e32 v4, 16, v7
	s_waitcnt vmcnt(14)
	v_lshlrev_b32_e32 v7, 16, v8
	;; [unrolled: 2-line block ×13, first 2 shown]
	ds_bpermute_b32 v19, v94, v6
	s_waitcnt vmcnt(2)
	v_lshlrev_b32_e32 v22, 16, v20
	s_waitcnt vmcnt(1)
	v_lshlrev_b32_e32 v20, 16, v21
	ds_bpermute_b32 v21, v94, v2
	s_waitcnt vmcnt(0)
	v_lshlrev_b32_e32 v23, 16, v5
	s_waitcnt lgkmcnt(1)
	v_sub_f32_e32 v5, v7, v19
	ds_bpermute_b32 v7, v94, v6 offset:4
	v_mul_f32_e32 v5, v5, v4
	s_waitcnt lgkmcnt(1)
	v_mul_f32_e32 v5, v5, v21
	ds_bpermute_b32 v19, v94, v2 offset:4
	ds_bpermute_b32 v21, v94, v6 offset:8
	s_waitcnt lgkmcnt(2)
	v_sub_f32_e32 v7, v9, v7
	v_mul_f32_e32 v7, v7, v8
	v_pk_add_f32 v[4:5], v[92:93], v[4:5]
	s_waitcnt lgkmcnt(1)
	v_mul_f32_e32 v9, v7, v19
	s_waitcnt lgkmcnt(0)
	v_sub_f32_e32 v7, v11, v21
	ds_bpermute_b32 v19, v94, v6 offset:12
	v_mul_f32_e32 v7, v7, v10
	v_mul_f32_e32 v11, v7, v24
	ds_bpermute_b32 v7, v94, v2 offset:12
	ds_bpermute_b32 v21, v94, v6 offset:16
	s_waitcnt lgkmcnt(2)
	v_sub_f32_e32 v13, v13, v19
	ds_bpermute_b32 v19, v94, v2 offset:16
	v_mul_f32_e32 v13, v13, v12
	s_waitcnt lgkmcnt(2)
	v_mul_f32_e32 v13, v13, v7
	s_waitcnt lgkmcnt(1)
	v_sub_f32_e32 v7, v15, v21
	ds_bpermute_b32 v21, v94, v6 offset:20
	v_mul_f32_e32 v7, v7, v14
	s_waitcnt lgkmcnt(1)
	v_mul_f32_e32 v15, v7, v19
	ds_bpermute_b32 v7, v94, v2 offset:20
	ds_bpermute_b32 v19, v94, v6 offset:24
	;; [unrolled: 1-line block ×3, first 2 shown]
	s_waitcnt lgkmcnt(3)
	v_sub_f32_e32 v17, v17, v21
	ds_bpermute_b32 v21, v94, v2 offset:24
	v_pk_add_f32 v[4:5], v[4:5], v[8:9]
	ds_bpermute_b32 v2, v94, v2 offset:28
	v_mul_f32_e32 v17, v17, v16
	v_pk_add_f32 v[4:5], v[4:5], v[10:11]
	s_waitcnt lgkmcnt(4)
	v_mul_f32_e32 v17, v17, v7
	s_waitcnt lgkmcnt(3)
	v_sub_f32_e32 v7, v22, v19
	v_pk_add_f32 v[4:5], v[4:5], v[12:13]
	v_mul_f32_e32 v7, v7, v18
	v_pk_add_f32 v[4:5], v[4:5], v[14:15]
	s_waitcnt lgkmcnt(2)
	v_sub_f32_e32 v6, v23, v6
	s_waitcnt lgkmcnt(1)
	v_mul_f32_e32 v19, v7, v21
	v_pk_add_f32 v[4:5], v[4:5], v[16:17]
	v_mul_f32_e32 v6, v6, v20
	v_pk_add_f32 v[4:5], v[4:5], v[18:19]
	s_waitcnt lgkmcnt(0)
	v_mul_f32_e32 v21, v6, v2
	v_pk_add_f32 v[26:27], v[4:5], v[20:21]
.LBB113_54:                             ;   in Loop: Header=BB113_55 Depth=1
	v_mov_b32_e32 v2, s17
	v_add_co_u32_e32 v30, vcc, s16, v30
	v_addc_co_u32_e32 v31, vcc, v31, v2, vcc
	v_add_co_u32_e32 v32, vcc, s16, v32
	v_addc_co_u32_e32 v33, vcc, v33, v2, vcc
	;; [unrolled: 2-line block ×29, first 2 shown]
	s_add_u32 s10, s10, s7
	v_add_co_u32_e32 v88, vcc, s16, v88
	s_addc_u32 s11, s11, 0
	v_addc_co_u32_e32 v85, vcc, v85, v2, vcc
	v_pk_mov_b32 v[4:5], s[12:13], s[12:13] op_sel:[0,1]
	s_add_u32 s8, s8, s7
	v_cmp_ge_i64_e32 vcc, s[10:11], v[4:5]
	s_addc_u32 s9, s9, 0
	s_cbranch_vccnz .LBB113_81
.LBB113_55:                             ; =>This Inner Loop Header: Depth=1
	v_pk_mov_b32 v[4:5], s[12:13], s[12:13] op_sel:[0,1]
	v_cmp_ge_i64_e32 vcc, s[8:9], v[4:5]
	v_mov_b32_e32 v2, s9
	v_add_co_u32_e64 v95, s[0:1], s8, v28
	v_mov_b32_e32 v92, v26
	v_mov_b32_e32 v93, v27
	v_addc_co_u32_e64 v96, s[0:1], 0, v2, s[0:1]
	s_cbranch_vccz .LBB113_77
; %bb.56:                               ;   in Loop: Header=BB113_55 Depth=1
	s_load_dword s0, s[2:3], 0xc
	v_mov_b32_e32 v26, 0
	v_mov_b32_e32 v27, 0
	s_waitcnt lgkmcnt(0)
	s_and_b32 s0, s0, 0xffff
	v_mad_u32_u24 v2, v87, s0, v89
	v_and_b32_e32 v2, 63, v2
	v_cmp_gt_u32_e32 vcc, 8, v2
	s_and_saveexec_b64 s[0:1], vcc
	s_cbranch_execz .LBB113_60
; %bb.57:                               ;   in Loop: Header=BB113_55 Depth=1
	v_add_co_u32_e32 v2, vcc, v95, v2
	v_addc_co_u32_e32 v5, vcc, 0, v96, vcc
	v_add_co_u32_e32 v4, vcc, 0xffffff81, v2
	v_addc_co_u32_e32 v5, vcc, -1, v5, vcc
	v_cmp_gt_i64_e32 vcc, s[12:13], v[4:5]
	v_mov_b32_e32 v27, 0
	v_mov_b32_e32 v26, 0
	s_and_saveexec_b64 s[18:19], vcc
	s_cbranch_execz .LBB113_59
; %bb.58:                               ;   in Loop: Header=BB113_55 Depth=1
	v_lshlrev_b64 v[4:5], 2, v[4:5]
	v_mov_b32_e32 v2, s31
	v_add_co_u32_e32 v6, vcc, s30, v4
	v_addc_co_u32_e32 v7, vcc, v2, v5, vcc
	v_mov_b32_e32 v2, s29
	v_add_co_u32_e32 v4, vcc, s28, v4
	v_addc_co_u32_e32 v5, vcc, v2, v5, vcc
	global_load_dword v27, v[4:5], off
	global_load_dword v26, v[6:7], off
.LBB113_59:                             ;   in Loop: Header=BB113_55 Depth=1
	s_or_b64 exec, exec, s[18:19]
.LBB113_60:                             ;   in Loop: Header=BB113_55 Depth=1
	s_or_b64 exec, exec, s[0:1]
	s_mov_b32 s21, s20
	s_mov_b32 s22, s20
	;; [unrolled: 1-line block ×7, first 2 shown]
	v_pk_mov_b32 v[10:11], s[20:21], s[20:21] op_sel:[0,1]
	v_add_co_u32_e32 v4, vcc, 0xffffff81, v95
	v_pk_mov_b32 v[16:17], s[26:27], s[26:27] op_sel:[0,1]
	v_addc_co_u32_e32 v5, vcc, -1, v96, vcc
	v_pk_mov_b32 v[12:13], s[22:23], s[22:23] op_sel:[0,1]
	v_pk_mov_b32 v[14:15], s[24:25], s[24:25] op_sel:[0,1]
	;; [unrolled: 1-line block ×3, first 2 shown]
	v_cmp_gt_i64_e32 vcc, s[12:13], v[4:5]
	v_pk_mov_b32 v[22:23], v[14:15], v[14:15] op_sel:[0,1]
	v_pk_mov_b32 v[20:21], v[12:13], v[12:13] op_sel:[0,1]
	v_pk_mov_b32 v[18:19], v[10:11], v[10:11] op_sel:[0,1]
	s_and_saveexec_b64 s[0:1], vcc
	s_cbranch_execz .LBB113_62
; %bb.61:                               ;   in Loop: Header=BB113_55 Depth=1
	v_add_co_u32_e32 v4, vcc, v44, v90
	v_addc_co_u32_e32 v5, vcc, v1, v91, vcc
	global_load_ushort v2, v[4:5], off
	v_add_co_u32_e32 v4, vcc, v60, v90
	v_addc_co_u32_e32 v5, vcc, v29, v91, vcc
	global_load_ushort v10, v[4:5], off
	v_mov_b32_e32 v8, v3
	v_mov_b32_e32 v9, v3
	;; [unrolled: 1-line block ×13, first 2 shown]
	s_waitcnt vmcnt(1)
	v_lshlrev_b32_e32 v2, 16, v2
	v_pk_mov_b32 v[24:25], v[8:9], v[8:9] op_sel:[0,1]
	v_pk_mov_b32 v[22:23], v[6:7], v[6:7] op_sel:[0,1]
	;; [unrolled: 1-line block ×4, first 2 shown]
	s_waitcnt vmcnt(0)
	v_lshlrev_b32_e32 v10, 16, v10
.LBB113_62:                             ;   in Loop: Header=BB113_55 Depth=1
	s_or_b64 exec, exec, s[0:1]
	v_add_co_u32_e32 v4, vcc, 0xffffff82, v95
	v_addc_co_u32_e32 v5, vcc, -1, v96, vcc
	v_cmp_gt_i64_e32 vcc, s[12:13], v[4:5]
	s_and_saveexec_b64 s[0:1], vcc
	s_cbranch_execz .LBB113_64
; %bb.63:                               ;   in Loop: Header=BB113_55 Depth=1
	v_add_co_u32_e32 v4, vcc, v86, v90
	v_addc_co_u32_e32 v5, vcc, v83, v91, vcc
	global_load_ushort v2, v[4:5], off
	v_add_co_u32_e32 v4, vcc, v88, v90
	v_addc_co_u32_e32 v5, vcc, v85, v91, vcc
	global_load_ushort v4, v[4:5], off
	s_waitcnt vmcnt(1)
	v_lshlrev_b32_e32 v19, 16, v2
	s_waitcnt vmcnt(0)
	v_lshlrev_b32_e32 v11, 16, v4
.LBB113_64:                             ;   in Loop: Header=BB113_55 Depth=1
	s_or_b64 exec, exec, s[0:1]
	v_add_co_u32_e32 v4, vcc, 0xffffff83, v95
	v_addc_co_u32_e32 v5, vcc, -1, v96, vcc
	v_cmp_gt_i64_e32 vcc, s[12:13], v[4:5]
	s_and_saveexec_b64 s[0:1], vcc
	s_cbranch_execz .LBB113_66
; %bb.65:                               ;   in Loop: Header=BB113_55 Depth=1
	v_add_co_u32_e32 v4, vcc, v82, v90
	v_addc_co_u32_e32 v5, vcc, v79, v91, vcc
	global_load_ushort v2, v[4:5], off
	v_add_co_u32_e32 v4, vcc, v84, v90
	v_addc_co_u32_e32 v5, vcc, v81, v91, vcc
	global_load_ushort v4, v[4:5], off
	s_waitcnt vmcnt(1)
	v_lshlrev_b32_e32 v20, 16, v2
	s_waitcnt vmcnt(0)
	v_lshlrev_b32_e32 v12, 16, v4
.LBB113_66:                             ;   in Loop: Header=BB113_55 Depth=1
	;; [unrolled: 18-line block ×7, first 2 shown]
	s_or_b64 exec, exec, s[0:1]
	s_waitcnt vmcnt(1)
	ds_bpermute_b32 v2, v94, v27
	s_waitcnt vmcnt(0)
	ds_bpermute_b32 v4, v94, v26
	ds_bpermute_b32 v7, v94, v27 offset:4
	ds_bpermute_b32 v6, v94, v26 offset:4
	ds_bpermute_b32 v8, v94, v27 offset:8
	s_waitcnt lgkmcnt(4)
	v_sub_f32_e32 v2, v10, v2
	v_mul_f32_e32 v2, v18, v2
	s_waitcnt lgkmcnt(3)
	v_mul_f32_e32 v5, v2, v4
	ds_bpermute_b32 v4, v94, v26 offset:8
	s_waitcnt lgkmcnt(3)
	v_sub_f32_e32 v2, v11, v7
	v_mul_f32_e32 v2, v19, v2
	s_waitcnt lgkmcnt(2)
	v_mul_f32_e32 v7, v2, v6
	s_waitcnt lgkmcnt(1)
	v_sub_f32_e32 v2, v12, v8
	ds_bpermute_b32 v6, v94, v27 offset:12
	v_mul_f32_e32 v2, v20, v2
	s_waitcnt lgkmcnt(1)
	v_mul_f32_e32 v9, v2, v4
	ds_bpermute_b32 v2, v94, v26 offset:12
	ds_bpermute_b32 v4, v94, v27 offset:16
	;; [unrolled: 1-line block ×3, first 2 shown]
	s_waitcnt lgkmcnt(3)
	v_sub_f32_e32 v6, v13, v6
	v_mul_f32_e32 v6, v21, v6
	s_waitcnt lgkmcnt(2)
	v_mul_f32_e32 v11, v6, v2
	s_waitcnt lgkmcnt(1)
	v_sub_f32_e32 v2, v14, v4
	ds_bpermute_b32 v4, v94, v27 offset:20
	v_mul_f32_e32 v2, v22, v2
	s_waitcnt lgkmcnt(1)
	v_mul_f32_e32 v13, v2, v8
	ds_bpermute_b32 v2, v94, v26 offset:20
	ds_bpermute_b32 v6, v94, v27 offset:24
	;; [unrolled: 1-line block ×3, first 2 shown]
	s_waitcnt lgkmcnt(3)
	v_sub_f32_e32 v4, v15, v4
	v_mul_f32_e32 v4, v23, v4
	s_waitcnt lgkmcnt(2)
	v_mul_f32_e32 v15, v4, v2
	s_waitcnt lgkmcnt(1)
	v_sub_f32_e32 v2, v16, v6
	v_mul_f32_e32 v2, v24, v2
	s_waitcnt lgkmcnt(0)
	v_mul_f32_e32 v99, v2, v8
	v_mov_b32_e32 v4, v18
	ds_bpermute_b32 v2, v94, v27 offset:28
	v_pk_add_f32 v[4:5], v[92:93], v[4:5]
	v_mov_b32_e32 v6, v19
	v_pk_add_f32 v[4:5], v[6:7], v[4:5]
	v_mov_b32_e32 v8, v20
	ds_bpermute_b32 v6, v94, v26 offset:28
	v_pk_add_f32 v[4:5], v[8:9], v[4:5]
	v_mov_b32_e32 v10, v21
	v_pk_add_f32 v[4:5], v[10:11], v[4:5]
	v_mov_b32_e32 v12, v22
	;; [unrolled: 2-line block ×3, first 2 shown]
	s_waitcnt lgkmcnt(1)
	v_sub_f32_e32 v2, v17, v2
	v_pk_add_f32 v[4:5], v[14:15], v[4:5]
	v_mov_b32_e32 v98, v24
	v_mul_f32_e32 v2, v25, v2
	v_pk_add_f32 v[4:5], v[98:99], v[4:5]
	s_waitcnt lgkmcnt(0)
	v_mul_f32_e32 v7, v2, v6
	v_mov_b32_e32 v6, v25
	v_pk_add_f32 v[26:27], v[6:7], v[4:5]
	s_branch .LBB113_54
.LBB113_77:                             ;   in Loop: Header=BB113_55 Depth=1
                                        ; implicit-def: $vgpr27
	s_cbranch_execz .LBB113_54
; %bb.78:                               ;   in Loop: Header=BB113_55 Depth=1
	s_load_dword s0, s[2:3], 0x0
	v_mov_b32_e32 v2, 0
	v_mov_b32_e32 v6, 0
	s_waitcnt lgkmcnt(0)
	s_cmp_lt_u32 s6, s0
	s_cselect_b32 s0, 12, 18
	s_add_u32 s0, s2, s0
	s_addc_u32 s1, s3, 0
	global_load_ushort v4, v3, s[0:1]
	s_waitcnt vmcnt(0)
	v_mad_u32_u24 v4, v87, v4, v89
	v_and_b32_e32 v4, 63, v4
	v_cmp_gt_u32_e32 vcc, 8, v4
	s_and_saveexec_b64 s[0:1], vcc
	s_cbranch_execz .LBB113_53
; %bb.79:                               ;   in Loop: Header=BB113_55 Depth=1
	v_add_co_u32_e32 v2, vcc, v95, v4
	v_addc_co_u32_e32 v5, vcc, 0, v96, vcc
	v_add_co_u32_e32 v4, vcc, 0xffffff81, v2
	v_addc_co_u32_e32 v5, vcc, -1, v5, vcc
	v_cmp_gt_i64_e32 vcc, s[12:13], v[4:5]
	v_mov_b32_e32 v6, 0
	v_mov_b32_e32 v2, 0
	s_and_saveexec_b64 s[18:19], vcc
	s_cbranch_execz .LBB113_52
; %bb.80:                               ;   in Loop: Header=BB113_55 Depth=1
	v_lshlrev_b64 v[4:5], 2, v[4:5]
	v_mov_b32_e32 v2, s31
	v_add_co_u32_e32 v8, vcc, s30, v4
	v_addc_co_u32_e32 v9, vcc, v2, v5, vcc
	v_mov_b32_e32 v2, s29
	v_add_co_u32_e32 v4, vcc, s28, v4
	v_addc_co_u32_e32 v5, vcc, v2, v5, vcc
	global_load_dword v6, v[4:5], off
	global_load_dword v2, v[8:9], off
	s_branch .LBB113_52
.LBB113_81:
	v_and_b32_e32 v2, 0x3ff, v0
	v_bfe_u32 v0, v0, 10, 10
	v_mad_u32_u24 v1, v0, 33, v2
	v_lshl_add_u32 v3, v1, 2, 0
	v_sub_u32_e32 v1, v1, v0
	s_movk_i32 s0, 0x800
	s_mov_b32 s7, 0
	v_cmp_gt_u32_e32 vcc, s0, v1
	ds_write_b32 v3, v27
	ds_write_b32 v3, v26 offset:2112
	s_waitcnt lgkmcnt(0)
	s_barrier
	s_and_saveexec_b64 s[0:1], vcc
	s_cbranch_execz .LBB113_91
; %bb.82:
	v_mbcnt_lo_u32_b32 v3, -1, 0
	v_mbcnt_hi_u32_b32 v3, -1, v3
	v_and_b32_e32 v4, 64, v3
	v_add_u32_e32 v4, 64, v4
	v_cmp_eq_u32_e64 s[2:3], 0, v2
	v_xor_b32_e32 v2, 8, v3
	v_cmp_lt_i32_e32 vcc, v2, v4
	v_cndmask_b32_e32 v2, v3, v2, vcc
	v_lshlrev_b32_e32 v8, 2, v2
	v_xor_b32_e32 v2, 4, v3
	v_cmp_lt_i32_e32 vcc, v2, v4
	s_load_dwordx4 s[8:11], s[4:5], 0x30
	v_cndmask_b32_e32 v2, v3, v2, vcc
	v_lshlrev_b32_e32 v9, 2, v2
	v_xor_b32_e32 v2, 2, v3
	v_cmp_lt_i32_e32 vcc, v2, v4
	v_cndmask_b32_e32 v2, v3, v2, vcc
	s_lshl_b64 s[12:13], s[6:7], 5
	v_lshlrev_b32_e32 v10, 2, v2
	v_xor_b32_e32 v2, 1, v3
	s_waitcnt lgkmcnt(0)
	s_cmp_lg_u64 s[8:9], 0
	v_cmp_lt_i32_e32 vcc, v2, v4
	v_lshrrev_b32_e32 v0, 6, v1
	s_cselect_b64 s[4:5], -1, 0
	s_cmp_lg_u64 s[10:11], 0
	v_cndmask_b32_e32 v2, v3, v2, vcc
	s_cselect_b64 s[18:19], -1, 0
	v_lshlrev_b32_e32 v11, 2, v2
	s_lshl_b64 s[6:7], s[6:7], 6
	v_lshlrev_b32_e32 v2, 1, v0
	v_mov_b32_e32 v3, s7
	v_add_co_u32_e32 v4, vcc, s6, v2
	v_and_b32_e32 v6, 63, v1
	v_addc_co_u32_e32 v5, vcc, 0, v3, vcc
	v_cmp_gt_u32_e64 s[0:1], 16, v6
	v_mov_b32_e32 v3, s11
	v_add_co_u32_e32 v2, vcc, s10, v4
	v_mad_u32_u24 v6, v6, 33, v0
	v_addc_co_u32_e32 v3, vcc, v3, v5, vcc
	v_lshl_add_u32 v12, v6, 2, 0
	v_cndmask_b32_e64 v6, 0, 1, s[4:5]
	v_mov_b32_e32 v7, s9
	v_add_co_u32_e32 v4, vcc, s8, v4
	v_cmp_ne_u32_e64 s[4:5], 1, v6
	v_cndmask_b32_e64 v6, 0, 1, s[18:19]
	v_mov_b32_e32 v1, 0
	s_mov_b64 s[16:17], 0
	v_addc_co_u32_e32 v5, vcc, v7, v5, vcc
	v_mov_b32_e32 v13, s13
	s_movk_i32 s10, 0x7fff
	v_mov_b32_e32 v14, 0x7fc0
	v_cmp_ne_u32_e64 s[6:7], 1, v6
                                        ; implicit-def: $vgpr6
	s_branch .LBB113_84
.LBB113_83:                             ;   in Loop: Header=BB113_84 Depth=1
	s_or_b64 exec, exec, s[8:9]
	v_add_co_u32_e32 v0, vcc, 8, v0
	v_addc_co_u32_e32 v1, vcc, 0, v1, vcc
	v_add_co_u32_e32 v2, vcc, 16, v2
	v_addc_co_u32_e32 v3, vcc, 0, v3, vcc
	v_add_co_u32_e32 v4, vcc, 16, v4
	v_add_u32_e32 v15, -8, v0
	v_addc_co_u32_e32 v5, vcc, 0, v5, vcc
	v_cmp_lt_u32_e32 vcc, 23, v15
	s_or_b64 s[16:17], vcc, s[16:17]
	v_add_u32_e32 v12, 32, v12
	s_andn2_b64 exec, exec, s[16:17]
	s_cbranch_execz .LBB113_91
.LBB113_84:                             ; =>This Inner Loop Header: Depth=1
	s_and_saveexec_b64 s[8:9], s[0:1]
	s_cbranch_execz .LBB113_86
; %bb.85:                               ;   in Loop: Header=BB113_84 Depth=1
	ds_read_b32 v7, v12
	ds_read_b32 v6, v12 offset:2112
.LBB113_86:                             ;   in Loop: Header=BB113_84 Depth=1
	s_or_b64 exec, exec, s[8:9]
	s_waitcnt lgkmcnt(1)
	ds_bpermute_b32 v17, v8, v7
	s_waitcnt lgkmcnt(1)
	ds_bpermute_b32 v16, v8, v6
	v_add_co_u32_e32 v18, vcc, s12, v0
	v_addc_co_u32_e32 v19, vcc, v13, v1, vcc
	s_waitcnt lgkmcnt(0)
	v_pk_add_f32 v[6:7], v[6:7], v[16:17]
	ds_bpermute_b32 v17, v9, v7
	ds_bpermute_b32 v16, v9, v6
	v_cmp_gt_i64_e32 vcc, s[14:15], v[18:19]
	s_and_b64 s[18:19], s[2:3], vcc
	s_waitcnt lgkmcnt(0)
	v_pk_add_f32 v[6:7], v[6:7], v[16:17]
	ds_bpermute_b32 v17, v10, v7
	ds_bpermute_b32 v16, v10, v6
	s_waitcnt lgkmcnt(0)
	v_pk_add_f32 v[6:7], v[6:7], v[16:17]
	ds_bpermute_b32 v17, v11, v7
	ds_bpermute_b32 v16, v11, v6
	s_waitcnt lgkmcnt(0)
	v_pk_add_f32 v[6:7], v[6:7], v[16:17]
	s_and_saveexec_b64 s[8:9], s[18:19]
	s_cbranch_execz .LBB113_83
; %bb.87:                               ;   in Loop: Header=BB113_84 Depth=1
	s_and_b64 vcc, exec, s[4:5]
	s_cbranch_vccnz .LBB113_89
; %bb.88:                               ;   in Loop: Header=BB113_84 Depth=1
	v_bfe_u32 v15, v7, 16, 1
	v_add3_u32 v15, v7, v15, s10
	v_lshrrev_b32_e32 v15, 16, v15
	v_cmp_o_f32_e32 vcc, v7, v7
	v_cndmask_b32_e32 v15, v14, v15, vcc
	global_store_short v[4:5], v15, off
.LBB113_89:                             ;   in Loop: Header=BB113_84 Depth=1
	s_and_b64 vcc, exec, s[6:7]
	s_cbranch_vccnz .LBB113_83
; %bb.90:                               ;   in Loop: Header=BB113_84 Depth=1
	v_bfe_u32 v15, v6, 16, 1
	v_add3_u32 v15, v6, v15, s10
	v_lshrrev_b32_e32 v15, 16, v15
	v_cmp_o_f32_e32 vcc, v6, v6
	v_cndmask_b32_e32 v15, v14, v15, vcc
	global_store_short v[2:3], v15, off
	s_branch .LBB113_83
.LBB113_91:
	s_endpgm
	.section	.rodata,"a",@progbits
	.p2align	6, 0x0
	.amdhsa_kernel _ZN2at6native12_GLOBAL__N_135GammaBetaBackwardCUDAKernelTemplateIN3c108BFloat16EfLj32ELj16ELj128ELb0ELb0ELb0EEEvllPKT_S7_PKT0_SA_PS5_SB_
		.amdhsa_group_segment_fixed_size 0
		.amdhsa_private_segment_fixed_size 0
		.amdhsa_kernarg_size 320
		.amdhsa_user_sgpr_count 6
		.amdhsa_user_sgpr_private_segment_buffer 1
		.amdhsa_user_sgpr_dispatch_ptr 0
		.amdhsa_user_sgpr_queue_ptr 0
		.amdhsa_user_sgpr_kernarg_segment_ptr 1
		.amdhsa_user_sgpr_dispatch_id 0
		.amdhsa_user_sgpr_flat_scratch_init 0
		.amdhsa_user_sgpr_kernarg_preload_length 0
		.amdhsa_user_sgpr_kernarg_preload_offset 0
		.amdhsa_user_sgpr_private_segment_size 0
		.amdhsa_uses_dynamic_stack 0
		.amdhsa_system_sgpr_private_segment_wavefront_offset 0
		.amdhsa_system_sgpr_workgroup_id_x 1
		.amdhsa_system_sgpr_workgroup_id_y 1
		.amdhsa_system_sgpr_workgroup_id_z 0
		.amdhsa_system_sgpr_workgroup_info 0
		.amdhsa_system_vgpr_workitem_id 1
		.amdhsa_next_free_vgpr 100
		.amdhsa_next_free_sgpr 44
		.amdhsa_accum_offset 100
		.amdhsa_reserve_vcc 1
		.amdhsa_reserve_flat_scratch 0
		.amdhsa_float_round_mode_32 0
		.amdhsa_float_round_mode_16_64 0
		.amdhsa_float_denorm_mode_32 3
		.amdhsa_float_denorm_mode_16_64 3
		.amdhsa_dx10_clamp 1
		.amdhsa_ieee_mode 1
		.amdhsa_fp16_overflow 0
		.amdhsa_tg_split 0
		.amdhsa_exception_fp_ieee_invalid_op 0
		.amdhsa_exception_fp_denorm_src 0
		.amdhsa_exception_fp_ieee_div_zero 0
		.amdhsa_exception_fp_ieee_overflow 0
		.amdhsa_exception_fp_ieee_underflow 0
		.amdhsa_exception_fp_ieee_inexact 0
		.amdhsa_exception_int_div_zero 0
	.end_amdhsa_kernel
	.section	.text._ZN2at6native12_GLOBAL__N_135GammaBetaBackwardCUDAKernelTemplateIN3c108BFloat16EfLj32ELj16ELj128ELb0ELb0ELb0EEEvllPKT_S7_PKT0_SA_PS5_SB_,"axG",@progbits,_ZN2at6native12_GLOBAL__N_135GammaBetaBackwardCUDAKernelTemplateIN3c108BFloat16EfLj32ELj16ELj128ELb0ELb0ELb0EEEvllPKT_S7_PKT0_SA_PS5_SB_,comdat
.Lfunc_end113:
	.size	_ZN2at6native12_GLOBAL__N_135GammaBetaBackwardCUDAKernelTemplateIN3c108BFloat16EfLj32ELj16ELj128ELb0ELb0ELb0EEEvllPKT_S7_PKT0_SA_PS5_SB_, .Lfunc_end113-_ZN2at6native12_GLOBAL__N_135GammaBetaBackwardCUDAKernelTemplateIN3c108BFloat16EfLj32ELj16ELj128ELb0ELb0ELb0EEEvllPKT_S7_PKT0_SA_PS5_SB_
                                        ; -- End function
	.section	.AMDGPU.csdata,"",@progbits
; Kernel info:
; codeLenInByte = 7908
; NumSgprs: 48
; NumVgprs: 100
; NumAgprs: 0
; TotalNumVgprs: 100
; ScratchSize: 0
; MemoryBound: 0
; FloatMode: 240
; IeeeMode: 1
; LDSByteSize: 0 bytes/workgroup (compile time only)
; SGPRBlocks: 5
; VGPRBlocks: 12
; NumSGPRsForWavesPerEU: 48
; NumVGPRsForWavesPerEU: 100
; AccumOffset: 100
; Occupancy: 4
; WaveLimiterHint : 0
; COMPUTE_PGM_RSRC2:SCRATCH_EN: 0
; COMPUTE_PGM_RSRC2:USER_SGPR: 6
; COMPUTE_PGM_RSRC2:TRAP_HANDLER: 0
; COMPUTE_PGM_RSRC2:TGID_X_EN: 1
; COMPUTE_PGM_RSRC2:TGID_Y_EN: 1
; COMPUTE_PGM_RSRC2:TGID_Z_EN: 0
; COMPUTE_PGM_RSRC2:TIDIG_COMP_CNT: 1
; COMPUTE_PGM_RSRC3_GFX90A:ACCUM_OFFSET: 24
; COMPUTE_PGM_RSRC3_GFX90A:TG_SPLIT: 0
	.section	.text._ZN2at6native12_GLOBAL__N_135GammaBetaBackwardCUDAKernelTemplateIN3c108BFloat16EfLj32ELj32ELj256ELb0ELb1ELb0EEEvllPKT_S7_PKT0_SA_PS5_SB_,"axG",@progbits,_ZN2at6native12_GLOBAL__N_135GammaBetaBackwardCUDAKernelTemplateIN3c108BFloat16EfLj32ELj32ELj256ELb0ELb1ELb0EEEvllPKT_S7_PKT0_SA_PS5_SB_,comdat
	.globl	_ZN2at6native12_GLOBAL__N_135GammaBetaBackwardCUDAKernelTemplateIN3c108BFloat16EfLj32ELj32ELj256ELb0ELb1ELb0EEEvllPKT_S7_PKT0_SA_PS5_SB_ ; -- Begin function _ZN2at6native12_GLOBAL__N_135GammaBetaBackwardCUDAKernelTemplateIN3c108BFloat16EfLj32ELj32ELj256ELb0ELb1ELb0EEEvllPKT_S7_PKT0_SA_PS5_SB_
	.p2align	8
	.type	_ZN2at6native12_GLOBAL__N_135GammaBetaBackwardCUDAKernelTemplateIN3c108BFloat16EfLj32ELj32ELj256ELb0ELb1ELb0EEEvllPKT_S7_PKT0_SA_PS5_SB_,@function
_ZN2at6native12_GLOBAL__N_135GammaBetaBackwardCUDAKernelTemplateIN3c108BFloat16EfLj32ELj32ELj256ELb0ELb1ELb0EEEvllPKT_S7_PKT0_SA_PS5_SB_: ; @_ZN2at6native12_GLOBAL__N_135GammaBetaBackwardCUDAKernelTemplateIN3c108BFloat16EfLj32ELj32ELj256ELb0ELb1ELb0EEEvllPKT_S7_PKT0_SA_PS5_SB_
; %bb.0:
	s_load_dwordx4 s[20:23], s[4:5], 0x0
	s_lshl_b32 s2, s7, 8
	s_mov_b32 s3, 0
	v_bfe_u32 v12, v0, 10, 10
	s_waitcnt lgkmcnt(0)
	v_pk_mov_b32 v[2:3], s[20:21], s[20:21] op_sel:[0,1]
	v_cmp_lt_i64_e32 vcc, s[2:3], v[2:3]
	s_cbranch_vccnz .LBB114_2
; %bb.1:
	s_mov_b64 s[0:1], 0
	v_bfe_u32 v2, v0, 10, 10
	s_branch .LBB114_3
.LBB114_2:
	s_mov_b64 s[0:1], -1
                                        ; implicit-def: $vgpr2
.LBB114_3:
	s_load_dwordx4 s[16:19], s[4:5], 0x30
	v_and_b32_e32 v10, 0x3ff, v0
	s_andn2_b64 vcc, exec, s[0:1]
	v_mov_b32_e32 v1, s3
	v_mbcnt_lo_u32_b32 v11, -1, 0
	v_mov_b32_e32 v0, s3
	s_cbranch_vccnz .LBB114_11
; %bb.4:
	s_load_dword s0, s[4:5], 0x4c
	s_load_dword s7, s[4:5], 0x44
	s_load_dwordx8 s[8:15], s[4:5], 0x10
	v_mbcnt_hi_u32_b32 v4, -1, v11
	v_lshlrev_b32_e32 v2, 3, v12
	s_waitcnt lgkmcnt(0)
	s_and_b32 s0, s0, 0xffff
	v_lshlrev_b32_e32 v4, 2, v4
	v_mad_u32_u24 v0, v12, s0, v10
	v_and_b32_e32 v13, 0x100, v4
	v_mov_b32_e32 v4, s3
	v_add_co_u32_e32 v6, vcc, s2, v2
	v_and_b32_e32 v3, 63, v0
	v_addc_co_u32_e32 v7, vcc, 0, v4, vcc
	v_add_co_u32_e32 v2, vcc, v6, v3
	v_cmp_gt_u32_e64 s[0:1], 8, v3
	s_lshl_b32 s4, s7, 8
	v_addc_co_u32_e32 v3, vcc, 0, v7, vcc
	v_mul_lo_u32 v8, s23, v6
	v_mul_lo_u32 v9, s22, v7
	v_mad_u64_u32 v[6:7], s[26:27], s22, v6, 0
	v_mov_b32_e32 v1, 0
	v_lshl_add_u32 v0, s6, 5, v10
	v_add3_u32 v7, v7, v9, v8
	s_mul_i32 s7, s23, s4
	s_mul_hi_u32 s26, s22, s4
	s_mov_b32 s5, 0
	v_lshlrev_b64 v[6:7], 1, v[6:7]
	v_lshlrev_b64 v[8:9], 1, v[0:1]
	s_add_i32 s27, s26, s7
	s_mul_i32 s26, s22, s4
	s_lshl_b64 s[24:25], s[4:5], 2
	v_add_co_u32_e32 v6, vcc, v6, v8
	s_lshl_b64 s[26:27], s[26:27], 1
	s_lshl_b64 s[22:23], s[22:23], 1
	v_or_b32_e32 v14, 4, v13
	v_or_b32_e32 v15, 8, v13
	;; [unrolled: 1-line block ×7, first 2 shown]
	v_lshlrev_b64 v[4:5], 2, v[2:3]
	v_addc_co_u32_e32 v7, vcc, v7, v9, vcc
	v_mov_b32_e32 v21, s9
	v_mov_b32_e32 v22, s11
	;; [unrolled: 1-line block ×6, first 2 shown]
	v_pk_mov_b32 v[8:9], s[20:21], s[20:21] op_sel:[0,1]
	v_mov_b32_e32 v0, v1
	s_branch .LBB114_7
.LBB114_5:                              ;   in Loop: Header=BB114_7 Depth=1
	s_or_b64 exec, exec, s[30:31]
.LBB114_6:                              ;   in Loop: Header=BB114_7 Depth=1
	s_or_b64 exec, exec, s[28:29]
	v_add_co_u32_e32 v30, vcc, s8, v6
	v_addc_co_u32_e32 v31, vcc, v21, v7, vcc
	v_add_co_u32_e32 v32, vcc, s10, v6
	v_addc_co_u32_e32 v33, vcc, v22, v7, vcc
	global_load_ushort v29, v[30:31], off
	v_add_co_u32_e32 v30, vcc, s22, v30
	v_addc_co_u32_e32 v31, vcc, v31, v23, vcc
	global_load_ushort v34, v[32:33], off
	;; [unrolled: 3-line block ×13, first 2 shown]
	global_load_ushort v46, v[32:33], off
	v_add_co_u32_e32 v30, vcc, s22, v30
	v_addc_co_u32_e32 v31, vcc, v31, v23, vcc
	global_load_ushort v47, v[30:31], off
	v_add_co_u32_e32 v30, vcc, s22, v32
	v_addc_co_u32_e32 v31, vcc, v33, v23, vcc
	;; [unrolled: 3-line block ×3, first 2 shown]
	v_add_co_u32_e32 v2, vcc, s4, v2
	v_addc_co_u32_e32 v3, vcc, v3, v25, vcc
	s_waitcnt vmcnt(15)
	v_lshlrev_b32_e32 v30, 16, v29
	s_add_u32 s2, s2, s4
	v_add_co_u32_e32 v6, vcc, s26, v6
	s_addc_u32 s3, s3, 0
	s_waitcnt vmcnt(14)
	v_lshlrev_b32_e32 v29, 16, v34
	v_addc_co_u32_e32 v7, vcc, v7, v26, vcc
	v_cmp_lt_i64_e32 vcc, s[2:3], v[8:9]
	s_and_b64 vcc, exec, vcc
	s_waitcnt vmcnt(13)
	v_lshlrev_b32_e32 v32, 16, v35
	s_waitcnt vmcnt(12)
	v_lshlrev_b32_e32 v33, 16, v36
	;; [unrolled: 2-line block ×9, first 2 shown]
	ds_bpermute_b32 v43, v13, v28
	s_waitcnt vmcnt(4)
	v_lshlrev_b32_e32 v41, 16, v44
	s_waitcnt lgkmcnt(0)
	v_sub_f32_e32 v29, v29, v43
	ds_bpermute_b32 v43, v14, v28
	v_mul_f32_e32 v29, v29, v30
	s_waitcnt vmcnt(3)
	v_lshlrev_b32_e32 v42, 16, v45
	s_waitcnt vmcnt(2)
	v_lshlrev_b32_e32 v45, 16, v46
	ds_bpermute_b32 v46, v13, v27
	s_waitcnt lgkmcnt(1)
	v_sub_f32_e32 v33, v33, v43
	ds_bpermute_b32 v43, v15, v27
	v_mul_f32_e32 v33, v33, v32
	s_waitcnt vmcnt(1)
	v_lshlrev_b32_e32 v44, 16, v47
	s_waitcnt vmcnt(0)
	v_lshlrev_b32_e32 v47, 16, v31
	s_waitcnt lgkmcnt(1)
	v_mul_f32_e32 v31, v29, v46
	ds_bpermute_b32 v29, v14, v27
	ds_bpermute_b32 v46, v15, v28
	v_pk_add_f32 v[0:1], v[0:1], v[30:31]
	s_waitcnt lgkmcnt(1)
	v_mul_f32_e32 v33, v33, v29
	s_waitcnt lgkmcnt(0)
	v_sub_f32_e32 v29, v35, v46
	ds_bpermute_b32 v46, v16, v28
	v_mul_f32_e32 v29, v29, v34
	v_mul_f32_e32 v35, v29, v43
	ds_bpermute_b32 v29, v16, v27
	ds_bpermute_b32 v43, v17, v28
	s_waitcnt lgkmcnt(2)
	v_sub_f32_e32 v37, v37, v46
	ds_bpermute_b32 v46, v17, v27
	v_mul_f32_e32 v37, v37, v36
	s_waitcnt lgkmcnt(2)
	v_mul_f32_e32 v37, v37, v29
	s_waitcnt lgkmcnt(1)
	v_sub_f32_e32 v29, v39, v43
	ds_bpermute_b32 v43, v18, v28
	v_mul_f32_e32 v29, v29, v38
	s_waitcnt lgkmcnt(1)
	v_mul_f32_e32 v39, v29, v46
	ds_bpermute_b32 v29, v18, v27
	ds_bpermute_b32 v46, v19, v28
	ds_bpermute_b32 v28, v20, v28
	s_waitcnt lgkmcnt(3)
	v_sub_f32_e32 v41, v41, v43
	ds_bpermute_b32 v43, v19, v27
	v_pk_add_f32 v[0:1], v[0:1], v[32:33]
	ds_bpermute_b32 v27, v20, v27
	v_mul_f32_e32 v41, v41, v40
	v_pk_add_f32 v[0:1], v[0:1], v[34:35]
	s_waitcnt lgkmcnt(4)
	v_mul_f32_e32 v41, v41, v29
	s_waitcnt lgkmcnt(3)
	v_sub_f32_e32 v29, v45, v46
	v_pk_add_f32 v[0:1], v[0:1], v[36:37]
	v_mul_f32_e32 v29, v29, v42
	v_pk_add_f32 v[0:1], v[0:1], v[38:39]
	s_waitcnt lgkmcnt(2)
	v_sub_f32_e32 v28, v47, v28
	s_waitcnt lgkmcnt(1)
	v_mul_f32_e32 v43, v29, v43
	v_pk_add_f32 v[0:1], v[0:1], v[40:41]
	v_mul_f32_e32 v28, v28, v44
	v_pk_add_f32 v[0:1], v[0:1], v[42:43]
	s_waitcnt lgkmcnt(0)
	v_mul_f32_e32 v45, v28, v27
	v_pk_add_f32 v[0:1], v[0:1], v[44:45]
	s_cbranch_vccz .LBB114_10
.LBB114_7:                              ; =>This Inner Loop Header: Depth=1
	v_mov_b32_e32 v27, 0
	v_mov_b32_e32 v28, 0
	s_and_saveexec_b64 s[28:29], s[0:1]
	s_cbranch_execz .LBB114_6
; %bb.8:                                ;   in Loop: Header=BB114_7 Depth=1
	v_cmp_gt_i64_e32 vcc, s[20:21], v[2:3]
	v_mov_b32_e32 v28, 0
	v_mov_b32_e32 v27, 0
	s_and_saveexec_b64 s[30:31], vcc
	s_cbranch_execz .LBB114_5
; %bb.9:                                ;   in Loop: Header=BB114_7 Depth=1
	v_mov_b32_e32 v27, s15
	v_add_co_u32_e32 v30, vcc, s14, v4
	v_addc_co_u32_e32 v31, vcc, v27, v5, vcc
	v_mov_b32_e32 v27, s13
	v_add_co_u32_e32 v32, vcc, s12, v4
	v_addc_co_u32_e32 v33, vcc, v27, v5, vcc
	global_load_dword v28, v[32:33], off
	global_load_dword v27, v[30:31], off
	s_branch .LBB114_5
.LBB114_10:
	v_mov_b32_e32 v2, v12
.LBB114_11:
	v_mad_u32_u24 v3, v2, 33, v10
	v_lshl_add_u32 v4, v3, 2, 0
	ds_write_b32 v4, v1
	ds_write_b32 v4, v0 offset:4224
	v_sub_u32_e32 v0, v3, v2
	s_movk_i32 s0, 0x800
	s_mov_b32 s7, 0
	v_cmp_gt_u32_e32 vcc, s0, v0
	s_waitcnt lgkmcnt(0)
	s_barrier
	s_and_saveexec_b64 s[0:1], vcc
	s_cbranch_execz .LBB114_21
; %bb.12:
	v_lshrrev_b32_e32 v4, 6, v0
	v_and_b32_e32 v5, 63, v0
	v_mbcnt_hi_u32_b32 v0, -1, v11
	v_and_b32_e32 v1, 64, v0
	v_add_u32_e32 v1, 64, v1
	v_xor_b32_e32 v2, 16, v0
	v_cmp_lt_i32_e32 vcc, v2, v1
	v_cndmask_b32_e32 v2, v0, v2, vcc
	v_lshlrev_b32_e32 v6, 2, v2
	v_xor_b32_e32 v2, 8, v0
	v_cmp_lt_i32_e32 vcc, v2, v1
	v_cndmask_b32_e32 v2, v0, v2, vcc
	v_lshlrev_b32_e32 v7, 2, v2
	;; [unrolled: 4-line block ×4, first 2 shown]
	v_xor_b32_e32 v2, 1, v0
	s_cmp_lg_u64 s[16:17], 0
	v_cmp_lt_i32_e32 vcc, v2, v1
	s_cselect_b64 s[4:5], -1, 0
	s_cmp_lg_u64 s[18:19], 0
	v_cndmask_b32_e32 v0, v0, v2, vcc
	v_cmp_eq_u32_e64 s[2:3], 0, v10
	s_cselect_b64 s[10:11], -1, 0
	v_lshlrev_b32_e32 v10, 2, v0
	s_lshl_b64 s[6:7], s[6:7], 6
	v_lshlrev_b32_e32 v0, 1, v4
	v_mov_b32_e32 v1, s7
	v_add_co_u32_e32 v2, vcc, s6, v0
	v_addc_co_u32_e32 v3, vcc, 0, v1, vcc
	v_mov_b32_e32 v1, s19
	v_add_co_u32_e32 v0, vcc, s18, v2
	v_addc_co_u32_e32 v1, vcc, v1, v3, vcc
	v_add_u32_e32 v11, -16, v4
	v_mov_b32_e32 v12, s17
	v_add_co_u32_e32 v2, vcc, s16, v2
	v_mad_u32_u24 v4, v5, 33, v4
	v_addc_co_u32_e32 v3, vcc, v12, v3, vcc
	v_lshl_add_u32 v12, v4, 2, 0
	v_cndmask_b32_e64 v4, 0, 1, s[4:5]
	v_cmp_ne_u32_e64 s[4:5], 1, v4
	v_cndmask_b32_e64 v4, 0, 1, s[10:11]
	v_cmp_gt_u32_e64 s[0:1], 32, v5
	s_mov_b64 s[8:9], 0
	s_movk_i32 s12, 0x7fff
	v_mov_b32_e32 v13, 0x7fc0
	v_cmp_ne_u32_e64 s[6:7], 1, v4
                                        ; implicit-def: $vgpr4
	s_branch .LBB114_14
.LBB114_13:                             ;   in Loop: Header=BB114_14 Depth=1
	s_or_b64 exec, exec, s[10:11]
	v_add_co_u32_e32 v11, vcc, 16, v11
	s_xor_b64 s[10:11], vcc, -1
	v_add_co_u32_e32 v0, vcc, 32, v0
	v_addc_co_u32_e32 v1, vcc, 0, v1, vcc
	v_add_co_u32_e32 v2, vcc, 32, v2
	s_and_b64 s[10:11], exec, s[10:11]
	v_addc_co_u32_e32 v3, vcc, 0, v3, vcc
	s_or_b64 s[8:9], s[10:11], s[8:9]
	v_add_u32_e32 v12, 64, v12
	s_andn2_b64 exec, exec, s[8:9]
	s_cbranch_execz .LBB114_21
.LBB114_14:                             ; =>This Inner Loop Header: Depth=1
	s_and_saveexec_b64 s[10:11], s[0:1]
	s_cbranch_execz .LBB114_16
; %bb.15:                               ;   in Loop: Header=BB114_14 Depth=1
	ds_read_b32 v5, v12
	ds_read_b32 v4, v12 offset:4224
.LBB114_16:                             ;   in Loop: Header=BB114_14 Depth=1
	s_or_b64 exec, exec, s[10:11]
	s_waitcnt lgkmcnt(1)
	ds_bpermute_b32 v15, v6, v5
	s_waitcnt lgkmcnt(1)
	ds_bpermute_b32 v14, v6, v4
	s_waitcnt lgkmcnt(0)
	v_pk_add_f32 v[4:5], v[4:5], v[14:15]
	ds_bpermute_b32 v15, v7, v5
	ds_bpermute_b32 v14, v7, v4
	s_waitcnt lgkmcnt(0)
	v_pk_add_f32 v[4:5], v[4:5], v[14:15]
	ds_bpermute_b32 v15, v8, v5
	;; [unrolled: 4-line block ×4, first 2 shown]
	ds_bpermute_b32 v14, v10, v4
	s_waitcnt lgkmcnt(0)
	v_pk_add_f32 v[4:5], v[4:5], v[14:15]
	s_and_saveexec_b64 s[10:11], s[2:3]
	s_cbranch_execz .LBB114_13
; %bb.17:                               ;   in Loop: Header=BB114_14 Depth=1
	s_and_b64 vcc, exec, s[4:5]
	s_cbranch_vccnz .LBB114_19
; %bb.18:                               ;   in Loop: Header=BB114_14 Depth=1
	v_bfe_u32 v14, v5, 16, 1
	v_add3_u32 v14, v5, v14, s12
	v_lshrrev_b32_e32 v14, 16, v14
	v_cmp_o_f32_e32 vcc, v5, v5
	v_cndmask_b32_e32 v14, v13, v14, vcc
	global_store_short v[2:3], v14, off
.LBB114_19:                             ;   in Loop: Header=BB114_14 Depth=1
	s_and_b64 vcc, exec, s[6:7]
	s_cbranch_vccnz .LBB114_13
; %bb.20:                               ;   in Loop: Header=BB114_14 Depth=1
	v_bfe_u32 v14, v4, 16, 1
	v_add3_u32 v14, v4, v14, s12
	v_lshrrev_b32_e32 v14, 16, v14
	v_cmp_o_f32_e32 vcc, v4, v4
	v_cndmask_b32_e32 v14, v13, v14, vcc
	global_store_short v[0:1], v14, off
	s_branch .LBB114_13
.LBB114_21:
	s_endpgm
	.section	.rodata,"a",@progbits
	.p2align	6, 0x0
	.amdhsa_kernel _ZN2at6native12_GLOBAL__N_135GammaBetaBackwardCUDAKernelTemplateIN3c108BFloat16EfLj32ELj32ELj256ELb0ELb1ELb0EEEvllPKT_S7_PKT0_SA_PS5_SB_
		.amdhsa_group_segment_fixed_size 0
		.amdhsa_private_segment_fixed_size 0
		.amdhsa_kernarg_size 320
		.amdhsa_user_sgpr_count 6
		.amdhsa_user_sgpr_private_segment_buffer 1
		.amdhsa_user_sgpr_dispatch_ptr 0
		.amdhsa_user_sgpr_queue_ptr 0
		.amdhsa_user_sgpr_kernarg_segment_ptr 1
		.amdhsa_user_sgpr_dispatch_id 0
		.amdhsa_user_sgpr_flat_scratch_init 0
		.amdhsa_user_sgpr_kernarg_preload_length 0
		.amdhsa_user_sgpr_kernarg_preload_offset 0
		.amdhsa_user_sgpr_private_segment_size 0
		.amdhsa_uses_dynamic_stack 0
		.amdhsa_system_sgpr_private_segment_wavefront_offset 0
		.amdhsa_system_sgpr_workgroup_id_x 1
		.amdhsa_system_sgpr_workgroup_id_y 1
		.amdhsa_system_sgpr_workgroup_id_z 0
		.amdhsa_system_sgpr_workgroup_info 0
		.amdhsa_system_vgpr_workitem_id 1
		.amdhsa_next_free_vgpr 48
		.amdhsa_next_free_sgpr 32
		.amdhsa_accum_offset 48
		.amdhsa_reserve_vcc 1
		.amdhsa_reserve_flat_scratch 0
		.amdhsa_float_round_mode_32 0
		.amdhsa_float_round_mode_16_64 0
		.amdhsa_float_denorm_mode_32 3
		.amdhsa_float_denorm_mode_16_64 3
		.amdhsa_dx10_clamp 1
		.amdhsa_ieee_mode 1
		.amdhsa_fp16_overflow 0
		.amdhsa_tg_split 0
		.amdhsa_exception_fp_ieee_invalid_op 0
		.amdhsa_exception_fp_denorm_src 0
		.amdhsa_exception_fp_ieee_div_zero 0
		.amdhsa_exception_fp_ieee_overflow 0
		.amdhsa_exception_fp_ieee_underflow 0
		.amdhsa_exception_fp_ieee_inexact 0
		.amdhsa_exception_int_div_zero 0
	.end_amdhsa_kernel
	.section	.text._ZN2at6native12_GLOBAL__N_135GammaBetaBackwardCUDAKernelTemplateIN3c108BFloat16EfLj32ELj32ELj256ELb0ELb1ELb0EEEvllPKT_S7_PKT0_SA_PS5_SB_,"axG",@progbits,_ZN2at6native12_GLOBAL__N_135GammaBetaBackwardCUDAKernelTemplateIN3c108BFloat16EfLj32ELj32ELj256ELb0ELb1ELb0EEEvllPKT_S7_PKT0_SA_PS5_SB_,comdat
.Lfunc_end114:
	.size	_ZN2at6native12_GLOBAL__N_135GammaBetaBackwardCUDAKernelTemplateIN3c108BFloat16EfLj32ELj32ELj256ELb0ELb1ELb0EEEvllPKT_S7_PKT0_SA_PS5_SB_, .Lfunc_end114-_ZN2at6native12_GLOBAL__N_135GammaBetaBackwardCUDAKernelTemplateIN3c108BFloat16EfLj32ELj32ELj256ELb0ELb1ELb0EEEvllPKT_S7_PKT0_SA_PS5_SB_
                                        ; -- End function
	.section	.AMDGPU.csdata,"",@progbits
; Kernel info:
; codeLenInByte = 1896
; NumSgprs: 36
; NumVgprs: 48
; NumAgprs: 0
; TotalNumVgprs: 48
; ScratchSize: 0
; MemoryBound: 0
; FloatMode: 240
; IeeeMode: 1
; LDSByteSize: 0 bytes/workgroup (compile time only)
; SGPRBlocks: 4
; VGPRBlocks: 5
; NumSGPRsForWavesPerEU: 36
; NumVGPRsForWavesPerEU: 48
; AccumOffset: 48
; Occupancy: 8
; WaveLimiterHint : 0
; COMPUTE_PGM_RSRC2:SCRATCH_EN: 0
; COMPUTE_PGM_RSRC2:USER_SGPR: 6
; COMPUTE_PGM_RSRC2:TRAP_HANDLER: 0
; COMPUTE_PGM_RSRC2:TGID_X_EN: 1
; COMPUTE_PGM_RSRC2:TGID_Y_EN: 1
; COMPUTE_PGM_RSRC2:TGID_Z_EN: 0
; COMPUTE_PGM_RSRC2:TIDIG_COMP_CNT: 1
; COMPUTE_PGM_RSRC3_GFX90A:ACCUM_OFFSET: 11
; COMPUTE_PGM_RSRC3_GFX90A:TG_SPLIT: 0
	.section	.text._ZN2at6native12_GLOBAL__N_135GammaBetaBackwardCUDAKernelTemplateIN3c108BFloat16EfLj32ELj32ELj256ELb0ELb0ELb0EEEvllPKT_S7_PKT0_SA_PS5_SB_,"axG",@progbits,_ZN2at6native12_GLOBAL__N_135GammaBetaBackwardCUDAKernelTemplateIN3c108BFloat16EfLj32ELj32ELj256ELb0ELb0ELb0EEEvllPKT_S7_PKT0_SA_PS5_SB_,comdat
	.globl	_ZN2at6native12_GLOBAL__N_135GammaBetaBackwardCUDAKernelTemplateIN3c108BFloat16EfLj32ELj32ELj256ELb0ELb0ELb0EEEvllPKT_S7_PKT0_SA_PS5_SB_ ; -- Begin function _ZN2at6native12_GLOBAL__N_135GammaBetaBackwardCUDAKernelTemplateIN3c108BFloat16EfLj32ELj32ELj256ELb0ELb0ELb0EEEvllPKT_S7_PKT0_SA_PS5_SB_
	.p2align	8
	.type	_ZN2at6native12_GLOBAL__N_135GammaBetaBackwardCUDAKernelTemplateIN3c108BFloat16EfLj32ELj32ELj256ELb0ELb0ELb0EEEvllPKT_S7_PKT0_SA_PS5_SB_,@function
_ZN2at6native12_GLOBAL__N_135GammaBetaBackwardCUDAKernelTemplateIN3c108BFloat16EfLj32ELj32ELj256ELb0ELb0ELb0EEEvllPKT_S7_PKT0_SA_PS5_SB_: ; @_ZN2at6native12_GLOBAL__N_135GammaBetaBackwardCUDAKernelTemplateIN3c108BFloat16EfLj32ELj32ELj256ELb0ELb0ELb0EEEvllPKT_S7_PKT0_SA_PS5_SB_
; %bb.0:
	s_load_dwordx8 s[12:19], s[4:5], 0x0
	s_load_dwordx4 s[28:31], s[4:5], 0x20
	s_lshl_b32 s33, s6, 5
	s_mov_b32 s20, 0
	s_or_b32 s0, s33, 31
	s_mov_b32 s1, s20
	s_waitcnt lgkmcnt(0)
	v_pk_mov_b32 v[2:3], s[14:15], s[14:15] op_sel:[0,1]
	v_cmp_ge_i64_e32 vcc, s[0:1], v[2:3]
	s_lshl_b32 s10, s7, 8
	s_mov_b32 s11, s20
	v_pk_mov_b32 v[2:3], s[12:13], s[12:13] op_sel:[0,1]
	v_cmp_lt_i64_e64 s[0:1], s[10:11], v[2:3]
	v_cndmask_b32_e64 v1, 0, 1, s[0:1]
	v_cmp_ne_u32_e64 s[0:1], 1, v1
	s_cbranch_vccz .LBB115_48
; %bb.1:
	v_mov_b32_e32 v27, 0
	s_and_b64 vcc, exec, s[0:1]
	v_mov_b32_e32 v26, v27
	s_cbranch_vccnz .LBB115_49
; %bb.2:
	v_and_b32_e32 v61, 0x3ff, v0
	v_bfe_u32 v63, v0, 10, 10
	v_add_u32_e32 v2, s33, v61
	v_mov_b32_e32 v3, 0
	v_lshlrev_b32_e32 v28, 3, v63
	v_cmp_gt_i64_e64 s[2:3], s[14:15], v[2:3]
	v_lshlrev_b64 v[30:31], 1, v[2:3]
	v_mov_b32_e32 v1, s11
	v_add_co_u32_e32 v2, vcc, s10, v28
	v_addc_co_u32_e32 v6, vcc, 0, v1, vcc
	v_add_co_u32_e32 v1, vcc, 7, v2
	v_addc_co_u32_e32 v4, vcc, 0, v6, vcc
	v_mul_lo_u32 v7, s15, v1
	v_mul_lo_u32 v8, s14, v4
	v_mad_u64_u32 v[4:5], s[8:9], s14, v1, 0
	s_load_dword s7, s[4:5], 0x44
	v_add3_u32 v5, v5, v8, v7
	v_lshlrev_b64 v[4:5], 1, v[4:5]
	v_mov_b32_e32 v7, s17
	v_add_co_u32_e32 v32, vcc, s16, v4
	v_addc_co_u32_e32 v1, vcc, v7, v5, vcc
	s_add_u32 s34, s4, 64
	v_mov_b32_e32 v8, s19
	v_add_co_u32_e32 v34, vcc, s18, v4
	s_addc_u32 s35, s5, 0
	s_waitcnt lgkmcnt(0)
	s_lshl_b32 s7, s7, 8
	v_addc_co_u32_e32 v29, vcc, v8, v5, vcc
	s_mul_i32 s8, s15, s7
	s_mul_hi_u32 s9, s14, s7
	v_add_co_u32_e32 v4, vcc, 6, v2
	s_add_i32 s9, s9, s8
	s_mul_i32 s8, s14, s7
	v_addc_co_u32_e32 v5, vcc, 0, v6, vcc
	s_lshl_b64 s[36:37], s[8:9], 1
	v_mul_lo_u32 v9, s15, v4
	v_mul_lo_u32 v10, s14, v5
	v_mad_u64_u32 v[4:5], s[8:9], s14, v4, 0
	v_add3_u32 v5, v5, v10, v9
	v_lshlrev_b64 v[4:5], 1, v[4:5]
	v_add_co_u32_e32 v36, vcc, s16, v4
	v_addc_co_u32_e32 v33, vcc, v7, v5, vcc
	v_add_co_u32_e32 v38, vcc, s18, v4
	v_addc_co_u32_e32 v35, vcc, v8, v5, vcc
	v_add_co_u32_e32 v4, vcc, 5, v2
	v_addc_co_u32_e32 v5, vcc, 0, v6, vcc
	v_mul_lo_u32 v9, s15, v4
	v_mul_lo_u32 v10, s14, v5
	v_mad_u64_u32 v[4:5], s[8:9], s14, v4, 0
	v_add3_u32 v5, v5, v10, v9
	v_lshlrev_b64 v[4:5], 1, v[4:5]
	v_add_co_u32_e32 v40, vcc, s16, v4
	v_addc_co_u32_e32 v37, vcc, v7, v5, vcc
	v_add_co_u32_e32 v42, vcc, s18, v4
	v_addc_co_u32_e32 v39, vcc, v8, v5, vcc
	v_add_co_u32_e32 v4, vcc, 4, v2
	v_addc_co_u32_e32 v5, vcc, 0, v6, vcc
	;; [unrolled: 11-line block ×4, first 2 shown]
	v_mul_lo_u32 v9, s15, v4
	v_mul_lo_u32 v10, s14, v5
	v_mad_u64_u32 v[4:5], s[8:9], s14, v4, 0
	v_add3_u32 v5, v5, v10, v9
	v_lshlrev_b64 v[4:5], 1, v[4:5]
	v_add_co_u32_e32 v52, vcc, s16, v4
	v_addc_co_u32_e32 v49, vcc, v7, v5, vcc
	v_add_co_u32_e32 v54, vcc, s18, v4
	v_addc_co_u32_e32 v51, vcc, v8, v5, vcc
	v_pk_mov_b32 v[4:5], s[14:15], s[14:15] op_sel:[0,1]
	v_mad_u64_u32 v[4:5], s[8:9], s14, v2, v[4:5]
	v_mul_lo_u32 v6, s14, v6
	v_mul_lo_u32 v9, s15, v2
	v_add3_u32 v5, v9, v5, v6
	v_lshlrev_b64 v[4:5], 1, v[4:5]
	v_add_co_u32_e32 v56, vcc, s16, v4
	v_addc_co_u32_e32 v53, vcc, v7, v5, vcc
	v_add_co_u32_e32 v58, vcc, s18, v4
	v_addc_co_u32_e32 v55, vcc, v8, v5, vcc
	v_mad_u64_u32 v[4:5], s[8:9], s14, v2, 0
	v_add3_u32 v5, v5, v6, v9
	v_lshlrev_b64 v[4:5], 1, v[4:5]
	v_add_co_u32_e32 v60, vcc, s16, v4
	v_mbcnt_lo_u32_b32 v2, -1, 0
	v_addc_co_u32_e32 v57, vcc, v7, v5, vcc
	v_mbcnt_hi_u32_b32 v2, -1, v2
	s_add_u32 s38, s10, 0xff
	v_add_co_u32_e32 v62, vcc, s18, v4
	v_lshlrev_b32_e32 v2, 2, v2
	s_addc_u32 s39, 0, 0
	v_addc_co_u32_e32 v59, vcc, v8, v5, vcc
	v_and_b32_e32 v64, 0x100, v2
	s_mov_b64 s[40:41], s[10:11]
	v_mov_b32_e32 v26, v3
	v_mov_b32_e32 v27, v3
	s_branch .LBB115_5
.LBB115_3:                              ;   in Loop: Header=BB115_5 Depth=1
	s_or_b64 exec, exec, s[8:9]
	s_waitcnt vmcnt(1)
	ds_bpermute_b32 v2, v64, v68
	ds_bpermute_b32 v4, v64, v68 offset:4
	s_waitcnt vmcnt(0)
	ds_bpermute_b32 v5, v64, v67
	ds_bpermute_b32 v6, v64, v67 offset:4
	ds_bpermute_b32 v8, v64, v67 offset:12
	s_waitcnt lgkmcnt(4)
	v_sub_f32_e32 v2, v10, v2
	v_mul_f32_e32 v2, v18, v2
	s_waitcnt lgkmcnt(3)
	v_sub_f32_e32 v4, v11, v4
	s_waitcnt lgkmcnt(2)
	v_mul_f32_e32 v5, v2, v5
	ds_bpermute_b32 v2, v64, v68 offset:8
	v_mul_f32_e32 v4, v19, v4
	s_waitcnt lgkmcnt(2)
	v_mul_f32_e32 v7, v4, v6
	ds_bpermute_b32 v4, v64, v67 offset:8
	ds_bpermute_b32 v6, v64, v68 offset:12
	s_waitcnt lgkmcnt(2)
	v_sub_f32_e32 v2, v12, v2
	v_mul_f32_e32 v2, v20, v2
	v_mov_b32_e32 v10, v21
	s_waitcnt lgkmcnt(1)
	v_mul_f32_e32 v9, v2, v4
	s_waitcnt lgkmcnt(0)
	v_sub_f32_e32 v2, v13, v6
	ds_bpermute_b32 v4, v64, v68 offset:16
	v_mul_f32_e32 v2, v21, v2
	v_mul_f32_e32 v11, v2, v8
	ds_bpermute_b32 v2, v64, v67 offset:16
	ds_bpermute_b32 v6, v64, v68 offset:20
	;; [unrolled: 1-line block ×3, first 2 shown]
	s_waitcnt lgkmcnt(3)
	v_sub_f32_e32 v4, v14, v4
	v_mul_f32_e32 v4, v22, v4
	s_waitcnt lgkmcnt(2)
	v_mul_f32_e32 v13, v4, v2
	s_waitcnt lgkmcnt(1)
	v_sub_f32_e32 v2, v15, v6
	v_mul_f32_e32 v2, v23, v2
	s_waitcnt lgkmcnt(0)
	v_mul_f32_e32 v15, v2, v8
	v_mov_b32_e32 v4, v18
	ds_bpermute_b32 v2, v64, v68 offset:24
	v_pk_add_f32 v[4:5], v[26:27], v[4:5]
	v_mov_b32_e32 v6, v19
	v_pk_add_f32 v[4:5], v[6:7], v[4:5]
	ds_bpermute_b32 v7, v64, v67 offset:24
	v_mov_b32_e32 v8, v20
	v_pk_add_f32 v[4:5], v[8:9], v[4:5]
	v_pk_add_f32 v[4:5], v[10:11], v[4:5]
	v_mov_b32_e32 v12, v22
	s_waitcnt lgkmcnt(1)
	v_sub_f32_e32 v8, v16, v2
	v_pk_add_f32 v[4:5], v[12:13], v[4:5]
	v_mov_b32_e32 v14, v23
	v_mul_f32_e32 v8, v24, v8
	v_pk_add_f32 v[4:5], v[14:15], v[4:5]
	s_waitcnt lgkmcnt(0)
	v_mul_f32_e32 v9, v8, v7
	v_mov_b32_e32 v8, v24
	ds_bpermute_b32 v2, v64, v67 offset:28
	ds_bpermute_b32 v6, v64, v68 offset:28
	v_pk_add_f32 v[4:5], v[8:9], v[4:5]
.LBB115_4:                              ;   in Loop: Header=BB115_5 Depth=1
	s_waitcnt lgkmcnt(0)
	v_sub_f32_e32 v6, v17, v6
	v_mul_f32_e32 v6, v25, v6
	v_mul_f32_e32 v7, v6, v2
	v_mov_b32_e32 v2, s37
	v_add_co_u32_e32 v32, vcc, s36, v32
	v_addc_co_u32_e32 v1, vcc, v1, v2, vcc
	v_add_co_u32_e32 v34, vcc, s36, v34
	v_addc_co_u32_e32 v29, vcc, v29, v2, vcc
	;; [unrolled: 2-line block ×15, first 2 shown]
	v_mov_b32_e32 v6, v25
	s_add_u32 s40, s40, s7
	v_add_co_u32_e32 v62, vcc, s36, v62
	v_pk_add_f32 v[26:27], v[4:5], v[6:7]
	s_addc_u32 s41, s41, 0
	v_addc_co_u32_e32 v59, vcc, v59, v2, vcc
	v_pk_mov_b32 v[4:5], s[12:13], s[12:13] op_sel:[0,1]
	s_add_u32 s38, s38, s7
	v_cmp_lt_i64_e32 vcc, s[40:41], v[4:5]
	s_addc_u32 s39, s39, 0
	s_cbranch_vccz .LBB115_49
.LBB115_5:                              ; =>This Inner Loop Header: Depth=1
	v_pk_mov_b32 v[4:5], s[12:13], s[12:13] op_sel:[0,1]
	v_cmp_ge_i64_e32 vcc, s[38:39], v[4:5]
	v_mov_b32_e32 v2, s39
	v_add_co_u32_e64 v65, s[8:9], s38, v28
	v_addc_co_u32_e64 v66, s[8:9], 0, v2, s[8:9]
	s_cbranch_vccz .LBB115_27
; %bb.6:                                ;   in Loop: Header=BB115_5 Depth=1
	s_load_dword s8, s[34:35], 0xc
	v_mov_b32_e32 v67, 0
	v_mov_b32_e32 v68, 0
	s_waitcnt lgkmcnt(0)
	s_and_b32 s8, s8, 0xffff
	v_mad_u32_u24 v2, v63, s8, v61
	v_and_b32_e32 v2, 63, v2
	v_cmp_gt_u32_e32 vcc, 8, v2
	s_and_saveexec_b64 s[8:9], vcc
	s_cbranch_execz .LBB115_10
; %bb.7:                                ;   in Loop: Header=BB115_5 Depth=1
	v_add_co_u32_e32 v2, vcc, v65, v2
	v_addc_co_u32_e32 v5, vcc, 0, v66, vcc
	v_add_co_u32_e32 v4, vcc, 0xffffff01, v2
	v_addc_co_u32_e32 v5, vcc, -1, v5, vcc
	v_cmp_gt_i64_e32 vcc, s[12:13], v[4:5]
	v_mov_b32_e32 v68, 0
	v_mov_b32_e32 v67, 0
	s_and_saveexec_b64 s[22:23], vcc
	s_cbranch_execz .LBB115_9
; %bb.8:                                ;   in Loop: Header=BB115_5 Depth=1
	v_lshlrev_b64 v[4:5], 2, v[4:5]
	v_mov_b32_e32 v2, s31
	v_add_co_u32_e32 v6, vcc, s30, v4
	v_addc_co_u32_e32 v7, vcc, v2, v5, vcc
	v_mov_b32_e32 v2, s29
	v_add_co_u32_e32 v4, vcc, s28, v4
	v_addc_co_u32_e32 v5, vcc, v2, v5, vcc
	global_load_dword v68, v[4:5], off
	global_load_dword v67, v[6:7], off
.LBB115_9:                              ;   in Loop: Header=BB115_5 Depth=1
	s_or_b64 exec, exec, s[22:23]
.LBB115_10:                             ;   in Loop: Header=BB115_5 Depth=1
	s_or_b64 exec, exec, s[8:9]
	s_mov_b32 s21, s20
	v_add_co_u32_e32 v4, vcc, 0xffffff01, v65
	s_mov_b32 s22, s20
	s_mov_b32 s23, s20
	;; [unrolled: 1-line block ×6, first 2 shown]
	v_pk_mov_b32 v[10:11], s[20:21], s[20:21] op_sel:[0,1]
	v_addc_co_u32_e32 v5, vcc, -1, v66, vcc
	v_pk_mov_b32 v[16:17], s[26:27], s[26:27] op_sel:[0,1]
	v_cmp_gt_i64_e32 vcc, s[12:13], v[4:5]
	v_pk_mov_b32 v[12:13], s[22:23], s[22:23] op_sel:[0,1]
	v_pk_mov_b32 v[14:15], s[24:25], s[24:25] op_sel:[0,1]
	;; [unrolled: 1-line block ×3, first 2 shown]
	s_and_b64 s[42:43], s[2:3], vcc
	v_pk_mov_b32 v[22:23], v[14:15], v[14:15] op_sel:[0,1]
	v_pk_mov_b32 v[20:21], v[12:13], v[12:13] op_sel:[0,1]
	;; [unrolled: 1-line block ×3, first 2 shown]
	s_and_saveexec_b64 s[8:9], s[42:43]
	s_cbranch_execz .LBB115_12
; %bb.11:                               ;   in Loop: Header=BB115_5 Depth=1
	v_add_co_u32_e32 v4, vcc, v60, v30
	v_addc_co_u32_e32 v5, vcc, v57, v31, vcc
	global_load_ushort v2, v[4:5], off
	v_add_co_u32_e32 v4, vcc, v62, v30
	v_addc_co_u32_e32 v5, vcc, v59, v31, vcc
	global_load_ushort v10, v[4:5], off
	v_mov_b32_e32 v8, v3
	v_mov_b32_e32 v9, v3
	;; [unrolled: 1-line block ×13, first 2 shown]
	s_waitcnt vmcnt(1)
	v_lshlrev_b32_e32 v2, 16, v2
	v_pk_mov_b32 v[24:25], v[8:9], v[8:9] op_sel:[0,1]
	v_pk_mov_b32 v[22:23], v[6:7], v[6:7] op_sel:[0,1]
	;; [unrolled: 1-line block ×4, first 2 shown]
	s_waitcnt vmcnt(0)
	v_lshlrev_b32_e32 v10, 16, v10
.LBB115_12:                             ;   in Loop: Header=BB115_5 Depth=1
	s_or_b64 exec, exec, s[8:9]
	v_add_co_u32_e32 v4, vcc, 0xffffff02, v65
	v_addc_co_u32_e32 v5, vcc, -1, v66, vcc
	v_cmp_gt_i64_e32 vcc, s[12:13], v[4:5]
	s_and_b64 s[22:23], s[2:3], vcc
	s_and_saveexec_b64 s[8:9], s[22:23]
	s_cbranch_execz .LBB115_14
; %bb.13:                               ;   in Loop: Header=BB115_5 Depth=1
	v_add_co_u32_e32 v4, vcc, v56, v30
	v_addc_co_u32_e32 v5, vcc, v53, v31, vcc
	global_load_ushort v2, v[4:5], off
	v_add_co_u32_e32 v4, vcc, v58, v30
	v_addc_co_u32_e32 v5, vcc, v55, v31, vcc
	global_load_ushort v4, v[4:5], off
	s_waitcnt vmcnt(1)
	v_lshlrev_b32_e32 v19, 16, v2
	s_waitcnt vmcnt(0)
	v_lshlrev_b32_e32 v11, 16, v4
.LBB115_14:                             ;   in Loop: Header=BB115_5 Depth=1
	s_or_b64 exec, exec, s[8:9]
	v_add_co_u32_e32 v4, vcc, 0xffffff03, v65
	v_addc_co_u32_e32 v5, vcc, -1, v66, vcc
	v_cmp_gt_i64_e32 vcc, s[12:13], v[4:5]
	s_and_b64 s[22:23], s[2:3], vcc
	s_and_saveexec_b64 s[8:9], s[22:23]
	s_cbranch_execz .LBB115_16
; %bb.15:                               ;   in Loop: Header=BB115_5 Depth=1
	v_add_co_u32_e32 v4, vcc, v52, v30
	v_addc_co_u32_e32 v5, vcc, v49, v31, vcc
	global_load_ushort v2, v[4:5], off
	v_add_co_u32_e32 v4, vcc, v54, v30
	v_addc_co_u32_e32 v5, vcc, v51, v31, vcc
	global_load_ushort v4, v[4:5], off
	s_waitcnt vmcnt(1)
	v_lshlrev_b32_e32 v20, 16, v2
	s_waitcnt vmcnt(0)
	v_lshlrev_b32_e32 v12, 16, v4
.LBB115_16:                             ;   in Loop: Header=BB115_5 Depth=1
	;; [unrolled: 19-line block ×7, first 2 shown]
	s_or_b64 exec, exec, s[8:9]
	s_waitcnt vmcnt(1)
	ds_bpermute_b32 v2, v64, v68
	ds_bpermute_b32 v4, v64, v68 offset:4
	s_waitcnt vmcnt(0)
	ds_bpermute_b32 v5, v64, v67
	ds_bpermute_b32 v6, v64, v67 offset:4
	ds_bpermute_b32 v8, v64, v67 offset:12
	s_waitcnt lgkmcnt(4)
	v_sub_f32_e32 v2, v10, v2
	v_mul_f32_e32 v2, v18, v2
	s_waitcnt lgkmcnt(3)
	v_sub_f32_e32 v4, v11, v4
	s_waitcnt lgkmcnt(2)
	v_mul_f32_e32 v5, v2, v5
	ds_bpermute_b32 v2, v64, v68 offset:8
	v_mul_f32_e32 v4, v19, v4
	s_waitcnt lgkmcnt(2)
	v_mul_f32_e32 v7, v4, v6
	ds_bpermute_b32 v4, v64, v67 offset:8
	ds_bpermute_b32 v6, v64, v68 offset:12
	s_waitcnt lgkmcnt(2)
	v_sub_f32_e32 v2, v12, v2
	v_mul_f32_e32 v2, v20, v2
	v_mov_b32_e32 v10, v21
	s_waitcnt lgkmcnt(1)
	v_mul_f32_e32 v9, v2, v4
	s_waitcnt lgkmcnt(0)
	v_sub_f32_e32 v2, v13, v6
	ds_bpermute_b32 v4, v64, v68 offset:16
	v_mul_f32_e32 v2, v21, v2
	v_mul_f32_e32 v11, v2, v8
	ds_bpermute_b32 v2, v64, v67 offset:16
	ds_bpermute_b32 v6, v64, v68 offset:20
	;; [unrolled: 1-line block ×3, first 2 shown]
	s_waitcnt lgkmcnt(3)
	v_sub_f32_e32 v4, v14, v4
	v_mul_f32_e32 v4, v22, v4
	s_waitcnt lgkmcnt(2)
	v_mul_f32_e32 v13, v4, v2
	s_waitcnt lgkmcnt(1)
	v_sub_f32_e32 v2, v15, v6
	v_mul_f32_e32 v2, v23, v2
	s_waitcnt lgkmcnt(0)
	v_mul_f32_e32 v15, v2, v8
	ds_bpermute_b32 v2, v64, v68 offset:24
	v_mov_b32_e32 v4, v18
	v_pk_add_f32 v[4:5], v[26:27], v[4:5]
	v_mov_b32_e32 v6, v19
	v_pk_add_f32 v[4:5], v[6:7], v[4:5]
	ds_bpermute_b32 v7, v64, v67 offset:24
	v_mov_b32_e32 v8, v20
	s_waitcnt lgkmcnt(1)
	v_sub_f32_e32 v2, v16, v2
	v_pk_add_f32 v[4:5], v[8:9], v[4:5]
	v_mul_f32_e32 v8, v24, v2
	ds_bpermute_b32 v2, v64, v67 offset:28
	ds_bpermute_b32 v6, v64, v68 offset:28
	v_pk_add_f32 v[4:5], v[10:11], v[4:5]
	v_mov_b32_e32 v12, v22
	v_pk_add_f32 v[4:5], v[12:13], v[4:5]
	v_mov_b32_e32 v14, v23
	v_pk_add_f32 v[4:5], v[14:15], v[4:5]
	s_waitcnt lgkmcnt(2)
	v_mul_f32_e32 v9, v8, v7
	v_mov_b32_e32 v8, v24
	v_pk_add_f32 v[4:5], v[8:9], v[4:5]
	s_branch .LBB115_4
.LBB115_27:                             ;   in Loop: Header=BB115_5 Depth=1
                                        ; implicit-def: $vgpr4_vgpr5
                                        ; implicit-def: $vgpr2
                                        ; implicit-def: $vgpr10_vgpr11_vgpr12_vgpr13_vgpr14_vgpr15_vgpr16_vgpr17
                                        ; implicit-def: $vgpr18_vgpr19_vgpr20_vgpr21_vgpr22_vgpr23_vgpr24_vgpr25
                                        ; implicit-def: $vgpr6
	s_cbranch_execz .LBB115_4
; %bb.28:                               ;   in Loop: Header=BB115_5 Depth=1
	s_load_dword s8, s[34:35], 0x0
	v_mov_b32_e32 v67, 0
	v_mov_b32_e32 v68, 0
	s_waitcnt lgkmcnt(0)
	s_cmp_lt_u32 s6, s8
	s_cselect_b32 s8, 12, 18
	s_add_u32 s8, s34, s8
	s_addc_u32 s9, s35, 0
	global_load_ushort v2, v3, s[8:9]
	s_waitcnt vmcnt(0)
	v_mad_u32_u24 v2, v63, v2, v61
	v_and_b32_e32 v2, 63, v2
	v_cmp_gt_u32_e32 vcc, 8, v2
	s_and_saveexec_b64 s[8:9], vcc
	s_cbranch_execz .LBB115_32
; %bb.29:                               ;   in Loop: Header=BB115_5 Depth=1
	v_add_co_u32_e32 v2, vcc, v65, v2
	v_addc_co_u32_e32 v5, vcc, 0, v66, vcc
	v_add_co_u32_e32 v4, vcc, 0xffffff01, v2
	v_addc_co_u32_e32 v5, vcc, -1, v5, vcc
	v_cmp_gt_i64_e32 vcc, s[12:13], v[4:5]
	v_mov_b32_e32 v68, 0
	v_mov_b32_e32 v67, 0
	s_and_saveexec_b64 s[22:23], vcc
	s_cbranch_execz .LBB115_31
; %bb.30:                               ;   in Loop: Header=BB115_5 Depth=1
	v_lshlrev_b64 v[4:5], 2, v[4:5]
	v_mov_b32_e32 v2, s31
	v_add_co_u32_e32 v6, vcc, s30, v4
	v_addc_co_u32_e32 v7, vcc, v2, v5, vcc
	v_mov_b32_e32 v2, s29
	v_add_co_u32_e32 v4, vcc, s28, v4
	v_addc_co_u32_e32 v5, vcc, v2, v5, vcc
	global_load_dword v68, v[4:5], off
	global_load_dword v67, v[6:7], off
.LBB115_31:                             ;   in Loop: Header=BB115_5 Depth=1
	s_or_b64 exec, exec, s[22:23]
.LBB115_32:                             ;   in Loop: Header=BB115_5 Depth=1
	s_or_b64 exec, exec, s[8:9]
	s_mov_b32 s21, s20
	s_mov_b32 s22, s20
	;; [unrolled: 1-line block ×7, first 2 shown]
	v_pk_mov_b32 v[10:11], s[20:21], s[20:21] op_sel:[0,1]
	v_pk_mov_b32 v[16:17], s[26:27], s[26:27] op_sel:[0,1]
	;; [unrolled: 1-line block ×8, first 2 shown]
	s_and_saveexec_b64 s[8:9], s[2:3]
	s_cbranch_execnz .LBB115_40
; %bb.33:                               ;   in Loop: Header=BB115_5 Depth=1
	s_or_b64 exec, exec, s[8:9]
	s_and_saveexec_b64 s[8:9], s[2:3]
	s_cbranch_execnz .LBB115_41
.LBB115_34:                             ;   in Loop: Header=BB115_5 Depth=1
	s_or_b64 exec, exec, s[8:9]
	s_and_saveexec_b64 s[8:9], s[2:3]
	s_cbranch_execnz .LBB115_42
.LBB115_35:                             ;   in Loop: Header=BB115_5 Depth=1
	s_or_b64 exec, exec, s[8:9]
	s_and_saveexec_b64 s[8:9], s[2:3]
	s_cbranch_execnz .LBB115_43
.LBB115_36:                             ;   in Loop: Header=BB115_5 Depth=1
	s_or_b64 exec, exec, s[8:9]
	s_and_saveexec_b64 s[8:9], s[2:3]
	s_cbranch_execnz .LBB115_44
.LBB115_37:                             ;   in Loop: Header=BB115_5 Depth=1
	s_or_b64 exec, exec, s[8:9]
	s_and_saveexec_b64 s[8:9], s[2:3]
	s_cbranch_execnz .LBB115_45
.LBB115_38:                             ;   in Loop: Header=BB115_5 Depth=1
	s_or_b64 exec, exec, s[8:9]
	s_and_saveexec_b64 s[8:9], s[2:3]
	s_cbranch_execnz .LBB115_46
.LBB115_39:                             ;   in Loop: Header=BB115_5 Depth=1
	s_or_b64 exec, exec, s[8:9]
	s_and_saveexec_b64 s[8:9], s[2:3]
	s_cbranch_execz .LBB115_3
	s_branch .LBB115_47
.LBB115_40:                             ;   in Loop: Header=BB115_5 Depth=1
	v_add_co_u32_e32 v4, vcc, v60, v30
	v_addc_co_u32_e32 v5, vcc, v57, v31, vcc
	global_load_ushort v2, v[4:5], off
	v_add_co_u32_e32 v4, vcc, v62, v30
	v_addc_co_u32_e32 v5, vcc, v59, v31, vcc
	global_load_ushort v10, v[4:5], off
	v_mov_b32_e32 v8, v3
	v_mov_b32_e32 v9, v3
	;; [unrolled: 1-line block ×13, first 2 shown]
	s_waitcnt vmcnt(1)
	v_lshlrev_b32_e32 v2, 16, v2
	v_pk_mov_b32 v[24:25], v[8:9], v[8:9] op_sel:[0,1]
	v_pk_mov_b32 v[22:23], v[6:7], v[6:7] op_sel:[0,1]
	;; [unrolled: 1-line block ×4, first 2 shown]
	s_waitcnt vmcnt(0)
	v_lshlrev_b32_e32 v10, 16, v10
	s_or_b64 exec, exec, s[8:9]
	s_and_saveexec_b64 s[8:9], s[2:3]
	s_cbranch_execz .LBB115_34
.LBB115_41:                             ;   in Loop: Header=BB115_5 Depth=1
	v_add_co_u32_e32 v4, vcc, v56, v30
	v_addc_co_u32_e32 v5, vcc, v53, v31, vcc
	global_load_ushort v2, v[4:5], off
	v_add_co_u32_e32 v4, vcc, v58, v30
	v_addc_co_u32_e32 v5, vcc, v55, v31, vcc
	global_load_ushort v4, v[4:5], off
	s_waitcnt vmcnt(1)
	v_lshlrev_b32_e32 v19, 16, v2
	s_waitcnt vmcnt(0)
	v_lshlrev_b32_e32 v11, 16, v4
	s_or_b64 exec, exec, s[8:9]
	s_and_saveexec_b64 s[8:9], s[2:3]
	s_cbranch_execz .LBB115_35
.LBB115_42:                             ;   in Loop: Header=BB115_5 Depth=1
	v_add_co_u32_e32 v4, vcc, v52, v30
	v_addc_co_u32_e32 v5, vcc, v49, v31, vcc
	global_load_ushort v2, v[4:5], off
	v_add_co_u32_e32 v4, vcc, v54, v30
	v_addc_co_u32_e32 v5, vcc, v51, v31, vcc
	global_load_ushort v4, v[4:5], off
	s_waitcnt vmcnt(1)
	v_lshlrev_b32_e32 v20, 16, v2
	s_waitcnt vmcnt(0)
	v_lshlrev_b32_e32 v12, 16, v4
	s_or_b64 exec, exec, s[8:9]
	s_and_saveexec_b64 s[8:9], s[2:3]
	s_cbranch_execz .LBB115_36
.LBB115_43:                             ;   in Loop: Header=BB115_5 Depth=1
	v_add_co_u32_e32 v4, vcc, v48, v30
	v_addc_co_u32_e32 v5, vcc, v45, v31, vcc
	global_load_ushort v2, v[4:5], off
	v_add_co_u32_e32 v4, vcc, v50, v30
	v_addc_co_u32_e32 v5, vcc, v47, v31, vcc
	global_load_ushort v4, v[4:5], off
	s_waitcnt vmcnt(1)
	v_lshlrev_b32_e32 v21, 16, v2
	s_waitcnt vmcnt(0)
	v_lshlrev_b32_e32 v13, 16, v4
	s_or_b64 exec, exec, s[8:9]
	s_and_saveexec_b64 s[8:9], s[2:3]
	s_cbranch_execz .LBB115_37
.LBB115_44:                             ;   in Loop: Header=BB115_5 Depth=1
	v_add_co_u32_e32 v4, vcc, v44, v30
	v_addc_co_u32_e32 v5, vcc, v41, v31, vcc
	global_load_ushort v2, v[4:5], off
	v_add_co_u32_e32 v4, vcc, v46, v30
	v_addc_co_u32_e32 v5, vcc, v43, v31, vcc
	global_load_ushort v4, v[4:5], off
	s_waitcnt vmcnt(1)
	v_lshlrev_b32_e32 v22, 16, v2
	s_waitcnt vmcnt(0)
	v_lshlrev_b32_e32 v14, 16, v4
	s_or_b64 exec, exec, s[8:9]
	s_and_saveexec_b64 s[8:9], s[2:3]
	s_cbranch_execz .LBB115_38
.LBB115_45:                             ;   in Loop: Header=BB115_5 Depth=1
	v_add_co_u32_e32 v4, vcc, v40, v30
	v_addc_co_u32_e32 v5, vcc, v37, v31, vcc
	global_load_ushort v2, v[4:5], off
	v_add_co_u32_e32 v4, vcc, v42, v30
	v_addc_co_u32_e32 v5, vcc, v39, v31, vcc
	global_load_ushort v4, v[4:5], off
	s_waitcnt vmcnt(1)
	v_lshlrev_b32_e32 v23, 16, v2
	s_waitcnt vmcnt(0)
	v_lshlrev_b32_e32 v15, 16, v4
	s_or_b64 exec, exec, s[8:9]
	s_and_saveexec_b64 s[8:9], s[2:3]
	s_cbranch_execz .LBB115_39
.LBB115_46:                             ;   in Loop: Header=BB115_5 Depth=1
	v_add_co_u32_e32 v4, vcc, v36, v30
	v_addc_co_u32_e32 v5, vcc, v33, v31, vcc
	global_load_ushort v2, v[4:5], off
	v_add_co_u32_e32 v4, vcc, v38, v30
	v_addc_co_u32_e32 v5, vcc, v35, v31, vcc
	global_load_ushort v4, v[4:5], off
	s_waitcnt vmcnt(1)
	v_lshlrev_b32_e32 v24, 16, v2
	s_waitcnt vmcnt(0)
	v_lshlrev_b32_e32 v16, 16, v4
	s_or_b64 exec, exec, s[8:9]
	s_and_saveexec_b64 s[8:9], s[2:3]
	s_cbranch_execz .LBB115_3
.LBB115_47:                             ;   in Loop: Header=BB115_5 Depth=1
	v_add_co_u32_e32 v4, vcc, v32, v30
	v_addc_co_u32_e32 v5, vcc, v1, v31, vcc
	global_load_ushort v2, v[4:5], off
	v_add_co_u32_e32 v4, vcc, v34, v30
	v_addc_co_u32_e32 v5, vcc, v29, v31, vcc
	global_load_ushort v4, v[4:5], off
	s_waitcnt vmcnt(1)
	v_lshlrev_b32_e32 v25, 16, v2
	s_waitcnt vmcnt(0)
	v_lshlrev_b32_e32 v17, 16, v4
	s_branch .LBB115_3
.LBB115_48:
                                        ; implicit-def: $vgpr27
	s_branch .LBB115_50
.LBB115_49:
	s_cbranch_execnz .LBB115_81
.LBB115_50:
	v_mov_b32_e32 v27, 0
	s_mov_b32 s20, 0
	s_and_b64 vcc, exec, s[0:1]
	v_mov_b32_e32 v26, v27
	s_cbranch_vccnz .LBB115_81
; %bb.51:
	s_load_dword s0, s[4:5], 0x44
	s_add_u32 s2, s4, 64
	s_addc_u32 s3, s5, 0
	v_bfe_u32 v87, v0, 10, 10
	v_lshlrev_b32_e32 v1, 4, v87
	s_waitcnt lgkmcnt(0)
	s_lshl_b32 s7, s0, 8
	s_add_u32 s8, s10, 0xff
	s_addc_u32 s9, 0, 0
	s_lshl_b64 s[0:1], s[10:11], 1
	v_mov_b32_e32 v2, s1
	v_add_co_u32_e32 v1, vcc, s0, v1
	v_addc_co_u32_e32 v4, vcc, 0, v2, vcc
	v_add_co_u32_e32 v6, vcc, 2, v1
	v_addc_co_u32_e32 v5, vcc, 0, v4, vcc
	v_add_co_u32_e32 v9, vcc, 4, v1
	v_mul_lo_u32 v7, s14, v5
	v_addc_co_u32_e32 v5, vcc, 0, v4, vcc
	v_add_co_u32_e32 v12, vcc, 6, v1
	v_mul_lo_u32 v10, s14, v5
	;; [unrolled: 3-line block ×5, first 2 shown]
	v_addc_co_u32_e32 v5, vcc, 0, v4, vcc
	v_add_co_u32_e32 v24, vcc, 14, v1
	v_lshlrev_b32_e32 v28, 3, v87
	v_addc_co_u32_e32 v1, vcc, 0, v4, vcc
	v_mul_lo_u32 v25, s14, v1
	v_mov_b32_e32 v1, s11
	v_add_co_u32_e32 v27, vcc, s10, v28
	v_pk_mov_b32 v[2:3], s[16:17], s[16:17] op_sel:[0,1]
	v_addc_co_u32_e32 v45, vcc, 0, v1, vcc
	v_mad_u64_u32 v[30:31], s[0:1], s14, v6, v[2:3]
	v_mad_u64_u32 v[32:33], s[0:1], s14, v9, v[2:3]
	;; [unrolled: 1-line block ×7, first 2 shown]
	v_mul_lo_u32 v61, s15, v27
	v_mul_lo_u32 v62, s14, v45
	v_mad_u64_u32 v[2:3], s[0:1], s14, v27, 0
	v_add3_u32 v3, v3, v62, v61
	v_lshlrev_b64 v[2:3], 1, v[2:3]
	v_mul_lo_u32 v22, s14, v5
	v_mov_b32_e32 v83, s17
	v_add_co_u32_e32 v44, vcc, s16, v2
	v_pk_mov_b32 v[4:5], s[18:19], s[18:19] op_sel:[0,1]
	v_mul_lo_u32 v17, s15, v15
	v_addc_co_u32_e32 v1, vcc, v83, v3, vcc
	v_mad_u64_u32 v[52:53], s[0:1], s14, v15, v[4:5]
	v_add3_u32 v37, v17, v37, v16
	v_add3_u32 v53, v17, v53, v16
	v_mov_b32_e32 v16, s19
	v_add_co_u32_e32 v60, vcc, s18, v2
	v_addc_co_u32_e32 v29, vcc, v16, v3, vcc
	v_add_co_u32_e32 v2, vcc, 7, v27
	v_addc_co_u32_e32 v3, vcc, 0, v45, vcc
	v_mad_u64_u32 v[46:47], s[0:1], s14, v6, v[4:5]
	v_mad_u64_u32 v[48:49], s[0:1], s14, v9, v[4:5]
	;; [unrolled: 1-line block ×6, first 2 shown]
	v_mul_lo_u32 v4, s15, v2
	v_mul_lo_u32 v5, s14, v3
	v_mad_u64_u32 v[2:3], s[0:1], s14, v2, 0
	v_add3_u32 v3, v3, v5, v4
	v_add_co_u32_e32 v4, vcc, 6, v27
	v_mul_lo_u32 v8, s15, v6
	v_addc_co_u32_e32 v5, vcc, 0, v45, vcc
	v_add3_u32 v31, v8, v31, v7
	v_add3_u32 v47, v8, v47, v7
	v_mul_lo_u32 v6, s15, v4
	v_mul_lo_u32 v7, s14, v5
	v_mad_u64_u32 v[4:5], s[0:1], s14, v4, 0
	v_add3_u32 v5, v5, v7, v6
	v_add_co_u32_e32 v6, vcc, 5, v27
	v_addc_co_u32_e32 v7, vcc, 0, v45, vcc
	v_mul_lo_u32 v11, s15, v9
	v_mul_lo_u32 v8, s15, v6
	;; [unrolled: 1-line block ×3, first 2 shown]
	v_mad_u64_u32 v[6:7], s[0:1], s14, v6, 0
	v_add3_u32 v7, v7, v9, v8
	v_add_co_u32_e32 v8, vcc, 4, v27
	v_addc_co_u32_e32 v9, vcc, 0, v45, vcc
	v_add3_u32 v33, v11, v33, v10
	v_add3_u32 v49, v11, v49, v10
	v_mul_lo_u32 v10, s15, v8
	v_mul_lo_u32 v11, s14, v9
	v_mad_u64_u32 v[8:9], s[0:1], s14, v8, 0
	v_add3_u32 v9, v9, v11, v10
	v_add_co_u32_e32 v10, vcc, 3, v27
	v_mul_lo_u32 v14, s15, v12
	v_addc_co_u32_e32 v11, vcc, 0, v45, vcc
	v_add3_u32 v35, v14, v35, v13
	v_add3_u32 v51, v14, v51, v13
	v_mul_lo_u32 v12, s15, v10
	v_mul_lo_u32 v13, s14, v11
	v_mad_u64_u32 v[10:11], s[0:1], s14, v10, 0
	v_add3_u32 v11, v11, v13, v12
	v_add_co_u32_e32 v12, vcc, 2, v27
	v_addc_co_u32_e32 v13, vcc, 0, v45, vcc
	v_mul_lo_u32 v14, s15, v12
	v_mul_lo_u32 v15, s14, v13
	v_mad_u64_u32 v[12:13], s[0:1], s14, v12, 0
	v_add3_u32 v13, v13, v15, v14
	v_pk_mov_b32 v[14:15], s[14:15], s[14:15] op_sel:[0,1]
	v_lshlrev_b64 v[2:3], 1, v[2:3]
	v_mad_u64_u32 v[14:15], s[0:1], s14, v27, v[14:15]
	v_add3_u32 v15, v61, v15, v62
	v_add_co_u32_e32 v62, vcc, s16, v2
	v_addc_co_u32_e32 v45, vcc, v83, v3, vcc
	v_add_co_u32_e32 v64, vcc, s18, v2
	v_addc_co_u32_e32 v61, vcc, v16, v3, vcc
	v_lshlrev_b64 v[2:3], 1, v[4:5]
	v_add_co_u32_e32 v66, vcc, s16, v2
	v_addc_co_u32_e32 v63, vcc, v83, v3, vcc
	v_add_co_u32_e32 v68, vcc, s18, v2
	v_addc_co_u32_e32 v65, vcc, v16, v3, vcc
	v_lshlrev_b64 v[2:3], 1, v[6:7]
	;; [unrolled: 5-line block ×6, first 2 shown]
	v_add_co_u32_e32 v86, vcc, s16, v2
	v_addc_co_u32_e32 v83, vcc, v83, v3, vcc
	v_mbcnt_lo_u32_b32 v4, -1, 0
	v_add_co_u32_e32 v88, vcc, s18, v2
	v_and_b32_e32 v89, 0x3ff, v0
	s_mul_i32 s0, s15, s7
	s_mul_hi_u32 s1, s14, s7
	v_mbcnt_hi_u32_b32 v4, -1, v4
	v_mul_lo_u32 v20, s15, v18
	v_mul_lo_u32 v23, s15, v21
	;; [unrolled: 1-line block ×3, first 2 shown]
	v_addc_co_u32_e32 v85, vcc, v16, v3, vcc
	v_add_u32_e32 v2, s33, v89
	v_mov_b32_e32 v3, 0
	s_add_i32 s1, s1, s0
	s_mul_i32 s0, s14, s7
	v_lshlrev_b32_e32 v4, 2, v4
	v_add3_u32 v39, v20, v39, v19
	v_add3_u32 v41, v23, v41, v22
	;; [unrolled: 1-line block ×6, first 2 shown]
	s_lshl_b64 s[16:17], s[0:1], 1
	v_and_b32_e32 v94, 0x100, v4
	v_mov_b32_e32 v26, v3
	v_mov_b32_e32 v27, v3
	v_lshlrev_b64 v[90:91], 1, v[2:3]
	s_branch .LBB115_55
.LBB115_52:                             ;   in Loop: Header=BB115_55 Depth=1
	s_or_b64 exec, exec, s[18:19]
.LBB115_53:                             ;   in Loop: Header=BB115_55 Depth=1
	s_or_b64 exec, exec, s[0:1]
	v_add_co_u32_e32 v4, vcc, v44, v90
	v_addc_co_u32_e32 v5, vcc, v1, v91, vcc
	global_load_ushort v7, v[4:5], off
	v_add_co_u32_e32 v4, vcc, v60, v90
	v_addc_co_u32_e32 v5, vcc, v29, v91, vcc
	global_load_ushort v8, v[4:5], off
	;; [unrolled: 3-line block ×16, first 2 shown]
	s_waitcnt vmcnt(16)
	ds_bpermute_b32 v24, v94, v2 offset:8
	s_waitcnt vmcnt(15)
	v_lshlrev_b32_e32 v4, 16, v7
	s_waitcnt vmcnt(14)
	v_lshlrev_b32_e32 v7, 16, v8
	;; [unrolled: 2-line block ×13, first 2 shown]
	ds_bpermute_b32 v19, v94, v6
	s_waitcnt vmcnt(2)
	v_lshlrev_b32_e32 v22, 16, v20
	s_waitcnt vmcnt(1)
	v_lshlrev_b32_e32 v20, 16, v21
	ds_bpermute_b32 v21, v94, v2
	s_waitcnt vmcnt(0)
	v_lshlrev_b32_e32 v23, 16, v5
	s_waitcnt lgkmcnt(1)
	v_sub_f32_e32 v5, v7, v19
	ds_bpermute_b32 v7, v94, v6 offset:4
	v_mul_f32_e32 v5, v5, v4
	s_waitcnt lgkmcnt(1)
	v_mul_f32_e32 v5, v5, v21
	ds_bpermute_b32 v19, v94, v2 offset:4
	ds_bpermute_b32 v21, v94, v6 offset:8
	s_waitcnt lgkmcnt(2)
	v_sub_f32_e32 v7, v9, v7
	v_mul_f32_e32 v7, v7, v8
	v_pk_add_f32 v[4:5], v[92:93], v[4:5]
	s_waitcnt lgkmcnt(1)
	v_mul_f32_e32 v9, v7, v19
	s_waitcnt lgkmcnt(0)
	v_sub_f32_e32 v7, v11, v21
	ds_bpermute_b32 v19, v94, v6 offset:12
	v_mul_f32_e32 v7, v7, v10
	v_mul_f32_e32 v11, v7, v24
	ds_bpermute_b32 v7, v94, v2 offset:12
	ds_bpermute_b32 v21, v94, v6 offset:16
	s_waitcnt lgkmcnt(2)
	v_sub_f32_e32 v13, v13, v19
	ds_bpermute_b32 v19, v94, v2 offset:16
	v_mul_f32_e32 v13, v13, v12
	s_waitcnt lgkmcnt(2)
	v_mul_f32_e32 v13, v13, v7
	s_waitcnt lgkmcnt(1)
	v_sub_f32_e32 v7, v15, v21
	ds_bpermute_b32 v21, v94, v6 offset:20
	v_mul_f32_e32 v7, v7, v14
	s_waitcnt lgkmcnt(1)
	v_mul_f32_e32 v15, v7, v19
	ds_bpermute_b32 v7, v94, v2 offset:20
	ds_bpermute_b32 v19, v94, v6 offset:24
	;; [unrolled: 1-line block ×3, first 2 shown]
	s_waitcnt lgkmcnt(3)
	v_sub_f32_e32 v17, v17, v21
	ds_bpermute_b32 v21, v94, v2 offset:24
	v_pk_add_f32 v[4:5], v[4:5], v[8:9]
	ds_bpermute_b32 v2, v94, v2 offset:28
	v_mul_f32_e32 v17, v17, v16
	v_pk_add_f32 v[4:5], v[4:5], v[10:11]
	s_waitcnt lgkmcnt(4)
	v_mul_f32_e32 v17, v17, v7
	s_waitcnt lgkmcnt(3)
	v_sub_f32_e32 v7, v22, v19
	v_pk_add_f32 v[4:5], v[4:5], v[12:13]
	v_mul_f32_e32 v7, v7, v18
	v_pk_add_f32 v[4:5], v[4:5], v[14:15]
	s_waitcnt lgkmcnt(2)
	v_sub_f32_e32 v6, v23, v6
	s_waitcnt lgkmcnt(1)
	v_mul_f32_e32 v19, v7, v21
	v_pk_add_f32 v[4:5], v[4:5], v[16:17]
	v_mul_f32_e32 v6, v6, v20
	v_pk_add_f32 v[4:5], v[4:5], v[18:19]
	s_waitcnt lgkmcnt(0)
	v_mul_f32_e32 v21, v6, v2
	v_pk_add_f32 v[26:27], v[4:5], v[20:21]
.LBB115_54:                             ;   in Loop: Header=BB115_55 Depth=1
	v_mov_b32_e32 v2, s17
	v_add_co_u32_e32 v30, vcc, s16, v30
	v_addc_co_u32_e32 v31, vcc, v31, v2, vcc
	v_add_co_u32_e32 v32, vcc, s16, v32
	v_addc_co_u32_e32 v33, vcc, v33, v2, vcc
	;; [unrolled: 2-line block ×29, first 2 shown]
	s_add_u32 s10, s10, s7
	v_add_co_u32_e32 v88, vcc, s16, v88
	s_addc_u32 s11, s11, 0
	v_addc_co_u32_e32 v85, vcc, v85, v2, vcc
	v_pk_mov_b32 v[4:5], s[12:13], s[12:13] op_sel:[0,1]
	s_add_u32 s8, s8, s7
	v_cmp_ge_i64_e32 vcc, s[10:11], v[4:5]
	s_addc_u32 s9, s9, 0
	s_cbranch_vccnz .LBB115_81
.LBB115_55:                             ; =>This Inner Loop Header: Depth=1
	v_pk_mov_b32 v[4:5], s[12:13], s[12:13] op_sel:[0,1]
	v_cmp_ge_i64_e32 vcc, s[8:9], v[4:5]
	v_mov_b32_e32 v2, s9
	v_add_co_u32_e64 v95, s[0:1], s8, v28
	v_mov_b32_e32 v92, v26
	v_mov_b32_e32 v93, v27
	v_addc_co_u32_e64 v96, s[0:1], 0, v2, s[0:1]
	s_cbranch_vccz .LBB115_77
; %bb.56:                               ;   in Loop: Header=BB115_55 Depth=1
	s_load_dword s0, s[2:3], 0xc
	v_mov_b32_e32 v26, 0
	v_mov_b32_e32 v27, 0
	s_waitcnt lgkmcnt(0)
	s_and_b32 s0, s0, 0xffff
	v_mad_u32_u24 v2, v87, s0, v89
	v_and_b32_e32 v2, 63, v2
	v_cmp_gt_u32_e32 vcc, 8, v2
	s_and_saveexec_b64 s[0:1], vcc
	s_cbranch_execz .LBB115_60
; %bb.57:                               ;   in Loop: Header=BB115_55 Depth=1
	v_add_co_u32_e32 v2, vcc, v95, v2
	v_addc_co_u32_e32 v5, vcc, 0, v96, vcc
	v_add_co_u32_e32 v4, vcc, 0xffffff01, v2
	v_addc_co_u32_e32 v5, vcc, -1, v5, vcc
	v_cmp_gt_i64_e32 vcc, s[12:13], v[4:5]
	v_mov_b32_e32 v27, 0
	v_mov_b32_e32 v26, 0
	s_and_saveexec_b64 s[18:19], vcc
	s_cbranch_execz .LBB115_59
; %bb.58:                               ;   in Loop: Header=BB115_55 Depth=1
	v_lshlrev_b64 v[4:5], 2, v[4:5]
	v_mov_b32_e32 v2, s31
	v_add_co_u32_e32 v6, vcc, s30, v4
	v_addc_co_u32_e32 v7, vcc, v2, v5, vcc
	v_mov_b32_e32 v2, s29
	v_add_co_u32_e32 v4, vcc, s28, v4
	v_addc_co_u32_e32 v5, vcc, v2, v5, vcc
	global_load_dword v27, v[4:5], off
	global_load_dword v26, v[6:7], off
.LBB115_59:                             ;   in Loop: Header=BB115_55 Depth=1
	s_or_b64 exec, exec, s[18:19]
.LBB115_60:                             ;   in Loop: Header=BB115_55 Depth=1
	s_or_b64 exec, exec, s[0:1]
	s_mov_b32 s21, s20
	s_mov_b32 s22, s20
	;; [unrolled: 1-line block ×7, first 2 shown]
	v_pk_mov_b32 v[10:11], s[20:21], s[20:21] op_sel:[0,1]
	v_add_co_u32_e32 v4, vcc, 0xffffff01, v95
	v_pk_mov_b32 v[16:17], s[26:27], s[26:27] op_sel:[0,1]
	v_addc_co_u32_e32 v5, vcc, -1, v96, vcc
	v_pk_mov_b32 v[12:13], s[22:23], s[22:23] op_sel:[0,1]
	v_pk_mov_b32 v[14:15], s[24:25], s[24:25] op_sel:[0,1]
	;; [unrolled: 1-line block ×3, first 2 shown]
	v_cmp_gt_i64_e32 vcc, s[12:13], v[4:5]
	v_pk_mov_b32 v[22:23], v[14:15], v[14:15] op_sel:[0,1]
	v_pk_mov_b32 v[20:21], v[12:13], v[12:13] op_sel:[0,1]
	;; [unrolled: 1-line block ×3, first 2 shown]
	s_and_saveexec_b64 s[0:1], vcc
	s_cbranch_execz .LBB115_62
; %bb.61:                               ;   in Loop: Header=BB115_55 Depth=1
	v_add_co_u32_e32 v4, vcc, v44, v90
	v_addc_co_u32_e32 v5, vcc, v1, v91, vcc
	global_load_ushort v2, v[4:5], off
	v_add_co_u32_e32 v4, vcc, v60, v90
	v_addc_co_u32_e32 v5, vcc, v29, v91, vcc
	global_load_ushort v10, v[4:5], off
	v_mov_b32_e32 v8, v3
	v_mov_b32_e32 v9, v3
	;; [unrolled: 1-line block ×13, first 2 shown]
	s_waitcnt vmcnt(1)
	v_lshlrev_b32_e32 v2, 16, v2
	v_pk_mov_b32 v[24:25], v[8:9], v[8:9] op_sel:[0,1]
	v_pk_mov_b32 v[22:23], v[6:7], v[6:7] op_sel:[0,1]
	;; [unrolled: 1-line block ×4, first 2 shown]
	s_waitcnt vmcnt(0)
	v_lshlrev_b32_e32 v10, 16, v10
.LBB115_62:                             ;   in Loop: Header=BB115_55 Depth=1
	s_or_b64 exec, exec, s[0:1]
	v_add_co_u32_e32 v4, vcc, 0xffffff02, v95
	v_addc_co_u32_e32 v5, vcc, -1, v96, vcc
	v_cmp_gt_i64_e32 vcc, s[12:13], v[4:5]
	s_and_saveexec_b64 s[0:1], vcc
	s_cbranch_execz .LBB115_64
; %bb.63:                               ;   in Loop: Header=BB115_55 Depth=1
	v_add_co_u32_e32 v4, vcc, v86, v90
	v_addc_co_u32_e32 v5, vcc, v83, v91, vcc
	global_load_ushort v2, v[4:5], off
	v_add_co_u32_e32 v4, vcc, v88, v90
	v_addc_co_u32_e32 v5, vcc, v85, v91, vcc
	global_load_ushort v4, v[4:5], off
	s_waitcnt vmcnt(1)
	v_lshlrev_b32_e32 v19, 16, v2
	s_waitcnt vmcnt(0)
	v_lshlrev_b32_e32 v11, 16, v4
.LBB115_64:                             ;   in Loop: Header=BB115_55 Depth=1
	s_or_b64 exec, exec, s[0:1]
	v_add_co_u32_e32 v4, vcc, 0xffffff03, v95
	v_addc_co_u32_e32 v5, vcc, -1, v96, vcc
	v_cmp_gt_i64_e32 vcc, s[12:13], v[4:5]
	s_and_saveexec_b64 s[0:1], vcc
	s_cbranch_execz .LBB115_66
; %bb.65:                               ;   in Loop: Header=BB115_55 Depth=1
	v_add_co_u32_e32 v4, vcc, v82, v90
	v_addc_co_u32_e32 v5, vcc, v79, v91, vcc
	global_load_ushort v2, v[4:5], off
	v_add_co_u32_e32 v4, vcc, v84, v90
	v_addc_co_u32_e32 v5, vcc, v81, v91, vcc
	global_load_ushort v4, v[4:5], off
	s_waitcnt vmcnt(1)
	v_lshlrev_b32_e32 v20, 16, v2
	s_waitcnt vmcnt(0)
	v_lshlrev_b32_e32 v12, 16, v4
.LBB115_66:                             ;   in Loop: Header=BB115_55 Depth=1
	;; [unrolled: 18-line block ×7, first 2 shown]
	s_or_b64 exec, exec, s[0:1]
	s_waitcnt vmcnt(1)
	ds_bpermute_b32 v2, v94, v27
	s_waitcnt vmcnt(0)
	ds_bpermute_b32 v4, v94, v26
	ds_bpermute_b32 v7, v94, v27 offset:4
	ds_bpermute_b32 v6, v94, v26 offset:4
	;; [unrolled: 1-line block ×3, first 2 shown]
	s_waitcnt lgkmcnt(4)
	v_sub_f32_e32 v2, v10, v2
	v_mul_f32_e32 v2, v18, v2
	s_waitcnt lgkmcnt(3)
	v_mul_f32_e32 v5, v2, v4
	ds_bpermute_b32 v4, v94, v26 offset:8
	s_waitcnt lgkmcnt(3)
	v_sub_f32_e32 v2, v11, v7
	v_mul_f32_e32 v2, v19, v2
	s_waitcnt lgkmcnt(2)
	v_mul_f32_e32 v7, v2, v6
	s_waitcnt lgkmcnt(1)
	v_sub_f32_e32 v2, v12, v8
	ds_bpermute_b32 v6, v94, v27 offset:12
	v_mul_f32_e32 v2, v20, v2
	s_waitcnt lgkmcnt(1)
	v_mul_f32_e32 v9, v2, v4
	ds_bpermute_b32 v2, v94, v26 offset:12
	ds_bpermute_b32 v4, v94, v27 offset:16
	;; [unrolled: 1-line block ×3, first 2 shown]
	s_waitcnt lgkmcnt(3)
	v_sub_f32_e32 v6, v13, v6
	v_mul_f32_e32 v6, v21, v6
	s_waitcnt lgkmcnt(2)
	v_mul_f32_e32 v11, v6, v2
	s_waitcnt lgkmcnt(1)
	v_sub_f32_e32 v2, v14, v4
	ds_bpermute_b32 v4, v94, v27 offset:20
	v_mul_f32_e32 v2, v22, v2
	s_waitcnt lgkmcnt(1)
	v_mul_f32_e32 v13, v2, v8
	ds_bpermute_b32 v2, v94, v26 offset:20
	ds_bpermute_b32 v6, v94, v27 offset:24
	;; [unrolled: 1-line block ×3, first 2 shown]
	s_waitcnt lgkmcnt(3)
	v_sub_f32_e32 v4, v15, v4
	v_mul_f32_e32 v4, v23, v4
	s_waitcnt lgkmcnt(2)
	v_mul_f32_e32 v15, v4, v2
	s_waitcnt lgkmcnt(1)
	v_sub_f32_e32 v2, v16, v6
	v_mul_f32_e32 v2, v24, v2
	s_waitcnt lgkmcnt(0)
	v_mul_f32_e32 v99, v2, v8
	v_mov_b32_e32 v4, v18
	ds_bpermute_b32 v2, v94, v27 offset:28
	v_pk_add_f32 v[4:5], v[92:93], v[4:5]
	v_mov_b32_e32 v6, v19
	v_pk_add_f32 v[4:5], v[6:7], v[4:5]
	v_mov_b32_e32 v8, v20
	ds_bpermute_b32 v6, v94, v26 offset:28
	v_pk_add_f32 v[4:5], v[8:9], v[4:5]
	v_mov_b32_e32 v10, v21
	v_pk_add_f32 v[4:5], v[10:11], v[4:5]
	v_mov_b32_e32 v12, v22
	;; [unrolled: 2-line block ×3, first 2 shown]
	s_waitcnt lgkmcnt(1)
	v_sub_f32_e32 v2, v17, v2
	v_pk_add_f32 v[4:5], v[14:15], v[4:5]
	v_mov_b32_e32 v98, v24
	v_mul_f32_e32 v2, v25, v2
	v_pk_add_f32 v[4:5], v[98:99], v[4:5]
	s_waitcnt lgkmcnt(0)
	v_mul_f32_e32 v7, v2, v6
	v_mov_b32_e32 v6, v25
	v_pk_add_f32 v[26:27], v[6:7], v[4:5]
	s_branch .LBB115_54
.LBB115_77:                             ;   in Loop: Header=BB115_55 Depth=1
                                        ; implicit-def: $vgpr27
	s_cbranch_execz .LBB115_54
; %bb.78:                               ;   in Loop: Header=BB115_55 Depth=1
	s_load_dword s0, s[2:3], 0x0
	v_mov_b32_e32 v2, 0
	v_mov_b32_e32 v6, 0
	s_waitcnt lgkmcnt(0)
	s_cmp_lt_u32 s6, s0
	s_cselect_b32 s0, 12, 18
	s_add_u32 s0, s2, s0
	s_addc_u32 s1, s3, 0
	global_load_ushort v4, v3, s[0:1]
	s_waitcnt vmcnt(0)
	v_mad_u32_u24 v4, v87, v4, v89
	v_and_b32_e32 v4, 63, v4
	v_cmp_gt_u32_e32 vcc, 8, v4
	s_and_saveexec_b64 s[0:1], vcc
	s_cbranch_execz .LBB115_53
; %bb.79:                               ;   in Loop: Header=BB115_55 Depth=1
	v_add_co_u32_e32 v2, vcc, v95, v4
	v_addc_co_u32_e32 v5, vcc, 0, v96, vcc
	v_add_co_u32_e32 v4, vcc, 0xffffff01, v2
	v_addc_co_u32_e32 v5, vcc, -1, v5, vcc
	v_cmp_gt_i64_e32 vcc, s[12:13], v[4:5]
	v_mov_b32_e32 v6, 0
	v_mov_b32_e32 v2, 0
	s_and_saveexec_b64 s[18:19], vcc
	s_cbranch_execz .LBB115_52
; %bb.80:                               ;   in Loop: Header=BB115_55 Depth=1
	v_lshlrev_b64 v[4:5], 2, v[4:5]
	v_mov_b32_e32 v2, s31
	v_add_co_u32_e32 v8, vcc, s30, v4
	v_addc_co_u32_e32 v9, vcc, v2, v5, vcc
	v_mov_b32_e32 v2, s29
	v_add_co_u32_e32 v4, vcc, s28, v4
	v_addc_co_u32_e32 v5, vcc, v2, v5, vcc
	global_load_dword v6, v[4:5], off
	global_load_dword v2, v[8:9], off
	s_branch .LBB115_52
.LBB115_81:
	v_and_b32_e32 v2, 0x3ff, v0
	v_bfe_u32 v0, v0, 10, 10
	v_mad_u32_u24 v1, v0, 33, v2
	v_lshl_add_u32 v3, v1, 2, 0
	v_sub_u32_e32 v1, v1, v0
	s_movk_i32 s0, 0x800
	s_mov_b32 s7, 0
	v_cmp_gt_u32_e32 vcc, s0, v1
	ds_write_b32 v3, v27
	ds_write_b32 v3, v26 offset:4224
	s_waitcnt lgkmcnt(0)
	s_barrier
	s_and_saveexec_b64 s[0:1], vcc
	s_cbranch_execz .LBB115_91
; %bb.82:
	v_mbcnt_lo_u32_b32 v3, -1, 0
	v_mbcnt_hi_u32_b32 v3, -1, v3
	v_and_b32_e32 v4, 64, v3
	v_add_u32_e32 v4, 64, v4
	v_cmp_eq_u32_e64 s[2:3], 0, v2
	v_xor_b32_e32 v2, 16, v3
	v_cmp_lt_i32_e32 vcc, v2, v4
	v_cndmask_b32_e32 v2, v3, v2, vcc
	v_lshlrev_b32_e32 v8, 2, v2
	v_xor_b32_e32 v2, 8, v3
	v_cmp_lt_i32_e32 vcc, v2, v4
	v_cndmask_b32_e32 v2, v3, v2, vcc
	v_lshlrev_b32_e32 v9, 2, v2
	v_xor_b32_e32 v2, 4, v3
	v_cmp_lt_i32_e32 vcc, v2, v4
	s_load_dwordx4 s[8:11], s[4:5], 0x30
	v_cndmask_b32_e32 v2, v3, v2, vcc
	v_lshlrev_b32_e32 v10, 2, v2
	v_xor_b32_e32 v2, 2, v3
	v_cmp_lt_i32_e32 vcc, v2, v4
	v_cndmask_b32_e32 v2, v3, v2, vcc
	s_lshl_b64 s[4:5], s[6:7], 5
	v_lshlrev_b32_e32 v11, 2, v2
	v_xor_b32_e32 v2, 1, v3
	s_waitcnt lgkmcnt(0)
	s_cmp_lg_u64 s[8:9], 0
	v_cmp_lt_i32_e32 vcc, v2, v4
	v_lshrrev_b32_e32 v0, 6, v1
	s_cselect_b64 s[16:17], -1, 0
	s_cmp_lg_u64 s[10:11], 0
	v_cndmask_b32_e32 v2, v3, v2, vcc
	s_cselect_b64 s[18:19], -1, 0
	v_lshlrev_b32_e32 v12, 2, v2
	s_lshl_b64 s[6:7], s[6:7], 6
	v_lshlrev_b32_e32 v2, 1, v0
	v_mov_b32_e32 v3, s7
	v_add_co_u32_e32 v4, vcc, s6, v2
	v_addc_co_u32_e32 v5, vcc, 0, v3, vcc
	v_mov_b32_e32 v3, s11
	v_add_co_u32_e32 v2, vcc, s10, v4
	v_and_b32_e32 v6, 63, v1
	v_addc_co_u32_e32 v3, vcc, v3, v5, vcc
	v_cmp_gt_u32_e64 s[0:1], 32, v6
	v_mov_b32_e32 v7, s9
	v_add_co_u32_e32 v4, vcc, s8, v4
	v_mad_u32_u24 v6, v6, 33, v0
	v_mov_b32_e32 v1, 0
	s_mov_b64 s[12:13], 0
	v_addc_co_u32_e32 v5, vcc, v7, v5, vcc
	v_lshl_add_u32 v13, v6, 2, 0
	v_mov_b32_e32 v14, s5
	s_movk_i32 s5, 0x7fff
	v_mov_b32_e32 v15, 0x7fc0
                                        ; implicit-def: $vgpr6
	s_branch .LBB115_84
.LBB115_83:                             ;   in Loop: Header=BB115_84 Depth=1
	s_or_b64 exec, exec, s[6:7]
	v_add_co_u32_e32 v0, vcc, 16, v0
	v_addc_co_u32_e32 v1, vcc, 0, v1, vcc
	v_add_co_u32_e32 v2, vcc, 32, v2
	v_addc_co_u32_e32 v3, vcc, 0, v3, vcc
	v_add_co_u32_e32 v4, vcc, 32, v4
	v_add_u32_e32 v16, -16, v0
	v_addc_co_u32_e32 v5, vcc, 0, v5, vcc
	v_cmp_lt_u32_e32 vcc, 15, v16
	s_or_b64 s[12:13], vcc, s[12:13]
	v_add_u32_e32 v13, 64, v13
	s_andn2_b64 exec, exec, s[12:13]
	s_cbranch_execz .LBB115_91
.LBB115_84:                             ; =>This Inner Loop Header: Depth=1
	s_and_saveexec_b64 s[6:7], s[0:1]
	s_cbranch_execz .LBB115_86
; %bb.85:                               ;   in Loop: Header=BB115_84 Depth=1
	ds_read_b32 v7, v13
	ds_read_b32 v6, v13 offset:4224
.LBB115_86:                             ;   in Loop: Header=BB115_84 Depth=1
	s_or_b64 exec, exec, s[6:7]
	s_waitcnt lgkmcnt(1)
	ds_bpermute_b32 v17, v8, v7
	s_waitcnt lgkmcnt(1)
	ds_bpermute_b32 v16, v8, v6
	v_add_co_u32_e32 v18, vcc, s4, v0
	v_addc_co_u32_e32 v19, vcc, v14, v1, vcc
	s_waitcnt lgkmcnt(0)
	v_pk_add_f32 v[6:7], v[6:7], v[16:17]
	ds_bpermute_b32 v17, v9, v7
	ds_bpermute_b32 v16, v9, v6
	v_cmp_gt_i64_e32 vcc, s[14:15], v[18:19]
	s_and_b64 s[8:9], s[2:3], vcc
	s_waitcnt lgkmcnt(0)
	v_pk_add_f32 v[6:7], v[6:7], v[16:17]
	ds_bpermute_b32 v17, v10, v7
	ds_bpermute_b32 v16, v10, v6
	s_waitcnt lgkmcnt(0)
	v_pk_add_f32 v[6:7], v[6:7], v[16:17]
	ds_bpermute_b32 v17, v11, v7
	ds_bpermute_b32 v16, v11, v6
	;; [unrolled: 4-line block ×3, first 2 shown]
	s_waitcnt lgkmcnt(0)
	v_pk_add_f32 v[6:7], v[6:7], v[16:17]
	s_and_saveexec_b64 s[6:7], s[8:9]
	s_cbranch_execz .LBB115_83
; %bb.87:                               ;   in Loop: Header=BB115_84 Depth=1
	s_andn2_b64 vcc, exec, s[16:17]
	s_cbranch_vccnz .LBB115_89
; %bb.88:                               ;   in Loop: Header=BB115_84 Depth=1
	v_bfe_u32 v16, v7, 16, 1
	v_add3_u32 v16, v7, v16, s5
	v_lshrrev_b32_e32 v16, 16, v16
	v_cmp_o_f32_e32 vcc, v7, v7
	v_cndmask_b32_e32 v16, v15, v16, vcc
	global_store_short v[4:5], v16, off
.LBB115_89:                             ;   in Loop: Header=BB115_84 Depth=1
	s_andn2_b64 vcc, exec, s[18:19]
	s_cbranch_vccnz .LBB115_83
; %bb.90:                               ;   in Loop: Header=BB115_84 Depth=1
	v_bfe_u32 v16, v6, 16, 1
	v_add3_u32 v16, v6, v16, s5
	v_lshrrev_b32_e32 v16, 16, v16
	v_cmp_o_f32_e32 vcc, v6, v6
	v_cndmask_b32_e32 v16, v15, v16, vcc
	global_store_short v[2:3], v16, off
	s_branch .LBB115_83
.LBB115_91:
	s_endpgm
	.section	.rodata,"a",@progbits
	.p2align	6, 0x0
	.amdhsa_kernel _ZN2at6native12_GLOBAL__N_135GammaBetaBackwardCUDAKernelTemplateIN3c108BFloat16EfLj32ELj32ELj256ELb0ELb0ELb0EEEvllPKT_S7_PKT0_SA_PS5_SB_
		.amdhsa_group_segment_fixed_size 0
		.amdhsa_private_segment_fixed_size 0
		.amdhsa_kernarg_size 320
		.amdhsa_user_sgpr_count 6
		.amdhsa_user_sgpr_private_segment_buffer 1
		.amdhsa_user_sgpr_dispatch_ptr 0
		.amdhsa_user_sgpr_queue_ptr 0
		.amdhsa_user_sgpr_kernarg_segment_ptr 1
		.amdhsa_user_sgpr_dispatch_id 0
		.amdhsa_user_sgpr_flat_scratch_init 0
		.amdhsa_user_sgpr_kernarg_preload_length 0
		.amdhsa_user_sgpr_kernarg_preload_offset 0
		.amdhsa_user_sgpr_private_segment_size 0
		.amdhsa_uses_dynamic_stack 0
		.amdhsa_system_sgpr_private_segment_wavefront_offset 0
		.amdhsa_system_sgpr_workgroup_id_x 1
		.amdhsa_system_sgpr_workgroup_id_y 1
		.amdhsa_system_sgpr_workgroup_id_z 0
		.amdhsa_system_sgpr_workgroup_info 0
		.amdhsa_system_vgpr_workitem_id 1
		.amdhsa_next_free_vgpr 100
		.amdhsa_next_free_sgpr 44
		.amdhsa_accum_offset 100
		.amdhsa_reserve_vcc 1
		.amdhsa_reserve_flat_scratch 0
		.amdhsa_float_round_mode_32 0
		.amdhsa_float_round_mode_16_64 0
		.amdhsa_float_denorm_mode_32 3
		.amdhsa_float_denorm_mode_16_64 3
		.amdhsa_dx10_clamp 1
		.amdhsa_ieee_mode 1
		.amdhsa_fp16_overflow 0
		.amdhsa_tg_split 0
		.amdhsa_exception_fp_ieee_invalid_op 0
		.amdhsa_exception_fp_denorm_src 0
		.amdhsa_exception_fp_ieee_div_zero 0
		.amdhsa_exception_fp_ieee_overflow 0
		.amdhsa_exception_fp_ieee_underflow 0
		.amdhsa_exception_fp_ieee_inexact 0
		.amdhsa_exception_int_div_zero 0
	.end_amdhsa_kernel
	.section	.text._ZN2at6native12_GLOBAL__N_135GammaBetaBackwardCUDAKernelTemplateIN3c108BFloat16EfLj32ELj32ELj256ELb0ELb0ELb0EEEvllPKT_S7_PKT0_SA_PS5_SB_,"axG",@progbits,_ZN2at6native12_GLOBAL__N_135GammaBetaBackwardCUDAKernelTemplateIN3c108BFloat16EfLj32ELj32ELj256ELb0ELb0ELb0EEEvllPKT_S7_PKT0_SA_PS5_SB_,comdat
.Lfunc_end115:
	.size	_ZN2at6native12_GLOBAL__N_135GammaBetaBackwardCUDAKernelTemplateIN3c108BFloat16EfLj32ELj32ELj256ELb0ELb0ELb0EEEvllPKT_S7_PKT0_SA_PS5_SB_, .Lfunc_end115-_ZN2at6native12_GLOBAL__N_135GammaBetaBackwardCUDAKernelTemplateIN3c108BFloat16EfLj32ELj32ELj256ELb0ELb0ELb0EEEvllPKT_S7_PKT0_SA_PS5_SB_
                                        ; -- End function
	.section	.AMDGPU.csdata,"",@progbits
; Kernel info:
; codeLenInByte = 7920
; NumSgprs: 48
; NumVgprs: 100
; NumAgprs: 0
; TotalNumVgprs: 100
; ScratchSize: 0
; MemoryBound: 0
; FloatMode: 240
; IeeeMode: 1
; LDSByteSize: 0 bytes/workgroup (compile time only)
; SGPRBlocks: 5
; VGPRBlocks: 12
; NumSGPRsForWavesPerEU: 48
; NumVGPRsForWavesPerEU: 100
; AccumOffset: 100
; Occupancy: 4
; WaveLimiterHint : 0
; COMPUTE_PGM_RSRC2:SCRATCH_EN: 0
; COMPUTE_PGM_RSRC2:USER_SGPR: 6
; COMPUTE_PGM_RSRC2:TRAP_HANDLER: 0
; COMPUTE_PGM_RSRC2:TGID_X_EN: 1
; COMPUTE_PGM_RSRC2:TGID_Y_EN: 1
; COMPUTE_PGM_RSRC2:TGID_Z_EN: 0
; COMPUTE_PGM_RSRC2:TIDIG_COMP_CNT: 1
; COMPUTE_PGM_RSRC3_GFX90A:ACCUM_OFFSET: 24
; COMPUTE_PGM_RSRC3_GFX90A:TG_SPLIT: 0
	.section	.text._ZN2at6native12_GLOBAL__N_118cuComputeGradInputIddLb1EEEvPKT_S5_llPKT0_S8_S5_PS3_,"axG",@progbits,_ZN2at6native12_GLOBAL__N_118cuComputeGradInputIddLb1EEEvPKT_S5_llPKT0_S8_S5_PS3_,comdat
	.globl	_ZN2at6native12_GLOBAL__N_118cuComputeGradInputIddLb1EEEvPKT_S5_llPKT0_S8_S5_PS3_ ; -- Begin function _ZN2at6native12_GLOBAL__N_118cuComputeGradInputIddLb1EEEvPKT_S5_llPKT0_S8_S5_PS3_
	.p2align	8
	.type	_ZN2at6native12_GLOBAL__N_118cuComputeGradInputIddLb1EEEvPKT_S5_llPKT0_S8_S5_PS3_,@function
_ZN2at6native12_GLOBAL__N_118cuComputeGradInputIddLb1EEEvPKT_S5_llPKT0_S8_S5_PS3_: ; @_ZN2at6native12_GLOBAL__N_118cuComputeGradInputIddLb1EEEvPKT_S5_llPKT0_S8_S5_PS3_
; %bb.0:
	s_load_dwordx4 s[12:15], s[4:5], 0x10
	s_mov_b32 s24, s7
	s_ashr_i32 s25, s7, 31
	s_waitcnt lgkmcnt(0)
	v_pk_mov_b32 v[2:3], s[12:13], s[12:13] op_sel:[0,1]
	v_cmp_ge_i64_e32 vcc, s[24:25], v[2:3]
	s_cbranch_vccnz .LBB116_49
; %bb.1:
	v_cvt_f64_i32_e32 v[2:3], s15
	v_ldexp_f64 v[2:3], v[2:3], 32
	v_cvt_f64_u32_e32 v[4:5], s14
	s_load_dword s0, s[4:5], 0x4c
	s_load_dwordx4 s[16:19], s[4:5], 0x30
	s_load_dword s33, s[4:5], 0x44
	s_load_dwordx4 s[20:23], s[4:5], 0x0
	s_load_dwordx2 s[26:27], s[4:5], 0x28
	v_add_f64 v[2:3], v[2:3], v[4:5]
	s_waitcnt lgkmcnt(0)
	s_lshr_b32 s42, s0, 16
	s_and_b32 s43, s0, 0xffff
	v_cmp_gt_u16_e64 s[28:29], s0, 1
	v_div_scale_f64 v[4:5], s[0:1], v[2:3], v[2:3], 1.0
	v_rcp_f64_e32 v[6:7], v[4:5]
	v_and_b32_e32 v22, 0x3ff, v0
	v_bfe_u32 v23, v0, 10, 10
	s_mul_i32 s44, s42, s43
	v_fma_f64 v[8:9], -v[4:5], v[6:7], 1.0
	v_fmac_f64_e32 v[6:7], v[6:7], v[8:9]
	v_fma_f64 v[8:9], -v[4:5], v[6:7], 1.0
	v_fmac_f64_e32 v[6:7], v[6:7], v[8:9]
	v_div_scale_f64 v[8:9], vcc, 1.0, v[2:3], 1.0
	v_mul_f64 v[10:11], v[8:9], v[6:7]
	v_mad_u32_u24 v0, v23, s43, v22
	s_cmp_lg_u64 s[16:17], 0
	v_fma_f64 v[4:5], -v[4:5], v[10:11], v[8:9]
	s_cselect_b64 s[6:7], -1, 0
	v_div_fmas_f64 v[4:5], v[4:5], v[6:7], v[10:11]
	v_add_u32_e32 v6, s44, v0
	s_ashr_i32 s45, s44, 31
	v_ashrrev_i32_e32 v7, 31, v6
	v_mov_b32_e32 v8, s45
	v_subrev_co_u32_e32 v6, vcc, s44, v6
	v_mov_b32_e32 v1, 0
	v_subb_co_u32_e32 v7, vcc, v7, v8, vcc
	v_cndmask_b32_e64 v8, 0, 1, s[6:7]
	v_cmp_gt_i64_e64 s[6:7], s[14:15], 0
	v_mbcnt_lo_u32_b32 v10, -1, 0
	v_cmp_gt_u16_e64 s[30:31], s42, 1
	v_lshl_add_u32 v24, v0, 4, 0
	v_cmp_eq_u32_e64 s[0:1], 0, v23
	v_cmp_ne_u32_e64 s[2:3], 0, v23
	v_lshl_add_u32 v25, v22, 4, 0
	v_div_fixup_f64 v[4:5], v[4:5], v[2:3], 1.0
	v_cmp_gt_i64_e64 s[4:5], s[14:15], v[0:1]
	v_cndmask_b32_e64 v26, 0, 1, s[6:7]
	v_cmp_ne_u32_e64 s[6:7], 1, v8
	v_pk_mov_b32 v[8:9], s[14:15], s[14:15] op_sel:[0,1]
	v_mbcnt_hi_u32_b32 v27, -1, v10
	s_branch .LBB116_4
.LBB116_2:                              ;   in Loop: Header=BB116_4 Depth=1
	s_or_b64 exec, exec, s[10:11]
.LBB116_3:                              ;   in Loop: Header=BB116_4 Depth=1
	s_add_i32 s24, s33, s24
	s_ashr_i32 s25, s24, 31
	v_pk_mov_b32 v[10:11], s[12:13], s[12:13] op_sel:[0,1]
	v_cmp_ge_i64_e32 vcc, s[24:25], v[10:11]
	s_barrier
	s_cbranch_vccnz .LBB116_49
.LBB116_4:                              ; =>This Loop Header: Depth=1
                                        ;     Child Loop BB116_8 Depth 2
                                        ;     Child Loop BB116_20 Depth 2
	;; [unrolled: 1-line block ×6, first 2 shown]
	s_mul_i32 s8, s24, s15
	s_mul_hi_u32 s9, s24, s14
	s_add_i32 s8, s9, s8
	s_mul_i32 s9, s25, s14
	s_add_i32 s9, s8, s9
	s_lshl_b64 s[10:11], s[24:25], 3
	s_add_u32 s10, s26, s10
	s_mul_i32 s8, s24, s14
	s_addc_u32 s11, s27, s11
	s_load_dwordx2 s[34:35], s[10:11], 0x0
	s_lshl_b64 s[36:37], s[8:9], 3
	s_add_u32 s25, s22, s36
	s_addc_u32 s46, s23, s37
	s_add_u32 s47, s20, s36
	s_addc_u32 s48, s21, s37
	s_and_b64 vcc, exec, s[6:7]
	v_cmp_ne_u32_e64 s[8:9], 1, v26
	s_cbranch_vccnz .LBB116_14
; %bb.5:                                ;   in Loop: Header=BB116_4 Depth=1
	s_and_b64 vcc, exec, s[8:9]
	s_cbranch_vccnz .LBB116_15
; %bb.6:                                ;   in Loop: Header=BB116_4 Depth=1
	v_pk_mov_b32 v[12:13], 0, 0
	s_mov_b32 s38, 0
	v_pk_mov_b32 v[10:11], v[12:13], v[12:13] op_sel:[0,1]
	s_branch .LBB116_8
.LBB116_7:                              ;   in Loop: Header=BB116_8 Depth=2
	s_or_b64 exec, exec, s[10:11]
	s_add_i32 s38, s38, s44
	s_waitcnt vmcnt(0)
	v_mul_f64 v[14:15], v[16:17], v[20:21]
	s_ashr_i32 s39, s38, 31
	v_mul_f64 v[14:15], v[18:19], v[14:15]
	v_cmp_ge_i64_e32 vcc, s[38:39], v[8:9]
	s_waitcnt lgkmcnt(0)
	v_fmac_f64_e32 v[10:11], s[34:35], v[14:15]
	s_cbranch_vccnz .LBB116_16
.LBB116_8:                              ;   Parent Loop BB116_4 Depth=1
                                        ; =>  This Inner Loop Header: Depth=2
	v_add_u32_e32 v14, s38, v0
	v_ashrrev_i32_e32 v15, 31, v14
	v_cmp_gt_i64_e32 vcc, s[14:15], v[14:15]
	v_lshlrev_b64 v[14:15], 3, v[14:15]
	v_pk_mov_b32 v[16:17], v[12:13], v[12:13] op_sel:[0,1]
	s_and_saveexec_b64 s[40:41], vcc
	s_cbranch_execz .LBB116_10
; %bb.9:                                ;   in Loop: Header=BB116_8 Depth=2
	v_mov_b32_e32 v17, s17
	v_add_co_u32_e64 v16, s[10:11], s16, v14
	v_addc_co_u32_e64 v17, s[10:11], v17, v15, s[10:11]
	global_load_dwordx2 v[16:17], v[16:17], off
.LBB116_10:                             ;   in Loop: Header=BB116_8 Depth=2
	s_or_b64 exec, exec, s[40:41]
	v_pk_mov_b32 v[20:21], 0, 0
	v_pk_mov_b32 v[18:19], v[20:21], v[20:21] op_sel:[0,1]
	s_and_saveexec_b64 s[40:41], vcc
	s_cbranch_execz .LBB116_12
; %bb.11:                               ;   in Loop: Header=BB116_8 Depth=2
	v_mov_b32_e32 v19, s46
	v_add_co_u32_e64 v18, s[10:11], s25, v14
	v_addc_co_u32_e64 v19, s[10:11], v19, v15, s[10:11]
	global_load_dwordx2 v[18:19], v[18:19], off
.LBB116_12:                             ;   in Loop: Header=BB116_8 Depth=2
	s_or_b64 exec, exec, s[40:41]
	s_and_saveexec_b64 s[10:11], vcc
	s_cbranch_execz .LBB116_7
; %bb.13:                               ;   in Loop: Header=BB116_8 Depth=2
	v_mov_b32_e32 v20, s48
	v_add_co_u32_e32 v14, vcc, s47, v14
	v_addc_co_u32_e32 v15, vcc, v20, v15, vcc
	global_load_dwordx2 v[20:21], v[14:15], off
	s_branch .LBB116_7
.LBB116_14:                             ;   in Loop: Header=BB116_4 Depth=1
                                        ; implicit-def: $vgpr10_vgpr11
	s_branch .LBB116_17
.LBB116_15:                             ;   in Loop: Header=BB116_4 Depth=1
	v_pk_mov_b32 v[10:11], 0, 0
.LBB116_16:                             ;   in Loop: Header=BB116_4 Depth=1
	s_cbranch_execnz .LBB116_25
.LBB116_17:                             ;   in Loop: Header=BB116_4 Depth=1
	s_and_b64 vcc, exec, s[8:9]
	s_cbranch_vccnz .LBB116_24
; %bb.18:                               ;   in Loop: Header=BB116_4 Depth=1
	v_pk_mov_b32 v[12:13], 0, 0
	s_mov_b32 s10, 0
	v_pk_mov_b32 v[10:11], v[12:13], v[12:13] op_sel:[0,1]
	s_branch .LBB116_20
.LBB116_19:                             ;   in Loop: Header=BB116_20 Depth=2
	s_or_b64 exec, exec, s[8:9]
	s_waitcnt vmcnt(0)
	v_mul_f64 v[14:15], v[16:17], v[18:19]
	s_add_i32 s10, s10, s44
	s_waitcnt lgkmcnt(0)
	v_fmac_f64_e32 v[10:11], s[34:35], v[14:15]
	s_ashr_i32 s11, s10, 31
	v_pk_mov_b32 v[14:15], s[14:15], s[14:15] op_sel:[0,1]
	v_cmp_ge_i64_e32 vcc, s[10:11], v[14:15]
	s_cbranch_vccnz .LBB116_25
.LBB116_20:                             ;   Parent Loop BB116_4 Depth=1
                                        ; =>  This Inner Loop Header: Depth=2
	v_add_u32_e32 v14, s10, v0
	v_ashrrev_i32_e32 v15, 31, v14
	v_cmp_gt_i64_e32 vcc, s[14:15], v[14:15]
	v_lshlrev_b64 v[14:15], 3, v[14:15]
	v_pk_mov_b32 v[16:17], v[12:13], v[12:13] op_sel:[0,1]
	s_and_saveexec_b64 s[38:39], vcc
	s_cbranch_execz .LBB116_22
; %bb.21:                               ;   in Loop: Header=BB116_20 Depth=2
	v_mov_b32_e32 v17, s46
	v_add_co_u32_e64 v16, s[8:9], s25, v14
	v_addc_co_u32_e64 v17, s[8:9], v17, v15, s[8:9]
	global_load_dwordx2 v[16:17], v[16:17], off
.LBB116_22:                             ;   in Loop: Header=BB116_20 Depth=2
	s_or_b64 exec, exec, s[38:39]
	v_pk_mov_b32 v[18:19], 0, 0
	s_and_saveexec_b64 s[8:9], vcc
	s_cbranch_execz .LBB116_19
; %bb.23:                               ;   in Loop: Header=BB116_20 Depth=2
	v_mov_b32_e32 v18, s48
	v_add_co_u32_e32 v14, vcc, s47, v14
	v_addc_co_u32_e32 v15, vcc, v18, v15, vcc
	global_load_dwordx2 v[18:19], v[14:15], off
	s_branch .LBB116_19
.LBB116_24:                             ;   in Loop: Header=BB116_4 Depth=1
	v_pk_mov_b32 v[10:11], 0, 0
.LBB116_25:                             ;   in Loop: Header=BB116_4 Depth=1
	s_andn2_b64 vcc, exec, s[28:29]
	s_cbranch_vccnz .LBB116_28
; %bb.26:                               ;   in Loop: Header=BB116_4 Depth=1
	v_and_b32_e32 v12, 64, v27
	v_add_u32_e32 v12, 64, v12
	s_mov_b32 s8, s43
.LBB116_27:                             ;   Parent Loop BB116_4 Depth=1
                                        ; =>  This Inner Loop Header: Depth=2
	s_lshr_b32 s9, s8, 1
	v_xor_b32_e32 v13, s9, v27
	v_cmp_lt_i32_e32 vcc, v13, v12
	v_cndmask_b32_e32 v13, v27, v13, vcc
	v_lshlrev_b32_e32 v13, 2, v13
	ds_bpermute_b32 v14, v13, v10
	ds_bpermute_b32 v15, v13, v11
	s_cmp_lt_u32 s8, 4
	s_mov_b32 s8, s9
	s_waitcnt lgkmcnt(0)
	v_add_f64 v[10:11], v[10:11], v[14:15]
	s_cbranch_scc0 .LBB116_27
.LBB116_28:                             ;   in Loop: Header=BB116_4 Depth=1
	s_andn2_b64 vcc, exec, s[30:31]
	s_mov_b32 s38, s42
	s_cbranch_vccnz .LBB116_40
.LBB116_29:                             ;   Parent Loop BB116_4 Depth=1
                                        ; =>  This Inner Loop Header: Depth=2
	s_lshr_b32 s39, s38, 1
	s_and_b32 s10, s38, 0xfffe
	v_cmp_le_u32_e64 s[8:9], s39, v23
	v_cmp_gt_u32_e64 s[10:11], s10, v23
	v_cmp_gt_u32_e32 vcc, s39, v23
	s_and_b64 s[10:11], s[8:9], s[10:11]
	s_and_saveexec_b64 s[8:9], s[10:11]
	s_cbranch_execz .LBB116_31
; %bb.30:                               ;   in Loop: Header=BB116_29 Depth=2
	v_subrev_u32_e32 v12, s39, v23
	v_mad_i32_i24 v12, v12, s43, v22
	v_lshl_add_u32 v12, v12, 4, 0
	ds_write_b64 v12, v[10:11] offset:8
.LBB116_31:                             ;   in Loop: Header=BB116_29 Depth=2
	s_or_b64 exec, exec, s[8:9]
	s_waitcnt lgkmcnt(0)
	s_barrier
	s_and_saveexec_b64 s[8:9], vcc
	s_cbranch_execz .LBB116_33
; %bb.32:                               ;   in Loop: Header=BB116_29 Depth=2
	ds_read_b64 v[12:13], v24 offset:8
	s_waitcnt lgkmcnt(0)
	v_add_f64 v[10:11], v[10:11], v[12:13]
.LBB116_33:                             ;   in Loop: Header=BB116_29 Depth=2
	s_or_b64 exec, exec, s[8:9]
	s_cmp_lt_u32 s38, 4
	s_barrier
	s_cbranch_scc1 .LBB116_35
; %bb.34:                               ;   in Loop: Header=BB116_29 Depth=2
	s_mov_b32 s38, s39
	s_branch .LBB116_29
.LBB116_35:                             ;   in Loop: Header=BB116_4 Depth=1
	s_and_saveexec_b64 s[8:9], s[0:1]
	s_cbranch_execz .LBB116_37
; %bb.36:                               ;   in Loop: Header=BB116_4 Depth=1
	ds_write_b64 v25, v[10:11] offset:8
.LBB116_37:                             ;   in Loop: Header=BB116_4 Depth=1
	s_or_b64 exec, exec, s[8:9]
	s_waitcnt lgkmcnt(0)
	s_barrier
	s_and_saveexec_b64 s[8:9], s[2:3]
	s_cbranch_execz .LBB116_39
; %bb.38:                               ;   in Loop: Header=BB116_4 Depth=1
	ds_read_b64 v[10:11], v25 offset:8
.LBB116_39:                             ;   in Loop: Header=BB116_4 Depth=1
	s_or_b64 exec, exec, s[8:9]
.LBB116_40:                             ;   in Loop: Header=BB116_4 Depth=1
	s_add_u32 s38, s18, s36
	s_addc_u32 s39, s19, s37
	s_and_b64 vcc, exec, s[6:7]
	s_waitcnt lgkmcnt(0)
	v_mul_f64 v[12:13], v[4:5], s[34:35]
	s_cbranch_vccnz .LBB116_45
; %bb.41:                               ;   in Loop: Header=BB116_4 Depth=1
	s_and_saveexec_b64 s[10:11], s[4:5]
	s_cbranch_execz .LBB116_44
; %bb.42:                               ;   in Loop: Header=BB116_4 Depth=1
	s_mov_b64 s[36:37], 0
	v_pk_mov_b32 v[14:15], v[6:7], v[6:7] op_sel:[0,1]
	v_pk_mov_b32 v[16:17], v[0:1], v[0:1] op_sel:[0,1]
.LBB116_43:                             ;   Parent Loop BB116_4 Depth=1
                                        ; =>  This Inner Loop Header: Depth=2
	v_lshlrev_b64 v[16:17], 3, v[16:17]
	v_mov_b32_e32 v19, s46
	v_add_co_u32_e32 v18, vcc, s25, v16
	v_addc_co_u32_e32 v19, vcc, v19, v17, vcc
	v_mov_b32_e32 v21, s48
	v_add_co_u32_e32 v20, vcc, s47, v16
	v_addc_co_u32_e32 v21, vcc, v21, v17, vcc
	;; [unrolled: 3-line block ×3, first 2 shown]
	global_load_dwordx2 v[30:31], v[18:19], off
	global_load_dwordx2 v[32:33], v[20:21], off
	;; [unrolled: 1-line block ×3, first 2 shown]
	v_mov_b32_e32 v20, s45
	v_add_co_u32_e32 v14, vcc, s44, v14
	v_addc_co_u32_e32 v15, vcc, v15, v20, vcc
	v_mov_b32_e32 v19, s39
	v_add_co_u32_e64 v18, s[8:9], s38, v16
	v_cmp_le_i64_e32 vcc, s[14:15], v[14:15]
	v_addc_co_u32_e64 v19, s[8:9], v19, v17, s[8:9]
	v_ashrrev_i32_e32 v17, 31, v14
	v_mov_b32_e32 v16, v14
	s_or_b64 s[36:37], vcc, s[36:37]
	s_waitcnt vmcnt(2)
	v_mul_f64 v[28:29], s[34:35], v[30:31]
	s_waitcnt vmcnt(1)
	v_mul_f64 v[20:21], v[32:33], v[2:3]
	v_mul_f64 v[28:29], v[10:11], v[28:29]
	s_waitcnt vmcnt(0)
	v_fma_f64 v[20:21], v[20:21], v[34:35], -v[28:29]
	v_mul_f64 v[20:21], v[12:13], v[20:21]
	global_store_dwordx2 v[18:19], v[20:21], off
	s_andn2_b64 exec, exec, s[36:37]
	s_cbranch_execnz .LBB116_43
.LBB116_44:                             ;   in Loop: Header=BB116_4 Depth=1
	s_or_b64 exec, exec, s[10:11]
	s_cbranch_execnz .LBB116_3
	s_branch .LBB116_46
.LBB116_45:                             ;   in Loop: Header=BB116_4 Depth=1
.LBB116_46:                             ;   in Loop: Header=BB116_4 Depth=1
	s_and_saveexec_b64 s[10:11], s[4:5]
	s_cbranch_execz .LBB116_2
; %bb.47:                               ;   in Loop: Header=BB116_4 Depth=1
	s_mov_b64 s[36:37], 0
	v_pk_mov_b32 v[14:15], v[6:7], v[6:7] op_sel:[0,1]
	v_pk_mov_b32 v[16:17], v[0:1], v[0:1] op_sel:[0,1]
.LBB116_48:                             ;   Parent Loop BB116_4 Depth=1
                                        ; =>  This Inner Loop Header: Depth=2
	v_lshlrev_b64 v[16:17], 3, v[16:17]
	v_mov_b32_e32 v19, s46
	v_add_co_u32_e32 v18, vcc, s25, v16
	v_addc_co_u32_e32 v19, vcc, v19, v17, vcc
	v_mov_b32_e32 v21, s48
	v_add_co_u32_e32 v20, vcc, s47, v16
	global_load_dwordx2 v[18:19], v[18:19], off
	v_addc_co_u32_e32 v21, vcc, v21, v17, vcc
	global_load_dwordx2 v[20:21], v[20:21], off
	v_mov_b32_e32 v30, s45
	v_add_co_u32_e32 v14, vcc, s44, v14
	v_addc_co_u32_e32 v15, vcc, v15, v30, vcc
	v_mov_b32_e32 v29, s39
	v_add_co_u32_e64 v28, s[8:9], s38, v16
	v_cmp_le_i64_e32 vcc, s[14:15], v[14:15]
	v_addc_co_u32_e64 v29, s[8:9], v29, v17, s[8:9]
	v_ashrrev_i32_e32 v17, 31, v14
	v_mov_b32_e32 v16, v14
	s_or_b64 s[36:37], vcc, s[36:37]
	s_waitcnt vmcnt(1)
	v_mul_f64 v[18:19], s[34:35], v[18:19]
	v_mul_f64 v[18:19], v[10:11], v[18:19]
	s_waitcnt vmcnt(0)
	v_fma_f64 v[18:19], v[20:21], v[2:3], -v[18:19]
	v_mul_f64 v[18:19], v[12:13], v[18:19]
	global_store_dwordx2 v[28:29], v[18:19], off
	s_andn2_b64 exec, exec, s[36:37]
	s_cbranch_execnz .LBB116_48
	s_branch .LBB116_2
.LBB116_49:
	s_endpgm
	.section	.rodata,"a",@progbits
	.p2align	6, 0x0
	.amdhsa_kernel _ZN2at6native12_GLOBAL__N_118cuComputeGradInputIddLb1EEEvPKT_S5_llPKT0_S8_S5_PS3_
		.amdhsa_group_segment_fixed_size 0
		.amdhsa_private_segment_fixed_size 0
		.amdhsa_kernarg_size 320
		.amdhsa_user_sgpr_count 6
		.amdhsa_user_sgpr_private_segment_buffer 1
		.amdhsa_user_sgpr_dispatch_ptr 0
		.amdhsa_user_sgpr_queue_ptr 0
		.amdhsa_user_sgpr_kernarg_segment_ptr 1
		.amdhsa_user_sgpr_dispatch_id 0
		.amdhsa_user_sgpr_flat_scratch_init 0
		.amdhsa_user_sgpr_kernarg_preload_length 0
		.amdhsa_user_sgpr_kernarg_preload_offset 0
		.amdhsa_user_sgpr_private_segment_size 0
		.amdhsa_uses_dynamic_stack 0
		.amdhsa_system_sgpr_private_segment_wavefront_offset 0
		.amdhsa_system_sgpr_workgroup_id_x 1
		.amdhsa_system_sgpr_workgroup_id_y 1
		.amdhsa_system_sgpr_workgroup_id_z 0
		.amdhsa_system_sgpr_workgroup_info 0
		.amdhsa_system_vgpr_workitem_id 1
		.amdhsa_next_free_vgpr 36
		.amdhsa_next_free_sgpr 49
		.amdhsa_accum_offset 36
		.amdhsa_reserve_vcc 1
		.amdhsa_reserve_flat_scratch 0
		.amdhsa_float_round_mode_32 0
		.amdhsa_float_round_mode_16_64 0
		.amdhsa_float_denorm_mode_32 3
		.amdhsa_float_denorm_mode_16_64 3
		.amdhsa_dx10_clamp 1
		.amdhsa_ieee_mode 1
		.amdhsa_fp16_overflow 0
		.amdhsa_tg_split 0
		.amdhsa_exception_fp_ieee_invalid_op 0
		.amdhsa_exception_fp_denorm_src 0
		.amdhsa_exception_fp_ieee_div_zero 0
		.amdhsa_exception_fp_ieee_overflow 0
		.amdhsa_exception_fp_ieee_underflow 0
		.amdhsa_exception_fp_ieee_inexact 0
		.amdhsa_exception_int_div_zero 0
	.end_amdhsa_kernel
	.section	.text._ZN2at6native12_GLOBAL__N_118cuComputeGradInputIddLb1EEEvPKT_S5_llPKT0_S8_S5_PS3_,"axG",@progbits,_ZN2at6native12_GLOBAL__N_118cuComputeGradInputIddLb1EEEvPKT_S5_llPKT0_S8_S5_PS3_,comdat
.Lfunc_end116:
	.size	_ZN2at6native12_GLOBAL__N_118cuComputeGradInputIddLb1EEEvPKT_S5_llPKT0_S8_S5_PS3_, .Lfunc_end116-_ZN2at6native12_GLOBAL__N_118cuComputeGradInputIddLb1EEEvPKT_S5_llPKT0_S8_S5_PS3_
                                        ; -- End function
	.section	.AMDGPU.csdata,"",@progbits
; Kernel info:
; codeLenInByte = 1648
; NumSgprs: 53
; NumVgprs: 36
; NumAgprs: 0
; TotalNumVgprs: 36
; ScratchSize: 0
; MemoryBound: 0
; FloatMode: 240
; IeeeMode: 1
; LDSByteSize: 0 bytes/workgroup (compile time only)
; SGPRBlocks: 6
; VGPRBlocks: 4
; NumSGPRsForWavesPerEU: 53
; NumVGPRsForWavesPerEU: 36
; AccumOffset: 36
; Occupancy: 8
; WaveLimiterHint : 0
; COMPUTE_PGM_RSRC2:SCRATCH_EN: 0
; COMPUTE_PGM_RSRC2:USER_SGPR: 6
; COMPUTE_PGM_RSRC2:TRAP_HANDLER: 0
; COMPUTE_PGM_RSRC2:TGID_X_EN: 1
; COMPUTE_PGM_RSRC2:TGID_Y_EN: 1
; COMPUTE_PGM_RSRC2:TGID_Z_EN: 0
; COMPUTE_PGM_RSRC2:TIDIG_COMP_CNT: 1
; COMPUTE_PGM_RSRC3_GFX90A:ACCUM_OFFSET: 8
; COMPUTE_PGM_RSRC3_GFX90A:TG_SPLIT: 0
	.section	.text._ZN2at6native12_GLOBAL__N_128layer_norm_grad_input_kernelIddLb1EEEvPKT_S5_PKT0_S8_S5_PS3_i,"axG",@progbits,_ZN2at6native12_GLOBAL__N_128layer_norm_grad_input_kernelIddLb1EEEvPKT_S5_PKT0_S8_S5_PS3_i,comdat
	.globl	_ZN2at6native12_GLOBAL__N_128layer_norm_grad_input_kernelIddLb1EEEvPKT_S5_PKT0_S8_S5_PS3_i ; -- Begin function _ZN2at6native12_GLOBAL__N_128layer_norm_grad_input_kernelIddLb1EEEvPKT_S5_PKT0_S8_S5_PS3_i
	.p2align	8
	.type	_ZN2at6native12_GLOBAL__N_128layer_norm_grad_input_kernelIddLb1EEEvPKT_S5_PKT0_S8_S5_PS3_i,@function
_ZN2at6native12_GLOBAL__N_128layer_norm_grad_input_kernelIddLb1EEEvPKT_S5_PKT0_S8_S5_PS3_i: ; @_ZN2at6native12_GLOBAL__N_128layer_norm_grad_input_kernelIddLb1EEEvPKT_S5_PKT0_S8_S5_PS3_i
; %bb.0:
	s_load_dword s20, s[4:5], 0x30
	s_load_dwordx4 s[8:11], s[4:5], 0x0
	s_load_dwordx4 s[0:3], s[4:5], 0x18
	s_mov_b32 s7, 0
	v_lshlrev_b32_e32 v4, 2, v0
	s_waitcnt lgkmcnt(0)
	s_ashr_i32 s12, s20, 31
	s_mul_hi_u32 s13, s20, s6
	s_mul_i32 s12, s12, s6
	s_add_i32 s13, s13, s12
	s_mul_i32 s12, s20, s6
	s_lshl_b64 s[6:7], s[6:7], 3
	s_add_u32 s0, s0, s6
	s_addc_u32 s1, s1, s7
	s_load_dwordx2 s[6:7], s[0:1], 0x0
	s_lshl_b64 s[12:13], s[12:13], 3
	s_add_u32 s21, s10, s12
	s_addc_u32 s23, s11, s13
	s_add_u32 s22, s8, s12
	v_or_b32_e32 v1, 3, v4
	s_addc_u32 s24, s9, s13
	v_cmp_gt_u32_e32 vcc, s20, v1
	v_pk_mov_b32 v[2:3], 0, 0
	s_and_saveexec_b64 s[14:15], vcc
	s_cbranch_execz .LBB117_12
; %bb.1:
	s_load_dword s0, s[4:5], 0x44
	s_cmp_lg_u64 s[2:3], 0
	s_cselect_b64 s[18:19], -1, 0
	v_cndmask_b32_e64 v6, 0, 1, s[18:19]
	s_mov_b64 s[16:17], 0
	s_waitcnt lgkmcnt(0)
	s_and_b32 s0, s0, 0xffff
	s_lshl_b32 s25, s0, 2
	s_add_u32 s26, s2, 8
	s_addc_u32 s27, s3, 0
	s_add_u32 s28, s2, 16
	s_addc_u32 s29, s3, 0
	s_add_u32 s30, s2, 24
	v_pk_mov_b32 v[2:3], 0, 0
	s_addc_u32 s31, s3, 0
	v_mov_b32_e32 v5, 0
	v_mov_b32_e32 v1, s23
	;; [unrolled: 1-line block ×3, first 2 shown]
	v_cmp_ne_u32_e64 s[0:1], 1, v6
	s_branch .LBB117_3
.LBB117_2:                              ;   in Loop: Header=BB117_3 Depth=1
	global_load_dwordx2 v[16:17], v[14:15], off offset:24
	global_load_dwordx2 v[34:35], v[12:13], off offset:24
	s_waitcnt vmcnt(6)
	v_mul_f64 v[8:9], v[8:9], v[18:19]
	s_waitcnt vmcnt(4)
	v_mul_f64 v[6:7], v[6:7], v[24:25]
	v_mul_f64 v[8:9], v[10:11], v[8:9]
	s_waitcnt vmcnt(2)
	v_mul_f64 v[12:13], v[28:29], v[30:31]
	v_add_u32_e32 v4, s25, v4
	v_mul_f64 v[6:7], v[20:21], v[6:7]
	v_fmac_f64_e32 v[2:3], s[6:7], v[8:9]
	v_mul_f64 v[10:11], v[26:27], v[12:13]
	v_add_u32_e32 v12, 3, v4
	v_fmac_f64_e32 v[2:3], s[6:7], v[6:7]
	v_cmp_le_u32_e32 vcc, s20, v12
	v_fmac_f64_e32 v[2:3], s[6:7], v[10:11]
	s_or_b64 s[16:17], vcc, s[16:17]
	s_waitcnt vmcnt(1)
	v_mul_f64 v[6:7], v[22:23], v[16:17]
	s_waitcnt vmcnt(0)
	v_mul_f64 v[6:7], v[34:35], v[6:7]
	v_fmac_f64_e32 v[2:3], s[6:7], v[6:7]
	s_andn2_b64 exec, exec, s[16:17]
	s_cbranch_execz .LBB117_11
.LBB117_3:                              ; =>This Inner Loop Header: Depth=1
	v_mov_b32_e32 v6, 0
	v_mov_b32_e32 v7, 0x3ff00000
	s_and_b64 vcc, exec, s[18:19]
	v_lshlrev_b64 v[16:17], 3, v[4:5]
	v_pk_mov_b32 v[8:9], v[6:7], v[6:7] op_sel:[0,1]
	s_cbranch_vccz .LBB117_5
; %bb.4:                                ;   in Loop: Header=BB117_3 Depth=1
	v_mov_b32_e32 v9, s3
	v_add_co_u32_e32 v8, vcc, s2, v16
	v_addc_co_u32_e32 v9, vcc, v9, v17, vcc
	global_load_dwordx2 v[8:9], v[8:9], off
.LBB117_5:                              ;   in Loop: Header=BB117_3 Depth=1
	v_add_co_u32_e32 v12, vcc, s21, v16
	v_addc_co_u32_e32 v13, vcc, v1, v17, vcc
	v_add_co_u32_e32 v14, vcc, s22, v16
	v_addc_co_u32_e32 v15, vcc, v32, v17, vcc
	global_load_dwordx2 v[10:11], v[12:13], off
	global_load_dwordx2 v[18:19], v[14:15], off
	s_and_b64 vcc, exec, s[0:1]
	s_cbranch_vccnz .LBB117_7
; %bb.6:                                ;   in Loop: Header=BB117_3 Depth=1
	v_mov_b32_e32 v7, s27
	v_add_co_u32_e32 v6, vcc, s26, v16
	v_addc_co_u32_e32 v7, vcc, v7, v17, vcc
	global_load_dwordx2 v[6:7], v[6:7], off
.LBB117_7:                              ;   in Loop: Header=BB117_3 Depth=1
	s_nop 0
	global_load_dwordx2 v[20:21], v[12:13], off offset:8
	global_load_dwordx2 v[24:25], v[14:15], off offset:8
	v_mov_b32_e32 v22, 0
	v_mov_b32_e32 v23, 0x3ff00000
	s_and_b64 vcc, exec, s[0:1]
	v_pk_mov_b32 v[28:29], v[22:23], v[22:23] op_sel:[0,1]
	s_cbranch_vccnz .LBB117_9
; %bb.8:                                ;   in Loop: Header=BB117_3 Depth=1
	v_mov_b32_e32 v27, s29
	v_add_co_u32_e32 v26, vcc, s28, v16
	v_addc_co_u32_e32 v27, vcc, v27, v17, vcc
	global_load_dwordx2 v[28:29], v[26:27], off
.LBB117_9:                              ;   in Loop: Header=BB117_3 Depth=1
	s_nop 0
	global_load_dwordx2 v[26:27], v[12:13], off offset:16
	global_load_dwordx2 v[30:31], v[14:15], off offset:16
	s_and_b64 vcc, exec, s[0:1]
	s_cbranch_vccnz .LBB117_2
; %bb.10:                               ;   in Loop: Header=BB117_3 Depth=1
	v_mov_b32_e32 v22, s31
	v_add_co_u32_e32 v16, vcc, s30, v16
	v_addc_co_u32_e32 v17, vcc, v22, v17, vcc
	global_load_dwordx2 v[22:23], v[16:17], off
	s_branch .LBB117_2
.LBB117_11:
	s_or_b64 exec, exec, s[16:17]
.LBB117_12:
	s_or_b64 exec, exec, s[14:15]
	v_cmp_gt_u32_e32 vcc, s20, v4
	s_and_saveexec_b64 s[14:15], vcc
	s_cbranch_execz .LBB117_19
; %bb.13:
	v_mov_b32_e32 v5, 0
	v_lshlrev_b64 v[8:9], 3, v[4:5]
	v_mov_b32_e32 v1, s3
	v_add_co_u32_e32 v6, vcc, s2, v8
	v_addc_co_u32_e32 v7, vcc, v1, v9, vcc
	v_mov_b32_e32 v1, s13
	v_add_co_u32_e32 v5, vcc, s12, v8
	v_addc_co_u32_e32 v1, vcc, v1, v9, vcc
	v_mov_b32_e32 v9, s11
	v_add_co_u32_e32 v8, vcc, s10, v5
	s_cmp_lg_u64 s[2:3], 0
	v_addc_co_u32_e32 v9, vcc, v9, v1, vcc
	v_mov_b32_e32 v11, s9
	v_add_co_u32_e32 v10, vcc, s8, v5
	s_cselect_b64 s[0:1], -1, 0
	v_addc_co_u32_e32 v11, vcc, v11, v1, vcc
	v_cndmask_b32_e64 v1, 0, 1, s[0:1]
	s_mov_b64 s[16:17], 0
	v_cmp_ne_u32_e64 s[0:1], 1, v1
	s_branch .LBB117_16
.LBB117_14:                             ;   in Loop: Header=BB117_16 Depth=1
	global_load_dwordx2 v[12:13], v[6:7], off
.LBB117_15:                             ;   in Loop: Header=BB117_16 Depth=1
	global_load_dwordx2 v[14:15], v[10:11], off
	global_load_dwordx2 v[16:17], v[8:9], off
	v_add_co_u32_e32 v6, vcc, 8, v6
	v_addc_co_u32_e32 v7, vcc, 0, v7, vcc
	v_add_co_u32_e32 v8, vcc, 8, v8
	v_add_u32_e32 v4, 1, v4
	v_addc_co_u32_e32 v9, vcc, 0, v9, vcc
	v_cmp_le_u32_e32 vcc, s20, v4
	s_or_b64 s[16:17], vcc, s[16:17]
	v_add_co_u32_e32 v10, vcc, 8, v10
	v_addc_co_u32_e32 v11, vcc, 0, v11, vcc
	s_waitcnt vmcnt(1)
	v_mul_f64 v[12:13], v[12:13], v[14:15]
	s_waitcnt vmcnt(0)
	v_mul_f64 v[12:13], v[16:17], v[12:13]
	s_waitcnt lgkmcnt(0)
	v_fmac_f64_e32 v[2:3], s[6:7], v[12:13]
	s_andn2_b64 exec, exec, s[16:17]
	s_cbranch_execz .LBB117_18
.LBB117_16:                             ; =>This Inner Loop Header: Depth=1
	s_and_b64 vcc, exec, s[0:1]
	s_cbranch_vccz .LBB117_14
; %bb.17:                               ;   in Loop: Header=BB117_16 Depth=1
	v_mov_b32_e32 v12, 0
	v_mov_b32_e32 v13, 0x3ff00000
	s_branch .LBB117_15
.LBB117_18:
	s_or_b64 exec, exec, s[16:17]
.LBB117_19:
	s_or_b64 exec, exec, s[14:15]
	v_mbcnt_lo_u32_b32 v1, -1, 0
	v_mbcnt_hi_u32_b32 v10, -1, v1
	v_and_b32_e32 v12, 63, v10
	v_cmp_gt_u32_e32 vcc, 32, v12
	v_cndmask_b32_e64 v1, 0, 1, vcc
	v_lshlrev_b32_e32 v1, 5, v1
	v_add_lshl_u32 v1, v1, v10, 2
	ds_bpermute_b32 v4, v1, v2
	ds_bpermute_b32 v5, v1, v3
	v_cmp_gt_u32_e32 vcc, 48, v12
	v_cndmask_b32_e64 v6, 0, 1, vcc
	v_cmp_gt_u32_e32 vcc, 56, v12
	v_and_b32_e32 v11, 63, v0
	s_waitcnt lgkmcnt(0)
	v_add_f64 v[2:3], v[2:3], v[4:5]
	v_lshlrev_b32_e32 v4, 4, v6
	v_add_lshl_u32 v6, v4, v10, 2
	ds_bpermute_b32 v4, v6, v2
	ds_bpermute_b32 v5, v6, v3
	s_waitcnt lgkmcnt(0)
	s_barrier
	v_add_f64 v[2:3], v[2:3], v[4:5]
	v_cndmask_b32_e64 v4, 0, 1, vcc
	v_lshlrev_b32_e32 v4, 3, v4
	v_add_lshl_u32 v7, v4, v10, 2
	ds_bpermute_b32 v4, v7, v2
	ds_bpermute_b32 v5, v7, v3
	v_cmp_gt_u32_e32 vcc, 60, v12
	s_waitcnt lgkmcnt(0)
	v_add_f64 v[2:3], v[2:3], v[4:5]
	v_cndmask_b32_e64 v4, 0, 1, vcc
	v_lshlrev_b32_e32 v4, 2, v4
	v_add_lshl_u32 v8, v4, v10, 2
	ds_bpermute_b32 v4, v8, v2
	ds_bpermute_b32 v5, v8, v3
	v_cmp_gt_u32_e32 vcc, 62, v12
	s_waitcnt lgkmcnt(0)
	v_add_f64 v[2:3], v[2:3], v[4:5]
	v_cndmask_b32_e64 v4, 0, 1, vcc
	v_lshlrev_b32_e32 v4, 1, v4
	v_add_lshl_u32 v9, v4, v10, 2
	ds_bpermute_b32 v4, v9, v2
	ds_bpermute_b32 v5, v9, v3
	v_cmp_ne_u32_e32 vcc, 63, v12
	s_waitcnt lgkmcnt(0)
	v_add_f64 v[2:3], v[2:3], v[4:5]
	v_addc_co_u32_e32 v4, vcc, 0, v10, vcc
	v_lshlrev_b32_e32 v10, 2, v4
	ds_bpermute_b32 v4, v10, v2
	ds_bpermute_b32 v5, v10, v3
	v_cmp_eq_u32_e32 vcc, 0, v11
	s_and_saveexec_b64 s[0:1], vcc
	s_cbranch_execz .LBB117_21
; %bb.20:
	v_lshrrev_b32_e32 v12, 3, v0
	v_add_u32_e32 v12, 0, v12
	s_waitcnt lgkmcnt(0)
	v_add_f64 v[2:3], v[2:3], v[4:5]
	ds_write_b64 v12, v[2:3]
.LBB117_21:
	s_or_b64 exec, exec, s[0:1]
	s_waitcnt lgkmcnt(0)
	s_barrier
	s_load_dword s8, s[4:5], 0x44
	v_pk_mov_b32 v[2:3], 0, 0
	s_waitcnt lgkmcnt(0)
	s_bfe_u32 s0, s8, 0xa0006
	v_cmp_gt_u32_e32 vcc, s0, v0
	s_and_saveexec_b64 s[0:1], vcc
	s_cbranch_execnz .LBB117_32
; %bb.22:
	s_or_b64 exec, exec, s[0:1]
	v_cmp_gt_u32_e32 vcc, 64, v0
	s_and_saveexec_b64 s[0:1], vcc
	s_cbranch_execnz .LBB117_33
.LBB117_23:
	s_or_b64 exec, exec, s[0:1]
	v_cmp_eq_u32_e32 vcc, 0, v0
	s_and_saveexec_b64 s[0:1], vcc
	s_cbranch_execz .LBB117_25
.LBB117_24:
	v_mov_b32_e32 v1, 0
	s_waitcnt lgkmcnt(0)
	ds_write_b64 v1, v[2:3] offset:8
.LBB117_25:
	s_or_b64 exec, exec, s[0:1]
	v_cmp_gt_i32_e32 vcc, s20, v0
	s_waitcnt lgkmcnt(0)
	s_barrier
	s_and_saveexec_b64 s[0:1], vcc
	s_cbranch_execz .LBB117_31
; %bb.26:
	v_cvt_f64_i32_e32 v[2:3], s20
	v_div_scale_f64 v[6:7], s[0:1], v[2:3], v[2:3], 1.0
	v_rcp_f64_e32 v[8:9], v[6:7]
	s_load_dwordx2 s[0:1], s[4:5], 0x28
	s_and_b32 s8, s8, 0xffff
	v_mov_b32_e32 v1, 0
	v_fma_f64 v[10:11], -v[6:7], v[8:9], 1.0
	v_fmac_f64_e32 v[8:9], v[8:9], v[10:11]
	v_fma_f64 v[10:11], -v[6:7], v[8:9], 1.0
	v_fmac_f64_e32 v[8:9], v[8:9], v[10:11]
	v_div_scale_f64 v[10:11], vcc, 1.0, v[2:3], 1.0
	s_waitcnt lgkmcnt(0)
	s_add_u32 s9, s0, s12
	ds_read_b64 v[4:5], v1 offset:8
	v_mul_f64 v[12:13], v[10:11], v[8:9]
	s_addc_u32 s10, s1, s13
	v_fma_f64 v[6:7], -v[6:7], v[12:13], v[10:11]
	s_cmp_lg_u64 s[2:3], 0
	v_div_fmas_f64 v[6:7], v[6:7], v[8:9], v[12:13]
	s_cselect_b64 s[0:1], -1, 0
	v_div_fixup_f64 v[6:7], v[6:7], v[2:3], 1.0
	v_cndmask_b32_e64 v1, 0, 1, s[0:1]
	v_mul_f64 v[6:7], v[6:7], s[6:7]
	s_mov_b64 s[4:5], 0
	v_mov_b32_e32 v16, s23
	v_mov_b32_e32 v17, s24
	v_cmp_ne_u32_e64 s[0:1], 1, v1
	v_mov_b32_e32 v18, s10
	s_branch .LBB117_29
.LBB117_27:                             ;   in Loop: Header=BB117_29 Depth=1
	v_mov_b32_e32 v1, s3
	v_add_co_u32_e32 v14, vcc, s2, v8
	v_addc_co_u32_e32 v15, vcc, v1, v9, vcc
	global_load_dwordx2 v[14:15], v[14:15], off
.LBB117_28:                             ;   in Loop: Header=BB117_29 Depth=1
	s_waitcnt vmcnt(1)
	v_mul_f64 v[10:11], s[6:7], v[10:11]
	v_add_co_u32_e32 v8, vcc, s9, v8
	s_waitcnt vmcnt(0)
	v_mul_f64 v[14:15], v[14:15], v[2:3]
	s_waitcnt lgkmcnt(0)
	v_mul_f64 v[10:11], v[4:5], v[10:11]
	v_addc_co_u32_e32 v9, vcc, v18, v9, vcc
	v_add_u32_e32 v0, s8, v0
	v_fma_f64 v[10:11], v[12:13], v[14:15], -v[10:11]
	v_cmp_le_i32_e32 vcc, s20, v0
	v_mul_f64 v[10:11], v[6:7], v[10:11]
	s_or_b64 s[4:5], vcc, s[4:5]
	global_store_dwordx2 v[8:9], v[10:11], off
	s_andn2_b64 exec, exec, s[4:5]
	s_cbranch_execz .LBB117_31
.LBB117_29:                             ; =>This Inner Loop Header: Depth=1
	v_ashrrev_i32_e32 v1, 31, v0
	v_lshlrev_b64 v[8:9], 3, v[0:1]
	v_add_co_u32_e32 v10, vcc, s21, v8
	v_addc_co_u32_e32 v11, vcc, v16, v9, vcc
	v_add_co_u32_e32 v12, vcc, s22, v8
	v_addc_co_u32_e32 v13, vcc, v17, v9, vcc
	global_load_dwordx2 v[10:11], v[10:11], off
	s_and_b64 vcc, exec, s[0:1]
	global_load_dwordx2 v[12:13], v[12:13], off
	s_cbranch_vccz .LBB117_27
; %bb.30:                               ;   in Loop: Header=BB117_29 Depth=1
	v_mov_b32_e32 v14, 0
	v_mov_b32_e32 v15, 0x3ff00000
	s_branch .LBB117_28
.LBB117_31:
	s_endpgm
.LBB117_32:
	v_lshl_add_u32 v2, v11, 3, 0
	ds_read_b64 v[2:3], v2
	s_or_b64 exec, exec, s[0:1]
	v_cmp_gt_u32_e32 vcc, 64, v0
	s_and_saveexec_b64 s[0:1], vcc
	s_cbranch_execz .LBB117_23
.LBB117_33:
	s_waitcnt lgkmcnt(0)
	ds_bpermute_b32 v4, v1, v2
	ds_bpermute_b32 v5, v1, v3
	s_waitcnt lgkmcnt(0)
	v_add_f64 v[2:3], v[2:3], v[4:5]
	ds_bpermute_b32 v4, v6, v2
	ds_bpermute_b32 v5, v6, v3
	s_waitcnt lgkmcnt(0)
	v_add_f64 v[2:3], v[2:3], v[4:5]
	;; [unrolled: 4-line block ×6, first 2 shown]
	s_or_b64 exec, exec, s[0:1]
	v_cmp_eq_u32_e32 vcc, 0, v0
	s_and_saveexec_b64 s[0:1], vcc
	s_cbranch_execnz .LBB117_24
	s_branch .LBB117_25
	.section	.rodata,"a",@progbits
	.p2align	6, 0x0
	.amdhsa_kernel _ZN2at6native12_GLOBAL__N_128layer_norm_grad_input_kernelIddLb1EEEvPKT_S5_PKT0_S8_S5_PS3_i
		.amdhsa_group_segment_fixed_size 0
		.amdhsa_private_segment_fixed_size 0
		.amdhsa_kernarg_size 312
		.amdhsa_user_sgpr_count 6
		.amdhsa_user_sgpr_private_segment_buffer 1
		.amdhsa_user_sgpr_dispatch_ptr 0
		.amdhsa_user_sgpr_queue_ptr 0
		.amdhsa_user_sgpr_kernarg_segment_ptr 1
		.amdhsa_user_sgpr_dispatch_id 0
		.amdhsa_user_sgpr_flat_scratch_init 0
		.amdhsa_user_sgpr_kernarg_preload_length 0
		.amdhsa_user_sgpr_kernarg_preload_offset 0
		.amdhsa_user_sgpr_private_segment_size 0
		.amdhsa_uses_dynamic_stack 0
		.amdhsa_system_sgpr_private_segment_wavefront_offset 0
		.amdhsa_system_sgpr_workgroup_id_x 1
		.amdhsa_system_sgpr_workgroup_id_y 0
		.amdhsa_system_sgpr_workgroup_id_z 0
		.amdhsa_system_sgpr_workgroup_info 0
		.amdhsa_system_vgpr_workitem_id 0
		.amdhsa_next_free_vgpr 36
		.amdhsa_next_free_sgpr 32
		.amdhsa_accum_offset 36
		.amdhsa_reserve_vcc 1
		.amdhsa_reserve_flat_scratch 0
		.amdhsa_float_round_mode_32 0
		.amdhsa_float_round_mode_16_64 0
		.amdhsa_float_denorm_mode_32 3
		.amdhsa_float_denorm_mode_16_64 3
		.amdhsa_dx10_clamp 1
		.amdhsa_ieee_mode 1
		.amdhsa_fp16_overflow 0
		.amdhsa_tg_split 0
		.amdhsa_exception_fp_ieee_invalid_op 0
		.amdhsa_exception_fp_denorm_src 0
		.amdhsa_exception_fp_ieee_div_zero 0
		.amdhsa_exception_fp_ieee_overflow 0
		.amdhsa_exception_fp_ieee_underflow 0
		.amdhsa_exception_fp_ieee_inexact 0
		.amdhsa_exception_int_div_zero 0
	.end_amdhsa_kernel
	.section	.text._ZN2at6native12_GLOBAL__N_128layer_norm_grad_input_kernelIddLb1EEEvPKT_S5_PKT0_S8_S5_PS3_i,"axG",@progbits,_ZN2at6native12_GLOBAL__N_128layer_norm_grad_input_kernelIddLb1EEEvPKT_S5_PKT0_S8_S5_PS3_i,comdat
.Lfunc_end117:
	.size	_ZN2at6native12_GLOBAL__N_128layer_norm_grad_input_kernelIddLb1EEEvPKT_S5_PKT0_S8_S5_PS3_i, .Lfunc_end117-_ZN2at6native12_GLOBAL__N_128layer_norm_grad_input_kernelIddLb1EEEvPKT_S5_PKT0_S8_S5_PS3_i
                                        ; -- End function
	.section	.AMDGPU.csdata,"",@progbits
; Kernel info:
; codeLenInByte = 1896
; NumSgprs: 36
; NumVgprs: 36
; NumAgprs: 0
; TotalNumVgprs: 36
; ScratchSize: 0
; MemoryBound: 0
; FloatMode: 240
; IeeeMode: 1
; LDSByteSize: 0 bytes/workgroup (compile time only)
; SGPRBlocks: 4
; VGPRBlocks: 4
; NumSGPRsForWavesPerEU: 36
; NumVGPRsForWavesPerEU: 36
; AccumOffset: 36
; Occupancy: 8
; WaveLimiterHint : 0
; COMPUTE_PGM_RSRC2:SCRATCH_EN: 0
; COMPUTE_PGM_RSRC2:USER_SGPR: 6
; COMPUTE_PGM_RSRC2:TRAP_HANDLER: 0
; COMPUTE_PGM_RSRC2:TGID_X_EN: 1
; COMPUTE_PGM_RSRC2:TGID_Y_EN: 0
; COMPUTE_PGM_RSRC2:TGID_Z_EN: 0
; COMPUTE_PGM_RSRC2:TIDIG_COMP_CNT: 0
; COMPUTE_PGM_RSRC3_GFX90A:ACCUM_OFFSET: 8
; COMPUTE_PGM_RSRC3_GFX90A:TG_SPLIT: 0
	.section	.text._ZN2at6native12_GLOBAL__N_133GammaBetaBackwardSimpleCUDAKernelIddLb1EEEvllPKT_S5_PKT0_S8_PS3_S9_,"axG",@progbits,_ZN2at6native12_GLOBAL__N_133GammaBetaBackwardSimpleCUDAKernelIddLb1EEEvllPKT_S5_PKT0_S8_PS3_S9_,comdat
	.globl	_ZN2at6native12_GLOBAL__N_133GammaBetaBackwardSimpleCUDAKernelIddLb1EEEvllPKT_S5_PKT0_S8_PS3_S9_ ; -- Begin function _ZN2at6native12_GLOBAL__N_133GammaBetaBackwardSimpleCUDAKernelIddLb1EEEvllPKT_S5_PKT0_S8_PS3_S9_
	.p2align	8
	.type	_ZN2at6native12_GLOBAL__N_133GammaBetaBackwardSimpleCUDAKernelIddLb1EEEvllPKT_S5_PKT0_S8_PS3_S9_,@function
_ZN2at6native12_GLOBAL__N_133GammaBetaBackwardSimpleCUDAKernelIddLb1EEEvllPKT_S5_PKT0_S8_PS3_S9_: ; @_ZN2at6native12_GLOBAL__N_133GammaBetaBackwardSimpleCUDAKernelIddLb1EEEvllPKT_S5_PKT0_S8_PS3_S9_
; %bb.0:
	s_load_dword s0, s[4:5], 0x4c
	s_load_dwordx8 s[8:15], s[4:5], 0x0
	v_mov_b32_e32 v1, 0
	v_mov_b32_e32 v2, s6
	s_waitcnt lgkmcnt(0)
	s_and_b32 s0, s0, 0xffff
	v_mad_u64_u32 v[0:1], s[0:1], s0, v2, v[0:1]
	v_cmp_gt_i64_e32 vcc, s[10:11], v[0:1]
	s_and_saveexec_b64 s[0:1], vcc
	s_cbranch_execz .LBB118_9
; %bb.1:
	s_load_dwordx4 s[4:7], s[4:5], 0x28
	v_cmp_lt_i64_e64 s[0:1], s[8:9], 1
	s_and_b64 vcc, exec, s[0:1]
	v_lshlrev_b64 v[0:1], 3, v[0:1]
	s_cbranch_vccnz .LBB118_6
; %bb.2:
	s_waitcnt lgkmcnt(0)
	s_cmp_lg_u64 s[6:7], 0
	s_cselect_b64 s[0:1], -1, 0
	s_lshl_b64 s[2:3], s[10:11], 3
	v_pk_mov_b32 v[4:5], 0, 0
	v_cndmask_b32_e64 v2, 0, 1, s[0:1]
	v_cmp_ne_u32_e64 s[0:1], 1, v2
	v_mov_b32_e32 v10, s3
	v_pk_mov_b32 v[6:7], v[0:1], v[0:1] op_sel:[0,1]
	v_pk_mov_b32 v[2:3], v[4:5], v[4:5] op_sel:[0,1]
	s_branch .LBB118_4
.LBB118_3:                              ;   in Loop: Header=BB118_4 Depth=1
	s_add_u32 s8, s8, -1
	s_addc_u32 s9, s9, -1
	s_add_u32 s4, s4, 8
	s_addc_u32 s5, s5, 0
	v_add_co_u32_e32 v6, vcc, s2, v6
	v_add_f64 v[2:3], v[2:3], v[8:9]
	s_cmp_eq_u64 s[8:9], 0
	v_addc_co_u32_e32 v7, vcc, v7, v10, vcc
	s_cbranch_scc1 .LBB118_7
.LBB118_4:                              ; =>This Inner Loop Header: Depth=1
	s_and_b64 vcc, exec, s[0:1]
	v_pk_mov_b32 v[8:9], v[4:5], v[4:5] op_sel:[0,1]
	s_cbranch_vccnz .LBB118_3
; %bb.5:                                ;   in Loop: Header=BB118_4 Depth=1
	v_mov_b32_e32 v9, s13
	v_add_co_u32_e32 v8, vcc, s12, v6
	v_addc_co_u32_e32 v9, vcc, v9, v7, vcc
	v_mov_b32_e32 v11, s15
	v_add_co_u32_e32 v12, vcc, s14, v6
	v_addc_co_u32_e32 v13, vcc, v11, v7, vcc
	global_load_dwordx2 v[8:9], v[8:9], off
	s_load_dwordx2 s[10:11], s[4:5], 0x0
	global_load_dwordx2 v[12:13], v[12:13], off
	s_waitcnt vmcnt(0)
	v_mul_f64 v[8:9], v[8:9], v[12:13]
	s_waitcnt lgkmcnt(0)
	v_mul_f64 v[8:9], v[8:9], s[10:11]
	s_branch .LBB118_3
.LBB118_6:
	v_pk_mov_b32 v[2:3], 0, 0
.LBB118_7:
	s_waitcnt lgkmcnt(0)
	s_cmp_lg_u64 s[6:7], 0
	s_cbranch_scc0 .LBB118_9
; %bb.8:
	v_mov_b32_e32 v4, s7
	v_add_co_u32_e32 v0, vcc, s6, v0
	v_addc_co_u32_e32 v1, vcc, v4, v1, vcc
	global_store_dwordx2 v[0:1], v[2:3], off
.LBB118_9:
	s_endpgm
	.section	.rodata,"a",@progbits
	.p2align	6, 0x0
	.amdhsa_kernel _ZN2at6native12_GLOBAL__N_133GammaBetaBackwardSimpleCUDAKernelIddLb1EEEvllPKT_S5_PKT0_S8_PS3_S9_
		.amdhsa_group_segment_fixed_size 0
		.amdhsa_private_segment_fixed_size 0
		.amdhsa_kernarg_size 320
		.amdhsa_user_sgpr_count 6
		.amdhsa_user_sgpr_private_segment_buffer 1
		.amdhsa_user_sgpr_dispatch_ptr 0
		.amdhsa_user_sgpr_queue_ptr 0
		.amdhsa_user_sgpr_kernarg_segment_ptr 1
		.amdhsa_user_sgpr_dispatch_id 0
		.amdhsa_user_sgpr_flat_scratch_init 0
		.amdhsa_user_sgpr_kernarg_preload_length 0
		.amdhsa_user_sgpr_kernarg_preload_offset 0
		.amdhsa_user_sgpr_private_segment_size 0
		.amdhsa_uses_dynamic_stack 0
		.amdhsa_system_sgpr_private_segment_wavefront_offset 0
		.amdhsa_system_sgpr_workgroup_id_x 1
		.amdhsa_system_sgpr_workgroup_id_y 0
		.amdhsa_system_sgpr_workgroup_id_z 0
		.amdhsa_system_sgpr_workgroup_info 0
		.amdhsa_system_vgpr_workitem_id 0
		.amdhsa_next_free_vgpr 14
		.amdhsa_next_free_sgpr 16
		.amdhsa_accum_offset 16
		.amdhsa_reserve_vcc 1
		.amdhsa_reserve_flat_scratch 0
		.amdhsa_float_round_mode_32 0
		.amdhsa_float_round_mode_16_64 0
		.amdhsa_float_denorm_mode_32 3
		.amdhsa_float_denorm_mode_16_64 3
		.amdhsa_dx10_clamp 1
		.amdhsa_ieee_mode 1
		.amdhsa_fp16_overflow 0
		.amdhsa_tg_split 0
		.amdhsa_exception_fp_ieee_invalid_op 0
		.amdhsa_exception_fp_denorm_src 0
		.amdhsa_exception_fp_ieee_div_zero 0
		.amdhsa_exception_fp_ieee_overflow 0
		.amdhsa_exception_fp_ieee_underflow 0
		.amdhsa_exception_fp_ieee_inexact 0
		.amdhsa_exception_int_div_zero 0
	.end_amdhsa_kernel
	.section	.text._ZN2at6native12_GLOBAL__N_133GammaBetaBackwardSimpleCUDAKernelIddLb1EEEvllPKT_S5_PKT0_S8_PS3_S9_,"axG",@progbits,_ZN2at6native12_GLOBAL__N_133GammaBetaBackwardSimpleCUDAKernelIddLb1EEEvllPKT_S5_PKT0_S8_PS3_S9_,comdat
.Lfunc_end118:
	.size	_ZN2at6native12_GLOBAL__N_133GammaBetaBackwardSimpleCUDAKernelIddLb1EEEvllPKT_S5_PKT0_S8_PS3_S9_, .Lfunc_end118-_ZN2at6native12_GLOBAL__N_133GammaBetaBackwardSimpleCUDAKernelIddLb1EEEvllPKT_S5_PKT0_S8_PS3_S9_
                                        ; -- End function
	.section	.AMDGPU.csdata,"",@progbits
; Kernel info:
; codeLenInByte = 328
; NumSgprs: 20
; NumVgprs: 14
; NumAgprs: 0
; TotalNumVgprs: 14
; ScratchSize: 0
; MemoryBound: 1
; FloatMode: 240
; IeeeMode: 1
; LDSByteSize: 0 bytes/workgroup (compile time only)
; SGPRBlocks: 2
; VGPRBlocks: 1
; NumSGPRsForWavesPerEU: 20
; NumVGPRsForWavesPerEU: 14
; AccumOffset: 16
; Occupancy: 8
; WaveLimiterHint : 0
; COMPUTE_PGM_RSRC2:SCRATCH_EN: 0
; COMPUTE_PGM_RSRC2:USER_SGPR: 6
; COMPUTE_PGM_RSRC2:TRAP_HANDLER: 0
; COMPUTE_PGM_RSRC2:TGID_X_EN: 1
; COMPUTE_PGM_RSRC2:TGID_Y_EN: 0
; COMPUTE_PGM_RSRC2:TGID_Z_EN: 0
; COMPUTE_PGM_RSRC2:TIDIG_COMP_CNT: 0
; COMPUTE_PGM_RSRC3_GFX90A:ACCUM_OFFSET: 3
; COMPUTE_PGM_RSRC3_GFX90A:TG_SPLIT: 0
	.section	.text._ZN2at6native12_GLOBAL__N_135GammaBetaBackwardCUDAKernelTemplateIddLj64ELj1ELj32ELb1ELb1ELb1EEEvllPKT_S5_PKT0_S8_PS3_S9_,"axG",@progbits,_ZN2at6native12_GLOBAL__N_135GammaBetaBackwardCUDAKernelTemplateIddLj64ELj1ELj32ELb1ELb1ELb1EEEvllPKT_S5_PKT0_S8_PS3_S9_,comdat
	.globl	_ZN2at6native12_GLOBAL__N_135GammaBetaBackwardCUDAKernelTemplateIddLj64ELj1ELj32ELb1ELb1ELb1EEEvllPKT_S5_PKT0_S8_PS3_S9_ ; -- Begin function _ZN2at6native12_GLOBAL__N_135GammaBetaBackwardCUDAKernelTemplateIddLj64ELj1ELj32ELb1ELb1ELb1EEEvllPKT_S5_PKT0_S8_PS3_S9_
	.p2align	8
	.type	_ZN2at6native12_GLOBAL__N_135GammaBetaBackwardCUDAKernelTemplateIddLj64ELj1ELj32ELb1ELb1ELb1EEEvllPKT_S5_PKT0_S8_PS3_S9_,@function
_ZN2at6native12_GLOBAL__N_135GammaBetaBackwardCUDAKernelTemplateIddLj64ELj1ELj32ELb1ELb1ELb1EEEvllPKT_S5_PKT0_S8_PS3_S9_: ; @_ZN2at6native12_GLOBAL__N_135GammaBetaBackwardCUDAKernelTemplateIddLj64ELj1ELj32ELb1ELb1ELb1EEEvllPKT_S5_PKT0_S8_PS3_S9_
; %bb.0:
	s_load_dwordx4 s[8:11], s[4:5], 0x0
	s_load_dwordx2 s[16:17], s[4:5], 0x30
	s_lshl_b32 s18, s7, 5
	s_mov_b32 s19, 0
	s_mov_b32 s2, s7
	s_waitcnt lgkmcnt(0)
	v_pk_mov_b32 v[2:3], s[8:9], s[8:9] op_sel:[0,1]
	v_cmp_ge_i64_e32 vcc, s[18:19], v[2:3]
	v_pk_mov_b32 v[4:5], 0, 0
	v_bfe_u32 v2, v0, 10, 10
	s_cbranch_vccnz .LBB119_7
; %bb.1:
	s_load_dword s0, s[4:5], 0x4c
	s_load_dword s3, s[4:5], 0x44
	s_load_dwordx4 s[12:15], s[4:5], 0x10
	s_load_dwordx2 s[22:23], s[4:5], 0x28
	v_and_b32_e32 v1, 0x3ff, v0
	s_waitcnt lgkmcnt(0)
	s_and_b32 s0, s0, 0xffff
	v_mad_u32_u24 v3, v2, s0, v1
	v_lshl_or_b32 v4, s6, 6, v1
	v_mbcnt_lo_u32_b32 v1, -1, 0
	v_mbcnt_hi_u32_b32 v1, -1, v1
	v_lshlrev_b32_e32 v7, 5, v2
	v_lshlrev_b32_e32 v1, 2, v1
	v_and_b32_e32 v6, 63, v3
	v_and_b32_e32 v3, 0x100, v1
	v_mov_b32_e32 v1, s19
	v_add_co_u32_e32 v10, vcc, s18, v7
	v_addc_co_u32_e32 v1, vcc, 0, v1, vcc
	v_cmp_gt_u32_e64 s[0:1], 32, v6
	v_add_co_u32_e32 v6, vcc, v10, v6
	v_addc_co_u32_e32 v7, vcc, 0, v1, vcc
	v_lshlrev_b64 v[8:9], 3, v[6:7]
	v_mov_b32_e32 v12, s23
	v_add_co_u32_e32 v8, vcc, s22, v8
	v_addc_co_u32_e32 v9, vcc, v12, v9, vcc
	v_mul_lo_u32 v14, s11, v10
	v_mul_lo_u32 v1, s10, v1
	v_mad_u64_u32 v[12:13], s[24:25], s10, v10, 0
	v_mov_b32_e32 v5, 0
	v_add3_u32 v13, v13, v1, v14
	s_lshl_b32 s20, s3, 5
	v_lshlrev_b64 v[12:13], 3, v[12:13]
	v_lshlrev_b64 v[4:5], 3, v[4:5]
	v_add_co_u32_e32 v10, vcc, v12, v4
	s_mul_i32 s3, s11, s20
	s_mul_hi_u32 s7, s10, s20
	s_mov_b32 s21, s19
	v_addc_co_u32_e32 v1, vcc, v13, v5, vcc
	s_add_i32 s25, s7, s3
	s_mul_i32 s24, s10, s20
	v_pk_mov_b32 v[12:13], 0, 0
	v_or_b32_e32 v11, 4, v3
	v_or_b32_e32 v28, 8, v3
	;; [unrolled: 1-line block ×31, first 2 shown]
	s_lshl_b64 s[22:23], s[20:21], 3
	s_lshl_b64 s[24:25], s[24:25], 3
	;; [unrolled: 1-line block ×3, first 2 shown]
	v_pk_mov_b32 v[4:5], v[12:13], v[12:13] op_sel:[0,1]
	s_branch .LBB119_4
.LBB119_2:                              ;   in Loop: Header=BB119_4 Depth=1
	s_or_b64 exec, exec, s[30:31]
.LBB119_3:                              ;   in Loop: Header=BB119_4 Depth=1
	s_or_b64 exec, exec, s[28:29]
	v_mov_b32_e32 v16, s13
	v_add_co_u32_e32 v18, vcc, s12, v10
	v_addc_co_u32_e32 v19, vcc, v16, v1, vcc
	v_mov_b32_e32 v21, s15
	v_add_co_u32_e32 v20, vcc, s14, v10
	v_addc_co_u32_e32 v21, vcc, v21, v1, vcc
	global_load_dwordx2 v[16:17], v[18:19], off
	global_load_dwordx2 v[22:23], v[20:21], off
	v_mov_b32_e32 v58, s27
	v_add_co_u32_e32 v24, vcc, s26, v18
	v_addc_co_u32_e32 v25, vcc, v19, v58, vcc
	v_add_co_u32_e32 v26, vcc, s26, v20
	v_addc_co_u32_e32 v27, vcc, v21, v58, vcc
	global_load_dwordx2 v[18:19], v[24:25], off
	global_load_dwordx2 v[20:21], v[26:27], off
	s_waitcnt vmcnt(4)
	ds_bpermute_b32 v60, v3, v14
	ds_bpermute_b32 v61, v3, v15
	v_add_co_u32_e32 v24, vcc, s26, v24
	v_addc_co_u32_e32 v25, vcc, v25, v58, vcc
	v_add_co_u32_e32 v26, vcc, s26, v26
	v_addc_co_u32_e32 v27, vcc, v27, v58, vcc
	s_add_u32 s18, s18, s20
	s_addc_u32 s19, s19, 0
	s_waitcnt vmcnt(2)
	v_mul_f64 v[16:17], v[16:17], v[22:23]
	global_load_dwordx2 v[22:23], v[24:25], off
	s_waitcnt lgkmcnt(0)
	v_fmac_f64_e32 v[4:5], v[16:17], v[60:61]
	global_load_dwordx2 v[16:17], v[26:27], off
	ds_bpermute_b32 v60, v11, v14
	ds_bpermute_b32 v61, v11, v15
	v_add_co_u32_e32 v24, vcc, s26, v24
	v_addc_co_u32_e32 v25, vcc, v25, v58, vcc
	v_add_co_u32_e32 v26, vcc, s26, v26
	v_addc_co_u32_e32 v27, vcc, v27, v58, vcc
	s_waitcnt vmcnt(2)
	v_mul_f64 v[18:19], v[18:19], v[20:21]
	global_load_dwordx2 v[20:21], v[24:25], off
	s_waitcnt lgkmcnt(0)
	v_fmac_f64_e32 v[4:5], v[18:19], v[60:61]
	global_load_dwordx2 v[18:19], v[26:27], off
	ds_bpermute_b32 v60, v28, v14
	ds_bpermute_b32 v61, v28, v15
	v_add_co_u32_e32 v24, vcc, s26, v24
	v_addc_co_u32_e32 v25, vcc, v25, v58, vcc
	v_add_co_u32_e32 v26, vcc, s26, v26
	v_addc_co_u32_e32 v27, vcc, v27, v58, vcc
	;; [unrolled: 12-line block ×24, first 2 shown]
	s_waitcnt vmcnt(2)
	v_mul_f64 v[16:17], v[22:23], v[16:17]
	s_waitcnt lgkmcnt(0)
	v_fmac_f64_e32 v[4:5], v[16:17], v[60:61]
	ds_bpermute_b32 v60, v51, v14
	ds_bpermute_b32 v61, v51, v15
	global_load_dwordx2 v[22:23], v[24:25], off
	global_load_dwordx2 v[16:17], v[26:27], off
	v_add_co_u32_e32 v24, vcc, s26, v24
	v_addc_co_u32_e32 v25, vcc, v25, v58, vcc
	v_add_co_u32_e32 v26, vcc, s26, v26
	v_addc_co_u32_e32 v27, vcc, v27, v58, vcc
	s_waitcnt vmcnt(2)
	v_mul_f64 v[18:19], v[20:21], v[18:19]
	global_load_dwordx2 v[20:21], v[24:25], off
	s_waitcnt lgkmcnt(0)
	v_fmac_f64_e32 v[4:5], v[18:19], v[60:61]
	global_load_dwordx2 v[18:19], v[26:27], off
	v_add_co_u32_e32 v24, vcc, s26, v24
	ds_bpermute_b32 v60, v52, v14
	ds_bpermute_b32 v61, v52, v15
	v_addc_co_u32_e32 v25, vcc, v25, v58, vcc
	v_add_co_u32_e32 v26, vcc, s26, v26
	v_addc_co_u32_e32 v27, vcc, v27, v58, vcc
	s_waitcnt vmcnt(2)
	v_mul_f64 v[16:17], v[22:23], v[16:17]
	v_add_co_u32_e32 v22, vcc, s26, v24
	v_addc_co_u32_e32 v23, vcc, v25, v58, vcc
	s_waitcnt lgkmcnt(0)
	v_fmac_f64_e32 v[4:5], v[16:17], v[60:61]
	ds_bpermute_b32 v60, v53, v14
	ds_bpermute_b32 v61, v53, v15
	v_add_co_u32_e32 v16, vcc, s26, v26
	v_addc_co_u32_e32 v17, vcc, v27, v58, vcc
	s_waitcnt vmcnt(0)
	v_mul_f64 v[18:19], v[20:21], v[18:19]
	v_add_co_u32_e32 v20, vcc, s26, v22
	v_addc_co_u32_e32 v21, vcc, v23, v58, vcc
	s_waitcnt lgkmcnt(0)
	v_fmac_f64_e32 v[4:5], v[18:19], v[60:61]
	v_add_co_u32_e32 v18, vcc, s26, v16
	v_addc_co_u32_e32 v19, vcc, v17, v58, vcc
	v_add_co_u32_e32 v60, vcc, s26, v20
	v_addc_co_u32_e32 v61, vcc, v21, v58, vcc
	;; [unrolled: 2-line block ×3, first 2 shown]
	global_load_dwordx2 v[24:25], v[24:25], off
	s_nop 0
	global_load_dwordx2 v[26:27], v[26:27], off
	s_nop 0
	;; [unrolled: 2-line block ×7, first 2 shown]
	global_load_dwordx2 v[60:61], v[62:63], off
	v_add_co_u32_e32 v8, vcc, s22, v8
	s_waitcnt vmcnt(6)
	v_mul_f64 v[24:25], v[24:25], v[26:27]
	ds_bpermute_b32 v26, v54, v14
	ds_bpermute_b32 v27, v54, v15
	s_waitcnt vmcnt(4)
	v_mul_f64 v[16:17], v[22:23], v[16:17]
	ds_bpermute_b32 v22, v56, v14
	ds_bpermute_b32 v23, v56, v15
	s_waitcnt lgkmcnt(2)
	v_fmac_f64_e32 v[4:5], v[24:25], v[26:27]
	ds_bpermute_b32 v24, v55, v14
	ds_bpermute_b32 v25, v55, v15
	;; [unrolled: 1-line block ×4, first 2 shown]
	s_waitcnt lgkmcnt(2)
	v_fmac_f64_e32 v[4:5], v[16:17], v[24:25]
	s_waitcnt vmcnt(2)
	v_mul_f64 v[16:17], v[20:21], v[18:19]
	v_fmac_f64_e32 v[4:5], v[16:17], v[22:23]
	s_waitcnt vmcnt(0)
	v_mul_f64 v[16:17], v[58:59], v[60:61]
	s_waitcnt lgkmcnt(0)
	v_fmac_f64_e32 v[4:5], v[16:17], v[14:15]
	v_mov_b32_e32 v14, s23
	v_addc_co_u32_e32 v9, vcc, v9, v14, vcc
	v_mov_b32_e32 v14, s21
	v_add_co_u32_e32 v6, vcc, s20, v6
	v_addc_co_u32_e32 v7, vcc, v7, v14, vcc
	v_mov_b32_e32 v14, s25
	v_add_co_u32_e32 v10, vcc, s24, v10
	v_addc_co_u32_e32 v1, vcc, v1, v14, vcc
	v_pk_mov_b32 v[14:15], s[8:9], s[8:9] op_sel:[0,1]
	v_cmp_lt_i64_e32 vcc, s[18:19], v[14:15]
	s_cbranch_vccz .LBB119_7
.LBB119_4:                              ; =>This Inner Loop Header: Depth=1
	v_pk_mov_b32 v[14:15], v[12:13], v[12:13] op_sel:[0,1]
	s_and_saveexec_b64 s[28:29], s[0:1]
	s_cbranch_execz .LBB119_3
; %bb.5:                                ;   in Loop: Header=BB119_4 Depth=1
	v_cmp_gt_i64_e32 vcc, s[8:9], v[6:7]
	v_pk_mov_b32 v[14:15], 0, 0
	s_and_saveexec_b64 s[30:31], vcc
	s_cbranch_execz .LBB119_2
; %bb.6:                                ;   in Loop: Header=BB119_4 Depth=1
	global_load_dwordx2 v[14:15], v[8:9], off
	s_branch .LBB119_2
.LBB119_7:
	s_cmp_eq_u64 s[16:17], 0
	s_cbranch_scc1 .LBB119_9
; %bb.8:
	s_load_dword s0, s[4:5], 0x4c
	v_mov_b32_e32 v3, 0
	v_mov_b32_e32 v1, s2
	s_mov_b32 s7, 0
	v_and_b32_e32 v0, 0x3ff, v0
	s_waitcnt lgkmcnt(0)
	s_lshr_b32 s0, s0, 16
	v_mad_u64_u32 v[2:3], s[0:1], s0, v1, v[2:3]
	v_mul_lo_u32 v1, v3, s10
	v_mul_lo_u32 v6, v2, s11
	v_mad_u64_u32 v[2:3], s[0:1], v2, s10, 0
	s_lshl_b64 s[0:1], s[6:7], 9
	v_add3_u32 v3, v3, v6, v1
	s_add_u32 s0, s0, s16
	v_lshlrev_b64 v[2:3], 3, v[2:3]
	s_addc_u32 s1, s1, s17
	v_mov_b32_e32 v1, s1
	v_add_co_u32_e32 v2, vcc, s0, v2
	v_addc_co_u32_e32 v1, vcc, v1, v3, vcc
	v_lshlrev_b32_e32 v0, 3, v0
	v_add_co_u32_e32 v0, vcc, v2, v0
	v_addc_co_u32_e32 v1, vcc, 0, v1, vcc
	global_store_dwordx2 v[0:1], v[4:5], off
.LBB119_9:
	s_endpgm
	.section	.rodata,"a",@progbits
	.p2align	6, 0x0
	.amdhsa_kernel _ZN2at6native12_GLOBAL__N_135GammaBetaBackwardCUDAKernelTemplateIddLj64ELj1ELj32ELb1ELb1ELb1EEEvllPKT_S5_PKT0_S8_PS3_S9_
		.amdhsa_group_segment_fixed_size 0
		.amdhsa_private_segment_fixed_size 0
		.amdhsa_kernarg_size 320
		.amdhsa_user_sgpr_count 6
		.amdhsa_user_sgpr_private_segment_buffer 1
		.amdhsa_user_sgpr_dispatch_ptr 0
		.amdhsa_user_sgpr_queue_ptr 0
		.amdhsa_user_sgpr_kernarg_segment_ptr 1
		.amdhsa_user_sgpr_dispatch_id 0
		.amdhsa_user_sgpr_flat_scratch_init 0
		.amdhsa_user_sgpr_kernarg_preload_length 0
		.amdhsa_user_sgpr_kernarg_preload_offset 0
		.amdhsa_user_sgpr_private_segment_size 0
		.amdhsa_uses_dynamic_stack 0
		.amdhsa_system_sgpr_private_segment_wavefront_offset 0
		.amdhsa_system_sgpr_workgroup_id_x 1
		.amdhsa_system_sgpr_workgroup_id_y 1
		.amdhsa_system_sgpr_workgroup_id_z 0
		.amdhsa_system_sgpr_workgroup_info 0
		.amdhsa_system_vgpr_workitem_id 1
		.amdhsa_next_free_vgpr 64
		.amdhsa_next_free_sgpr 32
		.amdhsa_accum_offset 64
		.amdhsa_reserve_vcc 1
		.amdhsa_reserve_flat_scratch 0
		.amdhsa_float_round_mode_32 0
		.amdhsa_float_round_mode_16_64 0
		.amdhsa_float_denorm_mode_32 3
		.amdhsa_float_denorm_mode_16_64 3
		.amdhsa_dx10_clamp 1
		.amdhsa_ieee_mode 1
		.amdhsa_fp16_overflow 0
		.amdhsa_tg_split 0
		.amdhsa_exception_fp_ieee_invalid_op 0
		.amdhsa_exception_fp_denorm_src 0
		.amdhsa_exception_fp_ieee_div_zero 0
		.amdhsa_exception_fp_ieee_overflow 0
		.amdhsa_exception_fp_ieee_underflow 0
		.amdhsa_exception_fp_ieee_inexact 0
		.amdhsa_exception_int_div_zero 0
	.end_amdhsa_kernel
	.section	.text._ZN2at6native12_GLOBAL__N_135GammaBetaBackwardCUDAKernelTemplateIddLj64ELj1ELj32ELb1ELb1ELb1EEEvllPKT_S5_PKT0_S8_PS3_S9_,"axG",@progbits,_ZN2at6native12_GLOBAL__N_135GammaBetaBackwardCUDAKernelTemplateIddLj64ELj1ELj32ELb1ELb1ELb1EEEvllPKT_S5_PKT0_S8_PS3_S9_,comdat
.Lfunc_end119:
	.size	_ZN2at6native12_GLOBAL__N_135GammaBetaBackwardCUDAKernelTemplateIddLj64ELj1ELj32ELb1ELb1ELb1EEEvllPKT_S5_PKT0_S8_PS3_S9_, .Lfunc_end119-_ZN2at6native12_GLOBAL__N_135GammaBetaBackwardCUDAKernelTemplateIddLj64ELj1ELj32ELb1ELb1ELb1EEEvllPKT_S5_PKT0_S8_PS3_S9_
                                        ; -- End function
	.section	.AMDGPU.csdata,"",@progbits
; Kernel info:
; codeLenInByte = 2988
; NumSgprs: 36
; NumVgprs: 64
; NumAgprs: 0
; TotalNumVgprs: 64
; ScratchSize: 0
; MemoryBound: 0
; FloatMode: 240
; IeeeMode: 1
; LDSByteSize: 0 bytes/workgroup (compile time only)
; SGPRBlocks: 4
; VGPRBlocks: 7
; NumSGPRsForWavesPerEU: 36
; NumVGPRsForWavesPerEU: 64
; AccumOffset: 64
; Occupancy: 8
; WaveLimiterHint : 0
; COMPUTE_PGM_RSRC2:SCRATCH_EN: 0
; COMPUTE_PGM_RSRC2:USER_SGPR: 6
; COMPUTE_PGM_RSRC2:TRAP_HANDLER: 0
; COMPUTE_PGM_RSRC2:TGID_X_EN: 1
; COMPUTE_PGM_RSRC2:TGID_Y_EN: 1
; COMPUTE_PGM_RSRC2:TGID_Z_EN: 0
; COMPUTE_PGM_RSRC2:TIDIG_COMP_CNT: 1
; COMPUTE_PGM_RSRC3_GFX90A:ACCUM_OFFSET: 15
; COMPUTE_PGM_RSRC3_GFX90A:TG_SPLIT: 0
	.section	.text._ZN2at6native12_GLOBAL__N_135GammaBetaBackwardCUDAKernelTemplateIddLj64ELj1ELj32ELb1ELb0ELb1EEEvllPKT_S5_PKT0_S8_PS3_S9_,"axG",@progbits,_ZN2at6native12_GLOBAL__N_135GammaBetaBackwardCUDAKernelTemplateIddLj64ELj1ELj32ELb1ELb0ELb1EEEvllPKT_S5_PKT0_S8_PS3_S9_,comdat
	.globl	_ZN2at6native12_GLOBAL__N_135GammaBetaBackwardCUDAKernelTemplateIddLj64ELj1ELj32ELb1ELb0ELb1EEEvllPKT_S5_PKT0_S8_PS3_S9_ ; -- Begin function _ZN2at6native12_GLOBAL__N_135GammaBetaBackwardCUDAKernelTemplateIddLj64ELj1ELj32ELb1ELb0ELb1EEEvllPKT_S5_PKT0_S8_PS3_S9_
	.p2align	8
	.type	_ZN2at6native12_GLOBAL__N_135GammaBetaBackwardCUDAKernelTemplateIddLj64ELj1ELj32ELb1ELb0ELb1EEEvllPKT_S5_PKT0_S8_PS3_S9_,@function
_ZN2at6native12_GLOBAL__N_135GammaBetaBackwardCUDAKernelTemplateIddLj64ELj1ELj32ELb1ELb0ELb1EEEvllPKT_S5_PKT0_S8_PS3_S9_: ; @_ZN2at6native12_GLOBAL__N_135GammaBetaBackwardCUDAKernelTemplateIddLj64ELj1ELj32ELb1ELb0ELb1EEEvllPKT_S5_PKT0_S8_PS3_S9_
; %bb.0:
	s_load_dwordx8 s[12:19], s[4:5], 0x0
	s_load_dwordx2 s[20:21], s[4:5], 0x28
	s_mov_b32 s8, s7
	s_lshl_b32 s7, s6, 6
	v_mov_b32_e32 v132, v0
	s_or_b32 s22, s7, 63
	s_mov_b32 s23, 0
	s_waitcnt lgkmcnt(0)
	v_pk_mov_b32 v[0:1], s[14:15], s[14:15] op_sel:[0,1]
	v_cmp_ge_i64_e32 vcc, s[22:23], v[0:1]
	s_lshl_b32 s22, s8, 5
	v_pk_mov_b32 v[0:1], s[12:13], s[12:13] op_sel:[0,1]
	v_cmp_lt_i64_e64 s[0:1], s[22:23], v[0:1]
	v_cndmask_b32_e64 v0, 0, 1, s[0:1]
	v_cmp_ne_u32_e64 s[0:1], 1, v0
	s_cbranch_vccz .LBB120_145
; %bb.1:
	s_and_b64 vcc, exec, s[0:1]
	v_pk_mov_b32 v[134:135], 0, 0
	s_cbranch_vccnz .LBB120_147
; %bb.2:
	v_bfe_u32 v0, v132, 10, 10
	v_lshlrev_b32_e32 v2, 5, v0
	v_accvgpr_write_b32 a1, v0
	v_mov_b32_e32 v1, s23
	v_add_co_u32_e32 v0, vcc, s22, v2
	v_addc_co_u32_e32 v121, vcc, 0, v1, vcc
	v_add_co_u32_e32 v1, vcc, 31, v0
	v_addc_co_u32_e32 v3, vcc, 0, v121, vcc
	v_mul_lo_u32 v6, s15, v1
	v_mul_lo_u32 v3, s14, v3
	v_mad_u64_u32 v[4:5], s[2:3], s14, v1, 0
	v_add3_u32 v5, v5, v3, v6
	v_lshlrev_b64 v[6:7], 3, v[4:5]
	v_mov_b32_e32 v125, s17
	v_add_co_u32_e32 v4, vcc, s16, v6
	v_addc_co_u32_e32 v1, vcc, v125, v7, vcc
	v_mov_b32_e32 v127, s19
	v_add_co_u32_e32 v6, vcc, s18, v6
	v_addc_co_u32_e32 v3, vcc, v127, v7, vcc
	v_add_co_u32_e32 v5, vcc, 30, v0
	v_addc_co_u32_e32 v7, vcc, 0, v121, vcc
	v_mul_lo_u32 v10, s15, v5
	v_mul_lo_u32 v7, s14, v7
	v_mad_u64_u32 v[8:9], s[2:3], s14, v5, 0
	v_add3_u32 v9, v9, v7, v10
	v_lshlrev_b64 v[10:11], 3, v[8:9]
	v_add_co_u32_e32 v8, vcc, s16, v10
	v_addc_co_u32_e32 v5, vcc, v125, v11, vcc
	v_add_co_u32_e32 v10, vcc, s18, v10
	v_addc_co_u32_e32 v7, vcc, v127, v11, vcc
	v_add_co_u32_e32 v9, vcc, 29, v0
	v_addc_co_u32_e32 v11, vcc, 0, v121, vcc
	v_mul_lo_u32 v14, s15, v9
	v_mul_lo_u32 v11, s14, v11
	v_mad_u64_u32 v[12:13], s[2:3], s14, v9, 0
	v_add3_u32 v13, v13, v11, v14
	v_lshlrev_b64 v[14:15], 3, v[12:13]
	v_add_co_u32_e32 v12, vcc, s16, v14
	v_addc_co_u32_e32 v9, vcc, v125, v15, vcc
	v_add_co_u32_e32 v14, vcc, s18, v14
	v_addc_co_u32_e32 v11, vcc, v127, v15, vcc
	v_add_co_u32_e32 v13, vcc, 28, v0
	v_addc_co_u32_e32 v15, vcc, 0, v121, vcc
	v_mul_lo_u32 v18, s15, v13
	v_mul_lo_u32 v15, s14, v15
	v_mad_u64_u32 v[16:17], s[2:3], s14, v13, 0
	v_add3_u32 v17, v17, v15, v18
	v_lshlrev_b64 v[18:19], 3, v[16:17]
	v_add_co_u32_e32 v16, vcc, s16, v18
	v_addc_co_u32_e32 v13, vcc, v125, v19, vcc
	v_add_co_u32_e32 v18, vcc, s18, v18
	v_addc_co_u32_e32 v15, vcc, v127, v19, vcc
	v_add_co_u32_e32 v17, vcc, 27, v0
	v_addc_co_u32_e32 v19, vcc, 0, v121, vcc
	v_mul_lo_u32 v22, s15, v17
	v_mul_lo_u32 v19, s14, v19
	v_mad_u64_u32 v[20:21], s[2:3], s14, v17, 0
	v_add3_u32 v21, v21, v19, v22
	v_lshlrev_b64 v[22:23], 3, v[20:21]
	v_add_co_u32_e32 v20, vcc, s16, v22
	v_addc_co_u32_e32 v17, vcc, v125, v23, vcc
	v_add_co_u32_e32 v22, vcc, s18, v22
	v_addc_co_u32_e32 v19, vcc, v127, v23, vcc
	v_add_co_u32_e32 v21, vcc, 26, v0
	v_addc_co_u32_e32 v23, vcc, 0, v121, vcc
	v_mul_lo_u32 v26, s15, v21
	v_mul_lo_u32 v23, s14, v23
	v_mad_u64_u32 v[24:25], s[2:3], s14, v21, 0
	v_add3_u32 v25, v25, v23, v26
	v_lshlrev_b64 v[26:27], 3, v[24:25]
	v_add_co_u32_e32 v24, vcc, s16, v26
	v_addc_co_u32_e32 v21, vcc, v125, v27, vcc
	v_add_co_u32_e32 v26, vcc, s18, v26
	v_addc_co_u32_e32 v23, vcc, v127, v27, vcc
	v_add_co_u32_e32 v25, vcc, 25, v0
	v_addc_co_u32_e32 v27, vcc, 0, v121, vcc
	v_mul_lo_u32 v30, s15, v25
	v_mul_lo_u32 v27, s14, v27
	v_mad_u64_u32 v[28:29], s[2:3], s14, v25, 0
	v_add3_u32 v29, v29, v27, v30
	v_lshlrev_b64 v[30:31], 3, v[28:29]
	v_add_co_u32_e32 v28, vcc, s16, v30
	v_addc_co_u32_e32 v25, vcc, v125, v31, vcc
	v_add_co_u32_e32 v30, vcc, s18, v30
	v_addc_co_u32_e32 v27, vcc, v127, v31, vcc
	v_add_co_u32_e32 v29, vcc, 24, v0
	v_addc_co_u32_e32 v31, vcc, 0, v121, vcc
	v_mul_lo_u32 v34, s15, v29
	v_mul_lo_u32 v31, s14, v31
	v_mad_u64_u32 v[32:33], s[2:3], s14, v29, 0
	v_add3_u32 v33, v33, v31, v34
	v_lshlrev_b64 v[34:35], 3, v[32:33]
	v_add_co_u32_e32 v32, vcc, s16, v34
	v_addc_co_u32_e32 v29, vcc, v125, v35, vcc
	v_add_co_u32_e32 v34, vcc, s18, v34
	v_addc_co_u32_e32 v31, vcc, v127, v35, vcc
	v_add_co_u32_e32 v33, vcc, 23, v0
	v_addc_co_u32_e32 v35, vcc, 0, v121, vcc
	v_mul_lo_u32 v38, s15, v33
	v_mul_lo_u32 v35, s14, v35
	v_mad_u64_u32 v[36:37], s[2:3], s14, v33, 0
	v_add3_u32 v37, v37, v35, v38
	v_lshlrev_b64 v[38:39], 3, v[36:37]
	v_add_co_u32_e32 v36, vcc, s16, v38
	v_addc_co_u32_e32 v33, vcc, v125, v39, vcc
	v_add_co_u32_e32 v38, vcc, s18, v38
	v_addc_co_u32_e32 v35, vcc, v127, v39, vcc
	v_add_co_u32_e32 v37, vcc, 22, v0
	v_addc_co_u32_e32 v39, vcc, 0, v121, vcc
	v_mul_lo_u32 v42, s15, v37
	v_mul_lo_u32 v39, s14, v39
	v_mad_u64_u32 v[40:41], s[2:3], s14, v37, 0
	v_add3_u32 v41, v41, v39, v42
	v_lshlrev_b64 v[42:43], 3, v[40:41]
	v_add_co_u32_e32 v40, vcc, s16, v42
	v_addc_co_u32_e32 v37, vcc, v125, v43, vcc
	v_add_co_u32_e32 v42, vcc, s18, v42
	v_addc_co_u32_e32 v39, vcc, v127, v43, vcc
	v_add_co_u32_e32 v41, vcc, 21, v0
	v_addc_co_u32_e32 v43, vcc, 0, v121, vcc
	v_mul_lo_u32 v46, s15, v41
	v_mul_lo_u32 v43, s14, v43
	v_mad_u64_u32 v[44:45], s[2:3], s14, v41, 0
	v_add3_u32 v45, v45, v43, v46
	v_lshlrev_b64 v[46:47], 3, v[44:45]
	v_add_co_u32_e32 v44, vcc, s16, v46
	v_addc_co_u32_e32 v41, vcc, v125, v47, vcc
	v_add_co_u32_e32 v46, vcc, s18, v46
	v_addc_co_u32_e32 v43, vcc, v127, v47, vcc
	v_add_co_u32_e32 v45, vcc, 20, v0
	v_addc_co_u32_e32 v47, vcc, 0, v121, vcc
	v_mul_lo_u32 v50, s15, v45
	v_mul_lo_u32 v47, s14, v47
	v_mad_u64_u32 v[48:49], s[2:3], s14, v45, 0
	v_add3_u32 v49, v49, v47, v50
	v_lshlrev_b64 v[50:51], 3, v[48:49]
	v_add_co_u32_e32 v48, vcc, s16, v50
	v_addc_co_u32_e32 v45, vcc, v125, v51, vcc
	v_add_co_u32_e32 v50, vcc, s18, v50
	v_addc_co_u32_e32 v47, vcc, v127, v51, vcc
	v_add_co_u32_e32 v49, vcc, 19, v0
	v_addc_co_u32_e32 v51, vcc, 0, v121, vcc
	v_mul_lo_u32 v54, s15, v49
	v_mul_lo_u32 v51, s14, v51
	v_mad_u64_u32 v[52:53], s[2:3], s14, v49, 0
	v_add3_u32 v53, v53, v51, v54
	v_lshlrev_b64 v[54:55], 3, v[52:53]
	v_add_co_u32_e32 v52, vcc, s16, v54
	v_addc_co_u32_e32 v49, vcc, v125, v55, vcc
	v_add_co_u32_e32 v54, vcc, s18, v54
	v_addc_co_u32_e32 v51, vcc, v127, v55, vcc
	v_add_co_u32_e32 v53, vcc, 18, v0
	v_addc_co_u32_e32 v55, vcc, 0, v121, vcc
	v_mul_lo_u32 v58, s15, v53
	v_mul_lo_u32 v55, s14, v55
	v_mad_u64_u32 v[56:57], s[2:3], s14, v53, 0
	v_add3_u32 v57, v57, v55, v58
	v_lshlrev_b64 v[58:59], 3, v[56:57]
	v_add_co_u32_e32 v56, vcc, s16, v58
	v_addc_co_u32_e32 v53, vcc, v125, v59, vcc
	v_add_co_u32_e32 v58, vcc, s18, v58
	v_addc_co_u32_e32 v55, vcc, v127, v59, vcc
	v_add_co_u32_e32 v57, vcc, 17, v0
	v_addc_co_u32_e32 v59, vcc, 0, v121, vcc
	v_mul_lo_u32 v62, s15, v57
	v_mul_lo_u32 v59, s14, v59
	v_mad_u64_u32 v[60:61], s[2:3], s14, v57, 0
	v_add3_u32 v61, v61, v59, v62
	v_lshlrev_b64 v[62:63], 3, v[60:61]
	v_add_co_u32_e32 v60, vcc, s16, v62
	v_addc_co_u32_e32 v57, vcc, v125, v63, vcc
	v_add_co_u32_e32 v62, vcc, s18, v62
	v_addc_co_u32_e32 v59, vcc, v127, v63, vcc
	v_add_co_u32_e32 v61, vcc, 16, v0
	v_addc_co_u32_e32 v63, vcc, 0, v121, vcc
	v_mul_lo_u32 v66, s15, v61
	v_mul_lo_u32 v63, s14, v63
	v_mad_u64_u32 v[64:65], s[2:3], s14, v61, 0
	v_add3_u32 v65, v65, v63, v66
	v_lshlrev_b64 v[66:67], 3, v[64:65]
	v_add_co_u32_e32 v64, vcc, s16, v66
	v_addc_co_u32_e32 v61, vcc, v125, v67, vcc
	v_add_co_u32_e32 v66, vcc, s18, v66
	v_addc_co_u32_e32 v63, vcc, v127, v67, vcc
	v_add_co_u32_e32 v65, vcc, 15, v0
	v_addc_co_u32_e32 v67, vcc, 0, v121, vcc
	v_mul_lo_u32 v70, s15, v65
	v_mul_lo_u32 v67, s14, v67
	v_mad_u64_u32 v[68:69], s[2:3], s14, v65, 0
	v_add3_u32 v69, v69, v67, v70
	v_lshlrev_b64 v[70:71], 3, v[68:69]
	v_add_co_u32_e32 v68, vcc, s16, v70
	v_addc_co_u32_e32 v65, vcc, v125, v71, vcc
	v_add_co_u32_e32 v70, vcc, s18, v70
	v_addc_co_u32_e32 v67, vcc, v127, v71, vcc
	v_add_co_u32_e32 v69, vcc, 14, v0
	v_addc_co_u32_e32 v71, vcc, 0, v121, vcc
	v_mul_lo_u32 v74, s15, v69
	v_mul_lo_u32 v71, s14, v71
	v_mad_u64_u32 v[72:73], s[2:3], s14, v69, 0
	v_add3_u32 v73, v73, v71, v74
	v_lshlrev_b64 v[74:75], 3, v[72:73]
	v_add_co_u32_e32 v72, vcc, s16, v74
	v_addc_co_u32_e32 v69, vcc, v125, v75, vcc
	v_add_co_u32_e32 v74, vcc, s18, v74
	v_addc_co_u32_e32 v71, vcc, v127, v75, vcc
	v_add_co_u32_e32 v73, vcc, 13, v0
	v_addc_co_u32_e32 v75, vcc, 0, v121, vcc
	v_mul_lo_u32 v78, s15, v73
	v_mul_lo_u32 v75, s14, v75
	v_mad_u64_u32 v[76:77], s[2:3], s14, v73, 0
	v_add3_u32 v77, v77, v75, v78
	v_lshlrev_b64 v[78:79], 3, v[76:77]
	v_add_co_u32_e32 v76, vcc, s16, v78
	v_addc_co_u32_e32 v73, vcc, v125, v79, vcc
	v_add_co_u32_e32 v78, vcc, s18, v78
	v_addc_co_u32_e32 v75, vcc, v127, v79, vcc
	v_add_co_u32_e32 v77, vcc, 12, v0
	v_addc_co_u32_e32 v79, vcc, 0, v121, vcc
	v_mul_lo_u32 v82, s15, v77
	v_mul_lo_u32 v79, s14, v79
	v_mad_u64_u32 v[80:81], s[2:3], s14, v77, 0
	v_add3_u32 v81, v81, v79, v82
	v_lshlrev_b64 v[82:83], 3, v[80:81]
	v_add_co_u32_e32 v80, vcc, s16, v82
	v_addc_co_u32_e32 v77, vcc, v125, v83, vcc
	v_add_co_u32_e32 v82, vcc, s18, v82
	v_addc_co_u32_e32 v79, vcc, v127, v83, vcc
	v_add_co_u32_e32 v81, vcc, 11, v0
	v_addc_co_u32_e32 v83, vcc, 0, v121, vcc
	v_mul_lo_u32 v86, s15, v81
	v_mul_lo_u32 v83, s14, v83
	v_mad_u64_u32 v[84:85], s[2:3], s14, v81, 0
	v_add3_u32 v85, v85, v83, v86
	v_lshlrev_b64 v[86:87], 3, v[84:85]
	v_add_co_u32_e32 v84, vcc, s16, v86
	v_addc_co_u32_e32 v81, vcc, v125, v87, vcc
	v_add_co_u32_e32 v86, vcc, s18, v86
	v_addc_co_u32_e32 v83, vcc, v127, v87, vcc
	v_add_co_u32_e32 v85, vcc, 10, v0
	v_addc_co_u32_e32 v87, vcc, 0, v121, vcc
	v_mul_lo_u32 v90, s15, v85
	v_mul_lo_u32 v87, s14, v87
	v_mad_u64_u32 v[88:89], s[2:3], s14, v85, 0
	v_add3_u32 v89, v89, v87, v90
	v_lshlrev_b64 v[90:91], 3, v[88:89]
	v_add_co_u32_e32 v88, vcc, s16, v90
	v_addc_co_u32_e32 v85, vcc, v125, v91, vcc
	v_add_co_u32_e32 v90, vcc, s18, v90
	v_addc_co_u32_e32 v87, vcc, v127, v91, vcc
	v_add_co_u32_e32 v89, vcc, 9, v0
	v_addc_co_u32_e32 v91, vcc, 0, v121, vcc
	v_mul_lo_u32 v94, s15, v89
	v_mul_lo_u32 v91, s14, v91
	v_mad_u64_u32 v[92:93], s[2:3], s14, v89, 0
	v_add3_u32 v93, v93, v91, v94
	v_lshlrev_b64 v[94:95], 3, v[92:93]
	v_add_co_u32_e32 v92, vcc, s16, v94
	v_addc_co_u32_e32 v89, vcc, v125, v95, vcc
	v_add_co_u32_e32 v94, vcc, s18, v94
	v_addc_co_u32_e32 v91, vcc, v127, v95, vcc
	v_add_co_u32_e32 v93, vcc, 8, v0
	v_addc_co_u32_e32 v95, vcc, 0, v121, vcc
	v_mul_lo_u32 v98, s15, v93
	v_mul_lo_u32 v95, s14, v95
	v_mad_u64_u32 v[96:97], s[2:3], s14, v93, 0
	v_add3_u32 v97, v97, v95, v98
	v_lshlrev_b64 v[98:99], 3, v[96:97]
	v_add_co_u32_e32 v96, vcc, s16, v98
	v_addc_co_u32_e32 v93, vcc, v125, v99, vcc
	v_add_co_u32_e32 v98, vcc, s18, v98
	v_addc_co_u32_e32 v95, vcc, v127, v99, vcc
	v_add_co_u32_e32 v97, vcc, 7, v0
	v_addc_co_u32_e32 v99, vcc, 0, v121, vcc
	v_mul_lo_u32 v102, s15, v97
	v_mul_lo_u32 v99, s14, v99
	v_mad_u64_u32 v[100:101], s[2:3], s14, v97, 0
	v_add3_u32 v101, v101, v99, v102
	v_lshlrev_b64 v[102:103], 3, v[100:101]
	v_add_co_u32_e32 v100, vcc, s16, v102
	v_addc_co_u32_e32 v97, vcc, v125, v103, vcc
	v_add_co_u32_e32 v102, vcc, s18, v102
	v_addc_co_u32_e32 v99, vcc, v127, v103, vcc
	v_add_co_u32_e32 v101, vcc, 6, v0
	v_addc_co_u32_e32 v103, vcc, 0, v121, vcc
	v_mul_lo_u32 v106, s15, v101
	v_mul_lo_u32 v103, s14, v103
	v_mad_u64_u32 v[104:105], s[2:3], s14, v101, 0
	v_add3_u32 v105, v105, v103, v106
	v_lshlrev_b64 v[106:107], 3, v[104:105]
	v_add_co_u32_e32 v104, vcc, s16, v106
	v_addc_co_u32_e32 v101, vcc, v125, v107, vcc
	v_add_co_u32_e32 v106, vcc, s18, v106
	v_addc_co_u32_e32 v103, vcc, v127, v107, vcc
	v_add_co_u32_e32 v105, vcc, 5, v0
	v_addc_co_u32_e32 v107, vcc, 0, v121, vcc
	v_mul_lo_u32 v110, s15, v105
	v_mul_lo_u32 v107, s14, v107
	v_mad_u64_u32 v[108:109], s[2:3], s14, v105, 0
	v_add3_u32 v109, v109, v107, v110
	v_lshlrev_b64 v[110:111], 3, v[108:109]
	v_add_co_u32_e32 v108, vcc, s16, v110
	v_addc_co_u32_e32 v105, vcc, v125, v111, vcc
	v_add_co_u32_e32 v110, vcc, s18, v110
	v_addc_co_u32_e32 v107, vcc, v127, v111, vcc
	v_add_co_u32_e32 v109, vcc, 4, v0
	v_addc_co_u32_e32 v111, vcc, 0, v121, vcc
	v_mul_lo_u32 v114, s15, v109
	v_mul_lo_u32 v111, s14, v111
	v_mad_u64_u32 v[112:113], s[2:3], s14, v109, 0
	v_add3_u32 v113, v113, v111, v114
	v_lshlrev_b64 v[114:115], 3, v[112:113]
	v_add_co_u32_e32 v112, vcc, s16, v114
	v_addc_co_u32_e32 v109, vcc, v125, v115, vcc
	v_add_co_u32_e32 v114, vcc, s18, v114
	v_addc_co_u32_e32 v111, vcc, v127, v115, vcc
	v_add_co_u32_e32 v113, vcc, 3, v0
	v_addc_co_u32_e32 v115, vcc, 0, v121, vcc
	v_mul_lo_u32 v118, s15, v113
	v_mul_lo_u32 v115, s14, v115
	v_mad_u64_u32 v[116:117], s[2:3], s14, v113, 0
	v_add3_u32 v117, v117, v115, v118
	v_lshlrev_b64 v[118:119], 3, v[116:117]
	v_add_co_u32_e32 v116, vcc, s16, v118
	v_addc_co_u32_e32 v113, vcc, v125, v119, vcc
	v_add_co_u32_e32 v118, vcc, s18, v118
	v_addc_co_u32_e32 v115, vcc, v127, v119, vcc
	v_add_co_u32_e32 v117, vcc, 2, v0
	v_addc_co_u32_e32 v119, vcc, 0, v121, vcc
	v_mul_lo_u32 v120, s15, v117
	v_mul_lo_u32 v119, s14, v119
	v_mad_u64_u32 v[122:123], s[2:3], s14, v117, 0
	v_add3_u32 v123, v123, v119, v120
	v_lshlrev_b64 v[122:123], 3, v[122:123]
	v_add_co_u32_e32 v120, vcc, s16, v122
	v_addc_co_u32_e32 v117, vcc, v125, v123, vcc
	v_add_co_u32_e32 v122, vcc, s18, v122
	v_pk_mov_b32 v[128:129], s[14:15], s[14:15] op_sel:[0,1]
	v_addc_co_u32_e32 v119, vcc, v127, v123, vcc
	v_mad_u64_u32 v[128:129], s[2:3], s14, v0, v[128:129]
	v_mul_lo_u32 v121, s14, v121
	v_mul_lo_u32 v123, s15, v0
	v_add3_u32 v129, v123, v129, v121
	v_lshlrev_b64 v[128:129], 3, v[128:129]
	v_mad_u64_u32 v[130:131], s[2:3], s14, v0, 0
	v_add_co_u32_e32 v124, vcc, s16, v128
	v_add3_u32 v131, v131, v121, v123
	v_addc_co_u32_e32 v121, vcc, v125, v129, vcc
	s_load_dword s10, s[4:5], 0x44
	v_add_co_u32_e32 v126, vcc, s18, v128
	v_addc_co_u32_e32 v123, vcc, v127, v129, vcc
	v_lshlrev_b64 v[130:131], 3, v[130:131]
	v_add_co_u32_e32 v128, vcc, s16, v130
	v_addc_co_u32_e32 v125, vcc, v125, v131, vcc
	s_add_u32 s24, s4, 64
	v_add_co_u32_e32 v130, vcc, s18, v130
	s_addc_u32 s25, s5, 0
	s_waitcnt lgkmcnt(0)
	s_lshl_b32 s33, s10, 5
	v_mbcnt_lo_u32_b32 v0, -1, 0
	v_addc_co_u32_e32 v127, vcc, v127, v131, vcc
	v_and_b32_e32 v131, 0x3ff, v132
	s_mul_i32 s10, s15, s33
	s_mul_hi_u32 s11, s14, s33
	v_mbcnt_hi_u32_b32 v0, -1, v0
	v_accvgpr_write_b32 a0, v132
	v_add_u32_e32 v132, s7, v131
	v_mov_b32_e32 v133, 0
	s_add_i32 s11, s11, s10
	s_mul_i32 s10, s14, s33
	v_lshlrev_b32_e32 v0, 2, v0
	s_mov_b32 s9, 0
	v_cmp_gt_i64_e64 s[2:3], s[14:15], v[132:133]
	s_mov_b64 s[26:27], 31
	s_lshl_b64 s[28:29], s[10:11], 3
	v_and_b32_e32 v0, 0x100, v0
	s_mov_b64 s[30:31], s[22:23]
	v_mov_b32_e32 v129, v133
	v_accvgpr_write_b32 a3, v133
	v_lshlrev_b64 v[136:137], 3, v[132:133]
	v_pk_mov_b32 v[138:139], 0, 0
.LBB120_3:                              ; =>This Inner Loop Header: Depth=1
	s_add_u32 s10, s22, s26
	s_addc_u32 s11, 0, s27
	v_pk_mov_b32 v[132:133], s[12:13], s[12:13] op_sel:[0,1]
	v_cmp_ge_i64_e32 vcc, s[10:11], v[132:133]
	v_mov_b32_e32 v132, s23
	v_add_co_u32_e64 v140, s[10:11], s22, v2
	v_addc_co_u32_e64 v141, s[10:11], v132, v129, s[10:11]
	s_cbranch_vccz .LBB120_73
; %bb.4:                                ;   in Loop: Header=BB120_3 Depth=1
	s_load_dword s10, s[24:25], 0xc
	v_accvgpr_read_b32 v132, a1
	v_pk_mov_b32 v[134:135], 0, 0
	v_pk_mov_b32 v[142:143], v[134:135], v[134:135] op_sel:[0,1]
	s_waitcnt lgkmcnt(0)
	s_and_b32 s10, s10, 0xffff
	v_mad_u32_u24 v132, v132, s10, v131
	v_and_b32_e32 v132, 63, v132
	v_cmp_gt_u32_e32 vcc, 32, v132
	s_and_saveexec_b64 s[10:11], vcc
	s_cbranch_execz .LBB120_8
; %bb.5:                                ;   in Loop: Header=BB120_3 Depth=1
	v_add_co_u32_e32 v132, vcc, v140, v132
	v_addc_co_u32_e32 v133, vcc, 0, v141, vcc
	v_cmp_gt_i64_e32 vcc, s[12:13], v[132:133]
	v_pk_mov_b32 v[142:143], 0, 0
	s_and_saveexec_b64 s[34:35], vcc
	s_cbranch_execz .LBB120_7
; %bb.6:                                ;   in Loop: Header=BB120_3 Depth=1
	v_lshlrev_b64 v[132:133], 3, v[132:133]
	v_mov_b32_e32 v142, s21
	v_add_co_u32_e32 v132, vcc, s20, v132
	v_addc_co_u32_e32 v133, vcc, v142, v133, vcc
	global_load_dwordx2 v[142:143], v[132:133], off
.LBB120_7:                              ;   in Loop: Header=BB120_3 Depth=1
	s_or_b64 exec, exec, s[34:35]
.LBB120_8:                              ;   in Loop: Header=BB120_3 Depth=1
	s_or_b64 exec, exec, s[10:11]
	v_cmp_gt_i64_e32 vcc, s[12:13], v[140:141]
	s_and_b64 s[34:35], s[2:3], vcc
	v_pk_mov_b32 v[160:161], v[134:135], v[134:135] op_sel:[0,1]
	s_and_saveexec_b64 s[10:11], s[34:35]
	s_cbranch_execz .LBB120_10
; %bb.9:                                ;   in Loop: Header=BB120_3 Depth=1
	v_add_co_u32_e32 v132, vcc, v128, v136
	v_addc_co_u32_e32 v133, vcc, v125, v137, vcc
	global_load_dwordx2 v[134:135], v[132:133], off
	v_add_co_u32_e32 v132, vcc, v130, v136
	v_addc_co_u32_e32 v133, vcc, v127, v137, vcc
	global_load_dwordx2 v[160:161], v[132:133], off
.LBB120_10:                             ;   in Loop: Header=BB120_3 Depth=1
	s_or_b64 exec, exec, s[10:11]
	v_add_co_u32_e32 v132, vcc, 1, v140
	v_addc_co_u32_e32 v133, vcc, 0, v141, vcc
	v_pk_mov_b32 v[144:145], 0, 0
	v_cmp_gt_i64_e32 vcc, s[12:13], v[132:133]
	v_accvgpr_write_b32 a6, v144
	s_and_b64 s[34:35], s[2:3], vcc
	v_pk_mov_b32 v[158:159], v[144:145], v[144:145] op_sel:[0,1]
	v_accvgpr_write_b32 a7, v145
	s_and_saveexec_b64 s[10:11], s[34:35]
	s_cbranch_execz .LBB120_12
; %bb.11:                               ;   in Loop: Header=BB120_3 Depth=1
	v_add_co_u32_e32 v132, vcc, v124, v136
	v_addc_co_u32_e32 v133, vcc, v121, v137, vcc
	global_load_dwordx2 v[158:159], v[132:133], off
	v_add_co_u32_e32 v132, vcc, v126, v136
	v_addc_co_u32_e32 v133, vcc, v123, v137, vcc
	global_load_dwordx2 a[6:7], v[132:133], off
.LBB120_12:                             ;   in Loop: Header=BB120_3 Depth=1
	s_or_b64 exec, exec, s[10:11]
	v_add_co_u32_e32 v132, vcc, 2, v140
	v_addc_co_u32_e32 v133, vcc, 0, v141, vcc
	v_cmp_gt_i64_e32 vcc, s[12:13], v[132:133]
	s_and_b64 s[34:35], s[2:3], vcc
	v_pk_mov_b32 v[164:165], v[144:145], v[144:145] op_sel:[0,1]
	s_and_saveexec_b64 s[10:11], s[34:35]
	s_cbranch_execz .LBB120_14
; %bb.13:                               ;   in Loop: Header=BB120_3 Depth=1
	v_add_co_u32_e32 v132, vcc, v120, v136
	v_addc_co_u32_e32 v133, vcc, v117, v137, vcc
	global_load_dwordx2 v[144:145], v[132:133], off
	v_add_co_u32_e32 v132, vcc, v122, v136
	v_addc_co_u32_e32 v133, vcc, v119, v137, vcc
	global_load_dwordx2 v[164:165], v[132:133], off
.LBB120_14:                             ;   in Loop: Header=BB120_3 Depth=1
	s_or_b64 exec, exec, s[10:11]
	v_add_co_u32_e32 v132, vcc, 3, v140
	v_addc_co_u32_e32 v133, vcc, 0, v141, vcc
	v_pk_mov_b32 v[152:153], 0, 0
	v_cmp_gt_i64_e32 vcc, s[12:13], v[132:133]
	v_accvgpr_write_b32 a12, v152
	s_and_b64 s[34:35], s[2:3], vcc
	v_pk_mov_b32 v[166:167], v[152:153], v[152:153] op_sel:[0,1]
	v_accvgpr_write_b32 a13, v153
	s_and_saveexec_b64 s[10:11], s[34:35]
	s_cbranch_execz .LBB120_16
; %bb.15:                               ;   in Loop: Header=BB120_3 Depth=1
	v_add_co_u32_e32 v132, vcc, v116, v136
	v_addc_co_u32_e32 v133, vcc, v113, v137, vcc
	global_load_dwordx2 v[166:167], v[132:133], off
	v_add_co_u32_e32 v132, vcc, v118, v136
	v_addc_co_u32_e32 v133, vcc, v115, v137, vcc
	global_load_dwordx2 a[12:13], v[132:133], off
.LBB120_16:                             ;   in Loop: Header=BB120_3 Depth=1
	s_or_b64 exec, exec, s[10:11]
	v_add_co_u32_e32 v132, vcc, 4, v140
	v_addc_co_u32_e32 v133, vcc, 0, v141, vcc
	v_cmp_gt_i64_e32 vcc, s[12:13], v[132:133]
	v_accvgpr_write_b32 a14, v152
	s_and_b64 s[34:35], s[2:3], vcc
	v_accvgpr_write_b32 a15, v153
	s_and_saveexec_b64 s[10:11], s[34:35]
	s_cbranch_execz .LBB120_18
; %bb.17:                               ;   in Loop: Header=BB120_3 Depth=1
	v_add_co_u32_e32 v132, vcc, v112, v136
	v_addc_co_u32_e32 v133, vcc, v109, v137, vcc
	global_load_dwordx2 v[152:153], v[132:133], off
	v_add_co_u32_e32 v132, vcc, v114, v136
	v_addc_co_u32_e32 v133, vcc, v111, v137, vcc
	global_load_dwordx2 a[14:15], v[132:133], off
.LBB120_18:                             ;   in Loop: Header=BB120_3 Depth=1
	s_or_b64 exec, exec, s[10:11]
	v_add_co_u32_e32 v132, vcc, 5, v140
	v_addc_co_u32_e32 v133, vcc, 0, v141, vcc
	v_pk_mov_b32 v[162:163], 0, 0
	v_cmp_gt_i64_e32 vcc, s[12:13], v[132:133]
	v_accvgpr_write_b32 a16, v162
	s_and_b64 s[34:35], s[2:3], vcc
	v_accvgpr_write_b32 a17, v163
	v_pk_mov_b32 v[168:169], v[162:163], v[162:163] op_sel:[0,1]
	s_and_saveexec_b64 s[10:11], s[34:35]
	s_cbranch_execz .LBB120_20
; %bb.19:                               ;   in Loop: Header=BB120_3 Depth=1
	v_add_co_u32_e32 v132, vcc, v108, v136
	v_addc_co_u32_e32 v133, vcc, v105, v137, vcc
	global_load_dwordx2 a[16:17], v[132:133], off
	v_add_co_u32_e32 v132, vcc, v110, v136
	v_addc_co_u32_e32 v133, vcc, v107, v137, vcc
	global_load_dwordx2 v[168:169], v[132:133], off
.LBB120_20:                             ;   in Loop: Header=BB120_3 Depth=1
	s_or_b64 exec, exec, s[10:11]
	v_add_co_u32_e32 v132, vcc, 6, v140
	v_addc_co_u32_e32 v133, vcc, 0, v141, vcc
	v_cmp_gt_i64_e32 vcc, s[12:13], v[132:133]
	s_and_b64 s[34:35], s[2:3], vcc
	v_pk_mov_b32 v[172:173], v[162:163], v[162:163] op_sel:[0,1]
	s_and_saveexec_b64 s[10:11], s[34:35]
	s_cbranch_execz .LBB120_22
; %bb.21:                               ;   in Loop: Header=BB120_3 Depth=1
	v_add_co_u32_e32 v132, vcc, v104, v136
	v_addc_co_u32_e32 v133, vcc, v101, v137, vcc
	global_load_dwordx2 v[162:163], v[132:133], off
	v_add_co_u32_e32 v132, vcc, v106, v136
	v_addc_co_u32_e32 v133, vcc, v103, v137, vcc
	global_load_dwordx2 v[172:173], v[132:133], off
.LBB120_22:                             ;   in Loop: Header=BB120_3 Depth=1
	s_or_b64 exec, exec, s[10:11]
	v_add_co_u32_e32 v132, vcc, 7, v140
	v_addc_co_u32_e32 v133, vcc, 0, v141, vcc
	v_cmp_gt_i64_e32 vcc, s[12:13], v[132:133]
	v_pk_mov_b32 v[170:171], 0, 0
	s_and_b64 s[34:35], s[2:3], vcc
	v_pk_mov_b32 v[174:175], v[170:171], v[170:171] op_sel:[0,1]
	v_pk_mov_b32 v[176:177], v[170:171], v[170:171] op_sel:[0,1]
	s_and_saveexec_b64 s[10:11], s[34:35]
	s_cbranch_execz .LBB120_24
; %bb.23:                               ;   in Loop: Header=BB120_3 Depth=1
	v_add_co_u32_e32 v132, vcc, v100, v136
	v_addc_co_u32_e32 v133, vcc, v97, v137, vcc
	global_load_dwordx2 v[174:175], v[132:133], off
	v_add_co_u32_e32 v132, vcc, v102, v136
	v_addc_co_u32_e32 v133, vcc, v99, v137, vcc
	global_load_dwordx2 v[176:177], v[132:133], off
.LBB120_24:                             ;   in Loop: Header=BB120_3 Depth=1
	s_or_b64 exec, exec, s[10:11]
	v_add_co_u32_e32 v132, vcc, 8, v140
	v_addc_co_u32_e32 v133, vcc, 0, v141, vcc
	v_cmp_gt_i64_e32 vcc, s[12:13], v[132:133]
	s_and_b64 s[34:35], s[2:3], vcc
	v_pk_mov_b32 v[180:181], v[170:171], v[170:171] op_sel:[0,1]
	s_and_saveexec_b64 s[10:11], s[34:35]
	s_cbranch_execz .LBB120_26
; %bb.25:                               ;   in Loop: Header=BB120_3 Depth=1
	v_add_co_u32_e32 v132, vcc, v96, v136
	v_addc_co_u32_e32 v133, vcc, v93, v137, vcc
	global_load_dwordx2 v[170:171], v[132:133], off
	v_add_co_u32_e32 v132, vcc, v98, v136
	v_addc_co_u32_e32 v133, vcc, v95, v137, vcc
	global_load_dwordx2 v[180:181], v[132:133], off
.LBB120_26:                             ;   in Loop: Header=BB120_3 Depth=1
	s_or_b64 exec, exec, s[10:11]
	v_add_co_u32_e32 v132, vcc, 9, v140
	v_addc_co_u32_e32 v133, vcc, 0, v141, vcc
	v_cmp_gt_i64_e32 vcc, s[12:13], v[132:133]
	v_pk_mov_b32 v[178:179], 0, 0
	s_and_b64 s[34:35], s[2:3], vcc
	v_pk_mov_b32 v[182:183], v[178:179], v[178:179] op_sel:[0,1]
	;; [unrolled: 34-line block ×12, first 2 shown]
	v_pk_mov_b32 v[154:155], v[148:149], v[148:149] op_sel:[0,1]
	s_and_saveexec_b64 s[10:11], s[34:35]
	s_cbranch_execz .LBB120_68
; %bb.67:                               ;   in Loop: Header=BB120_3 Depth=1
	v_add_co_u32_e32 v150, vcc, v12, v136
	v_addc_co_u32_e32 v151, vcc, v9, v137, vcc
	v_add_co_u32_e32 v154, vcc, v14, v136
	v_addc_co_u32_e32 v155, vcc, v11, v137, vcc
	global_load_dwordx2 v[150:151], v[150:151], off
	s_nop 0
	global_load_dwordx2 v[154:155], v[154:155], off
.LBB120_68:                             ;   in Loop: Header=BB120_3 Depth=1
	s_or_b64 exec, exec, s[10:11]
	v_add_co_u32_e32 v156, vcc, 30, v140
	v_addc_co_u32_e32 v157, vcc, 0, v141, vcc
	v_cmp_gt_i64_e32 vcc, s[12:13], v[156:157]
	s_and_b64 s[34:35], s[2:3], vcc
	v_pk_mov_b32 v[156:157], v[148:149], v[148:149] op_sel:[0,1]
	s_and_saveexec_b64 s[10:11], s[34:35]
	s_cbranch_execz .LBB120_70
; %bb.69:                               ;   in Loop: Header=BB120_3 Depth=1
	v_add_co_u32_e32 v148, vcc, v8, v136
	v_addc_co_u32_e32 v149, vcc, v5, v137, vcc
	v_add_co_u32_e32 v156, vcc, v10, v136
	v_addc_co_u32_e32 v157, vcc, v7, v137, vcc
	global_load_dwordx2 v[148:149], v[148:149], off
	s_nop 0
	global_load_dwordx2 v[156:157], v[156:157], off
.LBB120_70:                             ;   in Loop: Header=BB120_3 Depth=1
	s_or_b64 exec, exec, s[10:11]
	s_waitcnt vmcnt(0)
	v_accvgpr_write_b32 a8, v164
	v_accvgpr_write_b32 a9, v165
	v_add_co_u32_e32 v164, vcc, 31, v140
	v_addc_co_u32_e32 v165, vcc, 0, v141, vcc
	v_accvgpr_write_b32 a10, v166
	v_accvgpr_write_b32 a4, v158
	v_cmp_gt_i64_e32 vcc, s[12:13], v[164:165]
	v_accvgpr_write_b32 a11, v167
	v_accvgpr_write_b32 a5, v159
	s_and_b64 s[34:35], s[2:3], vcc
	v_pk_mov_b32 v[164:165], 0, 0
	s_and_saveexec_b64 s[10:11], s[34:35]
	s_cbranch_execz .LBB120_72
; %bb.71:                               ;   in Loop: Header=BB120_3 Depth=1
	v_add_co_u32_e32 v164, vcc, v4, v136
	v_addc_co_u32_e32 v165, vcc, v1, v137, vcc
	v_add_co_u32_e32 v158, vcc, v6, v136
	v_addc_co_u32_e32 v159, vcc, v3, v137, vcc
	global_load_dwordx2 v[164:165], v[164:165], off
	s_nop 0
	global_load_dwordx2 v[158:159], v[158:159], off
	s_waitcnt vmcnt(0)
	v_mul_f64 v[164:165], v[164:165], v[158:159]
.LBB120_72:                             ;   in Loop: Header=BB120_3 Depth=1
	s_or_b64 exec, exec, s[10:11]
	ds_bpermute_b32 v158, v0, v142
	ds_bpermute_b32 v159, v0, v143
	v_mul_f64 v[134:135], v[134:135], v[160:161]
	v_accvgpr_read_b32 v161, a5
	v_accvgpr_read_b32 v167, a7
	;; [unrolled: 1-line block ×3, first 2 shown]
	s_waitcnt lgkmcnt(0)
	v_fma_f64 v[134:135], v[134:135], v[158:159], v[138:139]
	ds_bpermute_b32 v158, v0, v142 offset:4
	ds_bpermute_b32 v159, v0, v143 offset:4
	v_accvgpr_read_b32 v166, a6
	v_mul_f64 v[160:161], v[160:161], v[166:167]
	v_mul_f64 v[132:133], v[254:255], v[132:133]
	s_waitcnt lgkmcnt(0)
	v_fmac_f64_e32 v[134:135], v[160:161], v[158:159]
	ds_bpermute_b32 v158, v0, v142 offset:8
	ds_bpermute_b32 v159, v0, v143 offset:8
	v_accvgpr_read_b32 v161, a9
	v_accvgpr_read_b32 v160, a8
	v_mul_f64 v[144:145], v[144:145], v[160:161]
	v_accvgpr_read_b32 v161, a13
	s_waitcnt lgkmcnt(0)
	v_fmac_f64_e32 v[134:135], v[144:145], v[158:159]
	ds_bpermute_b32 v144, v0, v142 offset:12
	ds_bpermute_b32 v145, v0, v143 offset:12
	v_accvgpr_read_b32 v159, a11
	v_accvgpr_read_b32 v158, a10
	;; [unrolled: 1-line block ×3, first 2 shown]
	v_mul_f64 v[158:159], v[158:159], v[160:161]
	s_waitcnt lgkmcnt(0)
	v_fmac_f64_e32 v[134:135], v[158:159], v[144:145]
	ds_bpermute_b32 v144, v0, v142 offset:16
	ds_bpermute_b32 v145, v0, v143 offset:16
	v_accvgpr_read_b32 v159, a15
	v_accvgpr_read_b32 v158, a14
	v_mul_f64 v[152:153], v[152:153], v[158:159]
	s_waitcnt lgkmcnt(0)
	v_fmac_f64_e32 v[134:135], v[152:153], v[144:145]
	ds_bpermute_b32 v144, v0, v142 offset:20
	ds_bpermute_b32 v145, v0, v143 offset:20
	v_accvgpr_read_b32 v153, a17
	v_accvgpr_read_b32 v152, a16
	v_mul_f64 v[152:153], v[152:153], v[168:169]
	s_waitcnt lgkmcnt(0)
	v_fmac_f64_e32 v[134:135], v[152:153], v[144:145]
	ds_bpermute_b32 v144, v0, v142 offset:24
	ds_bpermute_b32 v145, v0, v143 offset:24
	v_mul_f64 v[152:153], v[162:163], v[172:173]
	s_waitcnt lgkmcnt(0)
	v_fmac_f64_e32 v[134:135], v[152:153], v[144:145]
	ds_bpermute_b32 v144, v0, v142 offset:28
	ds_bpermute_b32 v145, v0, v143 offset:28
	;; [unrolled: 5-line block ×22, first 2 shown]
	s_waitcnt lgkmcnt(0)
	v_fmac_f64_e32 v[134:135], v[132:133], v[144:145]
	ds_bpermute_b32 v132, v0, v142 offset:112
	ds_bpermute_b32 v133, v0, v143 offset:112
	v_mul_f64 v[144:145], v[250:251], v[146:147]
	s_waitcnt lgkmcnt(0)
	v_fmac_f64_e32 v[134:135], v[144:145], v[132:133]
	ds_bpermute_b32 v132, v0, v142 offset:116
	ds_bpermute_b32 v133, v0, v143 offset:116
	v_mul_f64 v[144:145], v[150:151], v[154:155]
	;; [unrolled: 5-line block ×3, first 2 shown]
	s_waitcnt lgkmcnt(0)
	v_fmac_f64_e32 v[134:135], v[144:145], v[132:133]
	ds_bpermute_b32 v132, v0, v142 offset:124
	ds_bpermute_b32 v133, v0, v143 offset:124
	s_branch .LBB120_143
.LBB120_73:                             ;   in Loop: Header=BB120_3 Depth=1
                                        ; implicit-def: $vgpr134_vgpr135
                                        ; implicit-def: $vgpr164_vgpr165
                                        ; implicit-def: $vgpr132
	s_cbranch_execz .LBB120_143
; %bb.74:                               ;   in Loop: Header=BB120_3 Depth=1
	s_load_dword s10, s[24:25], 0x0
	s_waitcnt lgkmcnt(0)
	v_accvgpr_read_b32 v133, a3
	v_pk_mov_b32 v[142:143], 0, 0
	v_pk_mov_b32 v[134:135], v[142:143], v[142:143] op_sel:[0,1]
	s_cmp_lt_u32 s6, s10
	s_cselect_b32 s10, 12, 18
	s_add_u32 s10, s24, s10
	s_addc_u32 s11, s25, 0
	global_load_ushort v132, v133, s[10:11]
	v_accvgpr_read_b32 v133, a1
	s_waitcnt vmcnt(0)
	v_mad_u32_u24 v132, v133, v132, v131
	v_and_b32_e32 v132, 63, v132
	v_cmp_gt_u32_e32 vcc, 32, v132
	s_and_saveexec_b64 s[10:11], vcc
	s_cbranch_execz .LBB120_78
; %bb.75:                               ;   in Loop: Header=BB120_3 Depth=1
	v_add_co_u32_e32 v132, vcc, v140, v132
	v_addc_co_u32_e32 v133, vcc, 0, v141, vcc
	v_cmp_gt_i64_e32 vcc, s[12:13], v[132:133]
	v_pk_mov_b32 v[134:135], 0, 0
	s_and_saveexec_b64 s[34:35], vcc
	s_cbranch_execz .LBB120_77
; %bb.76:                               ;   in Loop: Header=BB120_3 Depth=1
	v_lshlrev_b64 v[132:133], 3, v[132:133]
	v_mov_b32_e32 v134, s21
	v_add_co_u32_e32 v132, vcc, s20, v132
	v_addc_co_u32_e32 v133, vcc, v134, v133, vcc
	global_load_dwordx2 v[134:135], v[132:133], off
.LBB120_77:                             ;   in Loop: Header=BB120_3 Depth=1
	s_or_b64 exec, exec, s[34:35]
.LBB120_78:                             ;   in Loop: Header=BB120_3 Depth=1
	s_or_b64 exec, exec, s[10:11]
	v_accvgpr_write_b32 a6, v142
	v_accvgpr_write_b32 a7, v143
	s_and_saveexec_b64 s[10:11], s[2:3]
	s_cbranch_execz .LBB120_80
; %bb.79:                               ;   in Loop: Header=BB120_3 Depth=1
	v_add_co_u32_e32 v132, vcc, v128, v136
	v_addc_co_u32_e32 v133, vcc, v125, v137, vcc
	global_load_dwordx2 v[142:143], v[132:133], off
	v_add_co_u32_e32 v132, vcc, v130, v136
	v_addc_co_u32_e32 v133, vcc, v127, v137, vcc
	global_load_dwordx2 a[6:7], v[132:133], off
.LBB120_80:                             ;   in Loop: Header=BB120_3 Depth=1
	s_or_b64 exec, exec, s[10:11]
	v_pk_mov_b32 v[140:141], 0, 0
	v_pk_mov_b32 v[154:155], v[140:141], v[140:141] op_sel:[0,1]
	v_pk_mov_b32 v[156:157], v[140:141], v[140:141] op_sel:[0,1]
	s_and_saveexec_b64 s[10:11], s[2:3]
	s_cbranch_execz .LBB120_82
; %bb.81:                               ;   in Loop: Header=BB120_3 Depth=1
	v_add_co_u32_e32 v132, vcc, v124, v136
	v_addc_co_u32_e32 v133, vcc, v121, v137, vcc
	global_load_dwordx2 v[154:155], v[132:133], off
	v_add_co_u32_e32 v132, vcc, v126, v136
	v_addc_co_u32_e32 v133, vcc, v123, v137, vcc
	global_load_dwordx2 v[156:157], v[132:133], off
.LBB120_82:                             ;   in Loop: Header=BB120_3 Depth=1
	s_or_b64 exec, exec, s[10:11]
	v_accvgpr_write_b32 a10, v140
	v_accvgpr_write_b32 a11, v141
	s_and_saveexec_b64 s[10:11], s[2:3]
	s_cbranch_execz .LBB120_84
; %bb.83:                               ;   in Loop: Header=BB120_3 Depth=1
	v_add_co_u32_e32 v132, vcc, v120, v136
	v_addc_co_u32_e32 v133, vcc, v117, v137, vcc
	global_load_dwordx2 v[140:141], v[132:133], off
	v_add_co_u32_e32 v132, vcc, v122, v136
	v_addc_co_u32_e32 v133, vcc, v119, v137, vcc
	global_load_dwordx2 a[10:11], v[132:133], off
.LBB120_84:                             ;   in Loop: Header=BB120_3 Depth=1
	s_or_b64 exec, exec, s[10:11]
	v_pk_mov_b32 v[150:151], 0, 0
	v_accvgpr_write_b32 a12, v150
	v_accvgpr_write_b32 a14, v150
	;; [unrolled: 1-line block ×4, first 2 shown]
	s_and_saveexec_b64 s[10:11], s[2:3]
	s_cbranch_execz .LBB120_86
; %bb.85:                               ;   in Loop: Header=BB120_3 Depth=1
	v_add_co_u32_e32 v132, vcc, v116, v136
	v_addc_co_u32_e32 v133, vcc, v113, v137, vcc
	global_load_dwordx2 a[12:13], v[132:133], off
	v_add_co_u32_e32 v132, vcc, v118, v136
	v_addc_co_u32_e32 v133, vcc, v115, v137, vcc
	global_load_dwordx2 a[14:15], v[132:133], off
.LBB120_86:                             ;   in Loop: Header=BB120_3 Depth=1
	s_or_b64 exec, exec, s[10:11]
	v_pk_mov_b32 v[158:159], v[150:151], v[150:151] op_sel:[0,1]
	s_and_saveexec_b64 s[10:11], s[2:3]
	s_cbranch_execz .LBB120_88
; %bb.87:                               ;   in Loop: Header=BB120_3 Depth=1
	v_add_co_u32_e32 v132, vcc, v112, v136
	v_addc_co_u32_e32 v133, vcc, v109, v137, vcc
	global_load_dwordx2 v[150:151], v[132:133], off
	v_add_co_u32_e32 v132, vcc, v114, v136
	v_addc_co_u32_e32 v133, vcc, v111, v137, vcc
	global_load_dwordx2 v[158:159], v[132:133], off
.LBB120_88:                             ;   in Loop: Header=BB120_3 Depth=1
	s_or_b64 exec, exec, s[10:11]
	v_pk_mov_b32 v[160:161], 0, 0
	v_pk_mov_b32 v[162:163], v[160:161], v[160:161] op_sel:[0,1]
	v_pk_mov_b32 v[166:167], v[160:161], v[160:161] op_sel:[0,1]
	s_and_saveexec_b64 s[10:11], s[2:3]
	s_cbranch_execz .LBB120_90
; %bb.89:                               ;   in Loop: Header=BB120_3 Depth=1
	v_add_co_u32_e32 v132, vcc, v108, v136
	v_addc_co_u32_e32 v133, vcc, v105, v137, vcc
	global_load_dwordx2 v[162:163], v[132:133], off
	v_add_co_u32_e32 v132, vcc, v110, v136
	v_addc_co_u32_e32 v133, vcc, v107, v137, vcc
	global_load_dwordx2 v[166:167], v[132:133], off
.LBB120_90:                             ;   in Loop: Header=BB120_3 Depth=1
	s_or_b64 exec, exec, s[10:11]
	v_pk_mov_b32 v[172:173], v[160:161], v[160:161] op_sel:[0,1]
	s_and_saveexec_b64 s[10:11], s[2:3]
	s_cbranch_execz .LBB120_92
; %bb.91:                               ;   in Loop: Header=BB120_3 Depth=1
	v_add_co_u32_e32 v132, vcc, v104, v136
	v_addc_co_u32_e32 v133, vcc, v101, v137, vcc
	global_load_dwordx2 v[160:161], v[132:133], off
	v_add_co_u32_e32 v132, vcc, v106, v136
	v_addc_co_u32_e32 v133, vcc, v103, v137, vcc
	global_load_dwordx2 v[172:173], v[132:133], off
.LBB120_92:                             ;   in Loop: Header=BB120_3 Depth=1
	s_or_b64 exec, exec, s[10:11]
	v_pk_mov_b32 v[168:169], 0, 0
	v_pk_mov_b32 v[170:171], v[168:169], v[168:169] op_sel:[0,1]
	v_pk_mov_b32 v[174:175], v[168:169], v[168:169] op_sel:[0,1]
	;; [unrolled: 26-line block ×3, first 2 shown]
	s_and_saveexec_b64 s[10:11], s[2:3]
	s_cbranch_execz .LBB120_98
; %bb.97:                               ;   in Loop: Header=BB120_3 Depth=1
	v_add_co_u32_e32 v132, vcc, v92, v136
	v_addc_co_u32_e32 v133, vcc, v89, v137, vcc
	global_load_dwordx2 v[180:181], v[132:133], off
	v_add_co_u32_e32 v132, vcc, v94, v136
	v_addc_co_u32_e32 v133, vcc, v91, v137, vcc
	global_load_dwordx2 v[182:183], v[132:133], off
.LBB120_98:                             ;   in Loop: Header=BB120_3 Depth=1
	s_or_b64 exec, exec, s[10:11]
	v_pk_mov_b32 v[184:185], v[176:177], v[176:177] op_sel:[0,1]
	s_and_saveexec_b64 s[10:11], s[2:3]
	s_cbranch_execz .LBB120_100
; %bb.99:                               ;   in Loop: Header=BB120_3 Depth=1
	v_add_co_u32_e32 v132, vcc, v88, v136
	v_addc_co_u32_e32 v133, vcc, v85, v137, vcc
	global_load_dwordx2 v[176:177], v[132:133], off
	v_add_co_u32_e32 v132, vcc, v90, v136
	v_addc_co_u32_e32 v133, vcc, v87, v137, vcc
	global_load_dwordx2 v[184:185], v[132:133], off
.LBB120_100:                            ;   in Loop: Header=BB120_3 Depth=1
	s_or_b64 exec, exec, s[10:11]
	v_pk_mov_b32 v[186:187], 0, 0
	v_pk_mov_b32 v[188:189], v[186:187], v[186:187] op_sel:[0,1]
	v_pk_mov_b32 v[190:191], v[186:187], v[186:187] op_sel:[0,1]
	s_and_saveexec_b64 s[10:11], s[2:3]
	s_cbranch_execz .LBB120_102
; %bb.101:                              ;   in Loop: Header=BB120_3 Depth=1
	v_add_co_u32_e32 v132, vcc, v84, v136
	v_addc_co_u32_e32 v133, vcc, v81, v137, vcc
	global_load_dwordx2 v[188:189], v[132:133], off
	v_add_co_u32_e32 v132, vcc, v86, v136
	v_addc_co_u32_e32 v133, vcc, v83, v137, vcc
	global_load_dwordx2 v[190:191], v[132:133], off
.LBB120_102:                            ;   in Loop: Header=BB120_3 Depth=1
	s_or_b64 exec, exec, s[10:11]
	v_pk_mov_b32 v[196:197], v[186:187], v[186:187] op_sel:[0,1]
	s_and_saveexec_b64 s[10:11], s[2:3]
	s_cbranch_execz .LBB120_104
; %bb.103:                              ;   in Loop: Header=BB120_3 Depth=1
	v_add_co_u32_e32 v132, vcc, v80, v136
	v_addc_co_u32_e32 v133, vcc, v77, v137, vcc
	global_load_dwordx2 v[186:187], v[132:133], off
	v_add_co_u32_e32 v132, vcc, v82, v136
	v_addc_co_u32_e32 v133, vcc, v79, v137, vcc
	global_load_dwordx2 v[196:197], v[132:133], off
.LBB120_104:                            ;   in Loop: Header=BB120_3 Depth=1
	s_or_b64 exec, exec, s[10:11]
	v_pk_mov_b32 v[192:193], 0, 0
	v_pk_mov_b32 v[194:195], v[192:193], v[192:193] op_sel:[0,1]
	v_pk_mov_b32 v[198:199], v[192:193], v[192:193] op_sel:[0,1]
	s_and_saveexec_b64 s[10:11], s[2:3]
	s_cbranch_execz .LBB120_106
; %bb.105:                              ;   in Loop: Header=BB120_3 Depth=1
	v_add_co_u32_e32 v132, vcc, v76, v136
	v_addc_co_u32_e32 v133, vcc, v73, v137, vcc
	global_load_dwordx2 v[194:195], v[132:133], off
	v_add_co_u32_e32 v132, vcc, v78, v136
	v_addc_co_u32_e32 v133, vcc, v75, v137, vcc
	global_load_dwordx2 v[198:199], v[132:133], off
.LBB120_106:                            ;   in Loop: Header=BB120_3 Depth=1
	s_or_b64 exec, exec, s[10:11]
	v_pk_mov_b32 v[202:203], v[192:193], v[192:193] op_sel:[0,1]
	s_and_saveexec_b64 s[10:11], s[2:3]
	s_cbranch_execz .LBB120_108
; %bb.107:                              ;   in Loop: Header=BB120_3 Depth=1
	v_add_co_u32_e32 v132, vcc, v72, v136
	v_addc_co_u32_e32 v133, vcc, v69, v137, vcc
	global_load_dwordx2 v[192:193], v[132:133], off
	v_add_co_u32_e32 v132, vcc, v74, v136
	v_addc_co_u32_e32 v133, vcc, v71, v137, vcc
	global_load_dwordx2 v[202:203], v[132:133], off
.LBB120_108:                            ;   in Loop: Header=BB120_3 Depth=1
	;; [unrolled: 26-line block ×9, first 2 shown]
	s_or_b64 exec, exec, s[10:11]
	v_pk_mov_b32 v[144:145], 0, 0
	v_pk_mov_b32 v[146:147], v[144:145], v[144:145] op_sel:[0,1]
	v_pk_mov_b32 v[148:149], v[144:145], v[144:145] op_sel:[0,1]
	s_and_saveexec_b64 s[10:11], s[2:3]
	s_cbranch_execz .LBB120_138
; %bb.137:                              ;   in Loop: Header=BB120_3 Depth=1
	v_add_co_u32_e32 v146, vcc, v12, v136
	v_addc_co_u32_e32 v147, vcc, v9, v137, vcc
	v_add_co_u32_e32 v148, vcc, v14, v136
	v_addc_co_u32_e32 v149, vcc, v11, v137, vcc
	global_load_dwordx2 v[146:147], v[146:147], off
	s_nop 0
	global_load_dwordx2 v[148:149], v[148:149], off
.LBB120_138:                            ;   in Loop: Header=BB120_3 Depth=1
	s_or_b64 exec, exec, s[10:11]
	v_pk_mov_b32 v[152:153], v[144:145], v[144:145] op_sel:[0,1]
	s_and_saveexec_b64 s[10:11], s[2:3]
	s_cbranch_execz .LBB120_140
; %bb.139:                              ;   in Loop: Header=BB120_3 Depth=1
	v_add_co_u32_e32 v144, vcc, v8, v136
	v_addc_co_u32_e32 v145, vcc, v5, v137, vcc
	v_add_co_u32_e32 v152, vcc, v10, v136
	v_addc_co_u32_e32 v153, vcc, v7, v137, vcc
	global_load_dwordx2 v[144:145], v[144:145], off
	s_nop 0
	global_load_dwordx2 v[152:153], v[152:153], off
.LBB120_140:                            ;   in Loop: Header=BB120_3 Depth=1
	s_or_b64 exec, exec, s[10:11]
	s_waitcnt vmcnt(0)
	v_accvgpr_write_b32 a8, v156
	v_accvgpr_write_b32 a4, v154
	;; [unrolled: 1-line block ×4, first 2 shown]
	v_pk_mov_b32 v[164:165], 0, 0
	s_and_saveexec_b64 s[10:11], s[2:3]
	s_cbranch_execz .LBB120_142
; %bb.141:                              ;   in Loop: Header=BB120_3 Depth=1
	v_add_co_u32_e32 v164, vcc, v4, v136
	v_addc_co_u32_e32 v165, vcc, v1, v137, vcc
	v_add_co_u32_e32 v154, vcc, v6, v136
	v_addc_co_u32_e32 v155, vcc, v3, v137, vcc
	global_load_dwordx2 v[164:165], v[164:165], off
	s_nop 0
	global_load_dwordx2 v[154:155], v[154:155], off
	s_waitcnt vmcnt(0)
	v_mul_f64 v[164:165], v[164:165], v[154:155]
.LBB120_142:                            ;   in Loop: Header=BB120_3 Depth=1
	s_or_b64 exec, exec, s[10:11]
	ds_bpermute_b32 v154, v0, v134
	ds_bpermute_b32 v155, v0, v135
	v_accvgpr_read_b32 v157, a7
	v_accvgpr_read_b32 v156, a6
	v_mul_f64 v[142:143], v[142:143], v[156:157]
	v_accvgpr_read_b32 v157, a9
	s_waitcnt lgkmcnt(0)
	v_fmac_f64_e32 v[138:139], v[142:143], v[154:155]
	ds_bpermute_b32 v142, v0, v134 offset:4
	ds_bpermute_b32 v143, v0, v135 offset:4
	v_accvgpr_read_b32 v155, a5
	v_accvgpr_read_b32 v154, a4
	;; [unrolled: 1-line block ×3, first 2 shown]
	v_mul_f64 v[154:155], v[154:155], v[156:157]
	s_waitcnt lgkmcnt(0)
	v_fmac_f64_e32 v[138:139], v[154:155], v[142:143]
	ds_bpermute_b32 v142, v0, v134 offset:8
	ds_bpermute_b32 v143, v0, v135 offset:8
	v_accvgpr_read_b32 v155, a11
	v_accvgpr_read_b32 v154, a10
	v_mul_f64 v[140:141], v[140:141], v[154:155]
	v_accvgpr_read_b32 v155, a15
	s_waitcnt lgkmcnt(0)
	v_fmac_f64_e32 v[138:139], v[140:141], v[142:143]
	ds_bpermute_b32 v140, v0, v134 offset:12
	ds_bpermute_b32 v141, v0, v135 offset:12
	v_accvgpr_read_b32 v143, a13
	v_accvgpr_read_b32 v142, a12
	v_accvgpr_read_b32 v154, a14
	v_mul_f64 v[142:143], v[142:143], v[154:155]
	s_waitcnt lgkmcnt(0)
	v_fmac_f64_e32 v[138:139], v[142:143], v[140:141]
	ds_bpermute_b32 v140, v0, v134 offset:16
	ds_bpermute_b32 v141, v0, v135 offset:16
	v_mul_f64 v[142:143], v[150:151], v[158:159]
	v_mul_f64 v[132:133], v[240:241], v[132:133]
	s_waitcnt lgkmcnt(0)
	v_fmac_f64_e32 v[138:139], v[142:143], v[140:141]
	ds_bpermute_b32 v140, v0, v134 offset:20
	ds_bpermute_b32 v141, v0, v135 offset:20
	v_mul_f64 v[142:143], v[162:163], v[166:167]
	s_waitcnt lgkmcnt(0)
	v_fmac_f64_e32 v[138:139], v[142:143], v[140:141]
	ds_bpermute_b32 v140, v0, v134 offset:24
	ds_bpermute_b32 v141, v0, v135 offset:24
	v_mul_f64 v[142:143], v[160:161], v[172:173]
	s_waitcnt lgkmcnt(0)
	v_fmac_f64_e32 v[138:139], v[142:143], v[140:141]
	ds_bpermute_b32 v140, v0, v134 offset:28
	ds_bpermute_b32 v141, v0, v135 offset:28
	v_mul_f64 v[142:143], v[170:171], v[174:175]
	s_waitcnt lgkmcnt(0)
	v_fmac_f64_e32 v[138:139], v[142:143], v[140:141]
	ds_bpermute_b32 v140, v0, v134 offset:32
	ds_bpermute_b32 v141, v0, v135 offset:32
	v_mul_f64 v[142:143], v[168:169], v[178:179]
	s_waitcnt lgkmcnt(0)
	v_fmac_f64_e32 v[138:139], v[142:143], v[140:141]
	ds_bpermute_b32 v140, v0, v134 offset:36
	ds_bpermute_b32 v141, v0, v135 offset:36
	v_mul_f64 v[142:143], v[180:181], v[182:183]
	s_waitcnt lgkmcnt(0)
	v_fmac_f64_e32 v[138:139], v[142:143], v[140:141]
	ds_bpermute_b32 v140, v0, v134 offset:40
	ds_bpermute_b32 v141, v0, v135 offset:40
	v_mul_f64 v[142:143], v[176:177], v[184:185]
	s_waitcnt lgkmcnt(0)
	v_fmac_f64_e32 v[138:139], v[142:143], v[140:141]
	ds_bpermute_b32 v140, v0, v134 offset:44
	ds_bpermute_b32 v141, v0, v135 offset:44
	v_mul_f64 v[142:143], v[188:189], v[190:191]
	s_waitcnt lgkmcnt(0)
	v_fmac_f64_e32 v[138:139], v[142:143], v[140:141]
	ds_bpermute_b32 v140, v0, v134 offset:48
	ds_bpermute_b32 v141, v0, v135 offset:48
	v_mul_f64 v[142:143], v[186:187], v[196:197]
	s_waitcnt lgkmcnt(0)
	v_fmac_f64_e32 v[138:139], v[142:143], v[140:141]
	ds_bpermute_b32 v140, v0, v134 offset:52
	ds_bpermute_b32 v141, v0, v135 offset:52
	v_mul_f64 v[142:143], v[194:195], v[198:199]
	s_waitcnt lgkmcnt(0)
	v_fmac_f64_e32 v[138:139], v[142:143], v[140:141]
	ds_bpermute_b32 v140, v0, v134 offset:56
	ds_bpermute_b32 v141, v0, v135 offset:56
	v_mul_f64 v[142:143], v[192:193], v[202:203]
	s_waitcnt lgkmcnt(0)
	v_fmac_f64_e32 v[138:139], v[142:143], v[140:141]
	ds_bpermute_b32 v140, v0, v134 offset:60
	ds_bpermute_b32 v141, v0, v135 offset:60
	v_mul_f64 v[142:143], v[204:205], v[206:207]
	s_waitcnt lgkmcnt(0)
	v_fmac_f64_e32 v[138:139], v[142:143], v[140:141]
	ds_bpermute_b32 v140, v0, v134 offset:64
	ds_bpermute_b32 v141, v0, v135 offset:64
	v_mul_f64 v[142:143], v[200:201], v[208:209]
	s_waitcnt lgkmcnt(0)
	v_fmac_f64_e32 v[138:139], v[142:143], v[140:141]
	ds_bpermute_b32 v140, v0, v134 offset:68
	ds_bpermute_b32 v141, v0, v135 offset:68
	v_mul_f64 v[142:143], v[212:213], v[214:215]
	s_waitcnt lgkmcnt(0)
	v_fmac_f64_e32 v[138:139], v[142:143], v[140:141]
	ds_bpermute_b32 v140, v0, v134 offset:72
	ds_bpermute_b32 v141, v0, v135 offset:72
	v_mul_f64 v[142:143], v[210:211], v[220:221]
	s_waitcnt lgkmcnt(0)
	v_fmac_f64_e32 v[138:139], v[142:143], v[140:141]
	ds_bpermute_b32 v140, v0, v134 offset:76
	ds_bpermute_b32 v141, v0, v135 offset:76
	v_mul_f64 v[142:143], v[218:219], v[222:223]
	s_waitcnt lgkmcnt(0)
	v_fmac_f64_e32 v[138:139], v[142:143], v[140:141]
	ds_bpermute_b32 v140, v0, v134 offset:80
	ds_bpermute_b32 v141, v0, v135 offset:80
	v_mul_f64 v[142:143], v[216:217], v[226:227]
	s_waitcnt lgkmcnt(0)
	v_fmac_f64_e32 v[138:139], v[142:143], v[140:141]
	ds_bpermute_b32 v140, v0, v134 offset:84
	ds_bpermute_b32 v141, v0, v135 offset:84
	v_mul_f64 v[142:143], v[228:229], v[230:231]
	s_waitcnt lgkmcnt(0)
	v_fmac_f64_e32 v[138:139], v[142:143], v[140:141]
	ds_bpermute_b32 v140, v0, v134 offset:88
	ds_bpermute_b32 v141, v0, v135 offset:88
	v_mul_f64 v[142:143], v[224:225], v[232:233]
	s_waitcnt lgkmcnt(0)
	v_fmac_f64_e32 v[138:139], v[142:143], v[140:141]
	ds_bpermute_b32 v140, v0, v134 offset:92
	ds_bpermute_b32 v141, v0, v135 offset:92
	v_mul_f64 v[142:143], v[236:237], v[238:239]
	s_waitcnt lgkmcnt(0)
	v_fmac_f64_e32 v[138:139], v[142:143], v[140:141]
	ds_bpermute_b32 v140, v0, v134 offset:96
	ds_bpermute_b32 v141, v0, v135 offset:96
	v_mul_f64 v[142:143], v[234:235], v[244:245]
	s_waitcnt lgkmcnt(0)
	v_fmac_f64_e32 v[138:139], v[142:143], v[140:141]
	ds_bpermute_b32 v140, v0, v134 offset:100
	ds_bpermute_b32 v141, v0, v135 offset:100
	v_mul_f64 v[142:143], v[242:243], v[246:247]
	s_waitcnt lgkmcnt(0)
	v_fmac_f64_e32 v[138:139], v[142:143], v[140:141]
	ds_bpermute_b32 v140, v0, v134 offset:104
	ds_bpermute_b32 v141, v0, v135 offset:104
	s_waitcnt lgkmcnt(0)
	v_fmac_f64_e32 v[138:139], v[132:133], v[140:141]
	ds_bpermute_b32 v132, v0, v134 offset:108
	ds_bpermute_b32 v133, v0, v135 offset:108
	v_mul_f64 v[140:141], v[250:251], v[252:253]
	s_waitcnt lgkmcnt(0)
	v_fmac_f64_e32 v[138:139], v[140:141], v[132:133]
	ds_bpermute_b32 v132, v0, v134 offset:112
	ds_bpermute_b32 v133, v0, v135 offset:112
	v_mul_f64 v[140:141], v[248:249], v[254:255]
	;; [unrolled: 5-line block ×4, first 2 shown]
	s_waitcnt lgkmcnt(0)
	v_fmac_f64_e32 v[138:139], v[140:141], v[132:133]
	ds_bpermute_b32 v132, v0, v134 offset:124
	ds_bpermute_b32 v133, v0, v135 offset:124
	v_pk_mov_b32 v[134:135], v[138:139], v[138:139] op_sel:[0,1]
.LBB120_143:                            ;   in Loop: Header=BB120_3 Depth=1
	s_add_u32 s30, s30, s33
	s_waitcnt lgkmcnt(0)
	v_fmac_f64_e32 v[134:135], v[164:165], v[132:133]
	s_addc_u32 s31, s31, 0
	v_pk_mov_b32 v[132:133], s[12:13], s[12:13] op_sel:[0,1]
	v_cmp_lt_i64_e32 vcc, s[30:31], v[132:133]
	v_mov_b32_e32 v132, s9
	v_add_co_u32_e64 v2, s[10:11], s33, v2
	v_addc_co_u32_e64 v129, s[10:11], v129, v132, s[10:11]
	v_mov_b32_e32 v132, s29
	v_add_co_u32_e64 v4, s[10:11], s28, v4
	v_addc_co_u32_e64 v1, s[10:11], v1, v132, s[10:11]
	v_add_co_u32_e64 v6, s[10:11], s28, v6
	v_addc_co_u32_e64 v3, s[10:11], v3, v132, s[10:11]
	;; [unrolled: 2-line block ×63, first 2 shown]
	v_add_co_u32_e64 v130, s[10:11], s28, v130
	s_add_u32 s26, s26, s33
	v_addc_co_u32_e64 v127, s[10:11], v127, v132, s[10:11]
	s_addc_u32 s27, s27, 0
	s_cbranch_vccz .LBB120_146
; %bb.144:                              ;   in Loop: Header=BB120_3 Depth=1
	v_pk_mov_b32 v[138:139], v[134:135], v[134:135] op_sel:[0,1]
	s_branch .LBB120_3
.LBB120_145:
                                        ; implicit-def: $vgpr134_vgpr135
	s_load_dwordx2 s[2:3], s[4:5], 0x30
	s_branch .LBB120_148
.LBB120_146:
	v_accvgpr_read_b32 v132, a0
.LBB120_147:
	s_load_dwordx2 s[2:3], s[4:5], 0x30
	s_cbranch_execnz .LBB120_229
.LBB120_148:
	s_and_b64 vcc, exec, s[0:1]
	v_pk_mov_b32 v[134:135], 0, 0
	s_cbranch_vccnz .LBB120_229
; %bb.149:
	v_bfe_u32 v128, v132, 10, 10
	s_add_u32 s10, s4, 64
	s_addc_u32 s11, s5, 0
	v_lshlrev_b32_e32 v0, 8, v128
	s_lshl_b64 s[0:1], s[22:23], 3
	v_mov_b32_e32 v1, s1
	v_add_co_u32_e32 v0, vcc, s0, v0
	v_addc_co_u32_e32 v1, vcc, 0, v1, vcc
	v_add_co_u32_e32 v22, vcc, 8, v0
	v_addc_co_u32_e32 v4, vcc, 0, v1, vcc
	;; [unrolled: 2-line block ×8, first 2 shown]
	v_pk_mov_b32 v[122:123], s[16:17], s[16:17] op_sel:[0,1]
	v_add_co_u32_e32 v44, vcc, 64, v0
	v_mad_u64_u32 v[2:3], s[0:1], s14, v22, v[122:123]
	v_mul_lo_u32 v24, s14, v4
	v_mad_u64_u32 v[4:5], s[0:1], s14, v26, v[122:123]
	v_mul_lo_u32 v27, s14, v6
	v_mad_u64_u32 v[6:7], s[0:1], s14, v29, v[122:123]
	v_mul_lo_u32 v30, s14, v8
	v_mad_u64_u32 v[8:9], s[0:1], s14, v32, v[122:123]
	v_mul_lo_u32 v33, s14, v10
	v_mad_u64_u32 v[10:11], s[0:1], s14, v35, v[122:123]
	v_mul_lo_u32 v36, s14, v12
	v_mad_u64_u32 v[12:13], s[0:1], s14, v38, v[122:123]
	v_mul_lo_u32 v39, s14, v14
	v_mad_u64_u32 v[14:15], s[0:1], s14, v41, v[122:123]
	v_mul_lo_u32 v42, s14, v16
	v_mad_u64_u32 v[16:17], s[0:1], s14, v44, v[122:123]
	v_addc_co_u32_e32 v18, vcc, 0, v1, vcc
	s_movk_i32 s0, 0x48
	v_add_co_u32_e32 v47, vcc, s0, v0
	v_mul_lo_u32 v45, s14, v18
	v_mad_u64_u32 v[18:19], s[0:1], s14, v47, v[122:123]
	v_addc_co_u32_e32 v20, vcc, 0, v1, vcc
	s_movk_i32 s0, 0x50
	v_add_co_u32_e32 v50, vcc, s0, v0
	v_mul_lo_u32 v48, s14, v20
	v_addc_co_u32_e32 v23, vcc, 0, v1, vcc
	v_mad_u64_u32 v[20:21], s[0:1], s14, v50, v[122:123]
	v_pk_mov_b32 v[124:125], s[18:19], s[18:19] op_sel:[0,1]
	v_mul_lo_u32 v25, s15, v22
	v_mul_lo_u32 v51, s14, v23
	s_movk_i32 s0, 0x58
	v_mad_u64_u32 v[22:23], s[24:25], s14, v22, v[124:125]
	v_add3_u32 v3, v25, v3, v24
	v_mul_lo_u32 v28, s15, v26
	v_add3_u32 v23, v25, v23, v24
	v_add_co_u32_e32 v53, vcc, s0, v0
	v_mad_u64_u32 v[24:25], s[0:1], s14, v26, v[124:125]
	v_add3_u32 v5, v28, v5, v27
	v_mul_lo_u32 v31, s15, v29
	v_add3_u32 v25, v28, v25, v27
	v_mad_u64_u32 v[26:27], s[0:1], s14, v29, v[124:125]
	v_add3_u32 v7, v31, v7, v30
	v_mul_lo_u32 v34, s15, v32
	v_add3_u32 v27, v31, v27, v30
	v_mad_u64_u32 v[30:31], s[0:1], s14, v32, v[124:125]
	v_add3_u32 v9, v34, v9, v33
	v_mul_lo_u32 v37, s15, v35
	v_mul_lo_u32 v40, s15, v38
	v_addc_co_u32_e32 v54, vcc, 0, v1, vcc
	v_add3_u32 v31, v34, v31, v33
	s_movk_i32 s9, 0x60
	v_mad_u64_u32 v[32:33], s[0:1], s14, v35, v[124:125]
	v_mad_u64_u32 v[34:35], s[0:1], s14, v38, v[124:125]
	v_add3_u32 v13, v40, v13, v39
	v_mul_lo_u32 v46, s15, v44
	v_add3_u32 v35, v40, v35, v39
	v_add_co_u32_e32 v56, vcc, s9, v0
	v_mad_u64_u32 v[38:39], s[0:1], s14, v44, v[124:125]
	v_add3_u32 v17, v46, v17, v45
	v_mul_lo_u32 v52, s15, v50
	v_addc_co_u32_e32 v57, vcc, 0, v1, vcc
	v_add3_u32 v39, v46, v39, v45
	s_movk_i32 s9, 0x68
	v_mad_u64_u32 v[44:45], s[0:1], s14, v50, v[124:125]
	v_add3_u32 v11, v37, v11, v36
	v_mul_lo_u32 v43, s15, v41
	v_add3_u32 v21, v52, v21, v51
	v_add3_u32 v33, v37, v33, v36
	v_mad_u64_u32 v[36:37], s[0:1], s14, v41, v[124:125]
	v_add3_u32 v45, v52, v45, v51
	v_add_co_u32_e32 v52, vcc, s9, v0
	v_add3_u32 v15, v43, v15, v42
	v_mul_lo_u32 v49, s15, v47
	v_mad_u64_u32 v[28:29], s[0:1], s14, v53, v[122:123]
	v_mul_lo_u32 v54, s14, v54
	v_mul_lo_u32 v55, s15, v53
	v_add3_u32 v37, v43, v37, v42
	v_mad_u64_u32 v[42:43], s[0:1], s14, v47, v[124:125]
	v_mad_u64_u32 v[46:47], s[0:1], s14, v53, v[124:125]
	v_addc_co_u32_e32 v53, vcc, 0, v1, vcc
	v_add3_u32 v19, v49, v19, v48
	v_add3_u32 v29, v55, v29, v54
	v_mad_u64_u32 v[40:41], s[0:1], s14, v56, v[122:123]
	v_add3_u32 v43, v49, v43, v48
	v_add3_u32 v47, v55, v47, v54
	v_mad_u64_u32 v[48:49], s[0:1], s14, v56, v[124:125]
	v_mad_u64_u32 v[50:51], s[0:1], s14, v52, v[122:123]
	v_mul_lo_u32 v54, s14, v53
	v_mul_lo_u32 v55, s15, v52
	v_mad_u64_u32 v[52:53], s[0:1], s14, v52, v[124:125]
	s_movk_i32 s0, 0x70
	v_mul_lo_u32 v58, s15, v56
	v_add_co_u32_e32 v56, vcc, s0, v0
	v_mul_lo_u32 v57, s14, v57
	v_add3_u32 v51, v55, v51, v54
	v_add3_u32 v53, v55, v53, v54
	v_addc_co_u32_e32 v54, vcc, 0, v1, vcc
	v_add3_u32 v41, v58, v41, v57
	v_add3_u32 v49, v58, v49, v57
	v_mul_lo_u32 v58, s14, v54
	v_mul_lo_u32 v59, s15, v56
	v_mad_u64_u32 v[54:55], s[0:1], s14, v56, v[122:123]
	v_mad_u64_u32 v[56:57], s[0:1], s14, v56, v[124:125]
	s_movk_i32 s0, 0x78
	v_add_co_u32_e32 v60, vcc, s0, v0
	v_add3_u32 v55, v59, v55, v58
	v_add3_u32 v57, v59, v57, v58
	v_addc_co_u32_e32 v58, vcc, 0, v1, vcc
	v_mul_lo_u32 v62, s14, v58
	v_mul_lo_u32 v63, s15, v60
	v_mad_u64_u32 v[58:59], s[0:1], s14, v60, v[122:123]
	v_mad_u64_u32 v[60:61], s[0:1], s14, v60, v[124:125]
	s_movk_i32 s0, 0x80
	v_add_co_u32_e32 v64, vcc, s0, v0
	v_add3_u32 v59, v63, v59, v62
	v_add3_u32 v61, v63, v61, v62
	v_addc_co_u32_e32 v62, vcc, 0, v1, vcc
	;; [unrolled: 9-line block ×16, first 2 shown]
	v_mul_lo_u32 v126, s14, v118
	v_mul_lo_u32 v127, s15, v120
	v_mad_u64_u32 v[118:119], s[0:1], s14, v120, v[122:123]
	v_mad_u64_u32 v[120:121], s[0:1], s14, v120, v[124:125]
	s_movk_i32 s0, 0xf8
	v_add_co_u32_e32 v0, vcc, s0, v0
	v_addc_co_u32_e32 v1, vcc, 0, v1, vcc
	v_mad_u64_u32 v[122:123], s[0:1], s14, v0, v[122:123]
	v_mul_lo_u32 v1, s14, v1
	v_mad_u64_u32 v[124:125], s[0:1], s14, v0, v[124:125]
	v_mul_lo_u32 v0, s15, v0
	v_add3_u32 v123, v0, v123, v1
	v_add3_u32 v125, v0, v125, v1
	v_lshlrev_b32_e32 v0, 5, v128
	v_mov_b32_e32 v1, s23
	v_accvgpr_write_b32 a128, v0
	v_add_co_u32_e32 v0, vcc, s22, v0
	v_addc_co_u32_e32 v1, vcc, 0, v1, vcc
	v_add3_u32 v119, v127, v119, v126
	v_add3_u32 v121, v127, v121, v126
	v_add_co_u32_e32 v127, vcc, 31, v0
	v_accvgpr_write_b32 a1, v128
	v_addc_co_u32_e32 v128, vcc, 0, v1, vcc
	v_mul_lo_u32 v128, s14, v128
	v_mul_lo_u32 v129, s15, v127
	v_mov_b32_e32 v194, v132
	v_mad_u64_u32 v[132:133], s[0:1], s14, v127, 0
	v_add_co_u32_e32 v127, vcc, 30, v0
	v_add3_u32 v133, v133, v128, v129
	v_addc_co_u32_e32 v128, vcc, 0, v1, vcc
	v_mul_lo_u32 v128, s14, v128
	v_mul_lo_u32 v129, s15, v127
	v_mad_u64_u32 v[134:135], s[0:1], s14, v127, 0
	v_add_co_u32_e32 v127, vcc, 29, v0
	v_add3_u32 v135, v135, v128, v129
	v_addc_co_u32_e32 v128, vcc, 0, v1, vcc
	v_mul_lo_u32 v128, s14, v128
	v_mul_lo_u32 v129, s15, v127
	;; [unrolled: 6-line block ×29, first 2 shown]
	v_mad_u64_u32 v[190:191], s[0:1], s14, v127, 0
	v_add3_u32 v191, v191, v128, v129
	v_pk_mov_b32 v[128:129], s[14:15], s[14:15] op_sel:[0,1]
	v_mul_lo_u32 v127, s14, v1
	v_mad_u64_u32 v[192:193], s[0:1], s14, v0, v[128:129]
	v_mul_lo_u32 v128, s15, v0
	v_mad_u64_u32 v[0:1], s[0:1], s14, v0, 0
	v_add3_u32 v1, v1, v127, v128
	v_lshlrev_b64 v[130:131], 3, v[0:1]
	v_mov_b32_e32 v0, s17
	v_add_co_u32_e32 v196, vcc, s16, v130
	v_addc_co_u32_e32 v1, vcc, v0, v131, vcc
	v_add3_u32 v193, v128, v193, v127
	v_mov_b32_e32 v128, s19
	v_add_co_u32_e32 v130, vcc, s18, v130
	v_addc_co_u32_e32 v127, vcc, v128, v131, vcc
	v_lshlrev_b64 v[132:133], 3, v[132:133]
	v_accvgpr_write_b32 a4, v130
	v_add_co_u32_e32 v130, vcc, s16, v132
	v_addc_co_u32_e32 v129, vcc, v0, v133, vcc
	v_accvgpr_write_b32 a6, v130
	v_add_co_u32_e32 v130, vcc, s18, v132
	v_accvgpr_write_b32 a3, v129
	v_addc_co_u32_e32 v129, vcc, v128, v133, vcc
	v_lshlrev_b64 v[132:133], 3, v[134:135]
	v_accvgpr_write_b32 a8, v130
	v_add_co_u32_e32 v130, vcc, s16, v132
	v_accvgpr_write_b32 a5, v129
	v_addc_co_u32_e32 v129, vcc, v0, v133, vcc
	v_accvgpr_write_b32 a10, v130
	v_add_co_u32_e32 v130, vcc, s18, v132
	v_accvgpr_write_b32 a7, v129
	v_addc_co_u32_e32 v129, vcc, v128, v133, vcc
	v_lshlrev_b64 v[132:133], 3, v[136:137]
	v_accvgpr_write_b32 a12, v130
	v_add_co_u32_e32 v130, vcc, s16, v132
	v_accvgpr_write_b32 a9, v129
	;; [unrolled: 9-line block ×29, first 2 shown]
	v_addc_co_u32_e32 v129, vcc, v0, v133, vcc
	v_accvgpr_write_b32 a122, v130
	v_add_co_u32_e32 v130, vcc, s18, v132
	v_accvgpr_write_b32 a119, v129
	v_addc_co_u32_e32 v129, vcc, v128, v133, vcc
	v_lshlrev_b64 v[132:133], 3, v[192:193]
	s_load_dword s0, s[4:5], 0x44
	v_add_co_u32_e32 v252, vcc, s16, v132
	v_accvgpr_write_b32 a121, v129
	v_addc_co_u32_e32 v129, vcc, v0, v133, vcc
	v_add_co_u32_e32 v0, vcc, s18, v132
	v_accvgpr_write_b32 a126, v0
	v_and_b32_e32 v0, 0x3ff, v194
	v_accvgpr_write_b32 a123, v129
	v_addc_co_u32_e32 v129, vcc, v128, v133, vcc
	v_accvgpr_write_b32 a127, v0
	v_add_u32_e32 v128, s7, v0
	s_waitcnt lgkmcnt(0)
	s_lshl_b32 s7, s0, 5
	v_mbcnt_lo_u32_b32 v0, -1, 0
	s_mul_i32 s0, s15, s7
	s_mul_hi_u32 s1, s14, s7
	v_mbcnt_hi_u32_b32 v0, -1, v0
	v_accvgpr_write_b32 a125, v129
	v_mov_b32_e32 v129, 0
	s_add_i32 s1, s1, s0
	s_mul_i32 s0, s14, s7
	v_lshlrev_b32_e32 v0, 2, v0
	v_accvgpr_write_b32 a2, v196
	v_accvgpr_write_b32 a135, v127
	;; [unrolled: 1-line block ×3, first 2 shown]
	s_mov_b32 s9, 0
	v_accvgpr_write_b32 a0, v194
	s_lshl_b64 s[16:17], s[0:1], 3
	s_mov_b64 s[18:19], 31
	v_and_b32_e32 v0, 0x100, v0
	s_mov_b64 s[24:25], s[22:23]
	v_mov_b32_e32 v253, v129
	v_accvgpr_write_b32 a129, v129
	v_lshlrev_b64 v[132:133], 3, v[128:129]
	v_pk_mov_b32 v[136:137], 0, 0
.LBB120_150:                            ; =>This Inner Loop Header: Depth=1
	s_add_u32 s0, s22, s18
	s_addc_u32 s1, 0, s19
	v_pk_mov_b32 v[134:135], s[12:13], s[12:13] op_sel:[0,1]
	v_accvgpr_read_b32 v126, a128
	v_cmp_ge_i64_e32 vcc, s[0:1], v[134:135]
	v_mov_b32_e32 v128, s23
	v_add_co_u32_e64 v138, s[0:1], s22, v126
	v_addc_co_u32_e64 v139, s[0:1], v128, v253, s[0:1]
	s_cbranch_vccz .LBB120_220
; %bb.151:                              ;   in Loop: Header=BB120_150 Depth=1
	s_load_dword s0, s[10:11], 0xc
	v_accvgpr_read_b32 v128, a1
	v_accvgpr_read_b32 v129, a127
	v_pk_mov_b32 v[134:135], 0, 0
	v_pk_mov_b32 v[140:141], v[134:135], v[134:135] op_sel:[0,1]
	s_waitcnt lgkmcnt(0)
	s_and_b32 s0, s0, 0xffff
	v_mad_u32_u24 v128, v128, s0, v129
	v_and_b32_e32 v142, 63, v128
	v_cmp_gt_u32_e32 vcc, 32, v142
	s_and_saveexec_b64 s[0:1], vcc
	s_cbranch_execz .LBB120_155
; %bb.152:                              ;   in Loop: Header=BB120_150 Depth=1
	v_add_co_u32_e32 v142, vcc, v138, v142
	v_addc_co_u32_e32 v143, vcc, 0, v139, vcc
	v_cmp_gt_i64_e32 vcc, s[12:13], v[142:143]
	v_pk_mov_b32 v[140:141], 0, 0
	s_and_saveexec_b64 s[26:27], vcc
	s_cbranch_execz .LBB120_154
; %bb.153:                              ;   in Loop: Header=BB120_150 Depth=1
	v_lshlrev_b64 v[140:141], 3, v[142:143]
	v_mov_b32_e32 v128, s21
	v_add_co_u32_e32 v140, vcc, s20, v140
	v_addc_co_u32_e32 v141, vcc, v128, v141, vcc
	global_load_dwordx2 v[140:141], v[140:141], off
.LBB120_154:                            ;   in Loop: Header=BB120_150 Depth=1
	s_or_b64 exec, exec, s[26:27]
.LBB120_155:                            ;   in Loop: Header=BB120_150 Depth=1
	s_or_b64 exec, exec, s[0:1]
	v_cmp_gt_i64_e32 vcc, s[12:13], v[138:139]
	v_pk_mov_b32 v[130:131], v[134:135], v[134:135] op_sel:[0,1]
	s_and_saveexec_b64 s[0:1], vcc
	s_cbranch_execz .LBB120_157
; %bb.156:                              ;   in Loop: Header=BB120_150 Depth=1
	v_accvgpr_read_b32 v128, a2
	v_add_co_u32_e32 v134, vcc, v128, v132
	v_addc_co_u32_e32 v135, vcc, v1, v133, vcc
	v_accvgpr_read_b32 v128, a4
	v_add_co_u32_e32 v142, vcc, v128, v132
	v_accvgpr_read_b32 v127, a135
	v_addc_co_u32_e32 v143, vcc, v127, v133, vcc
	global_load_dwordx2 v[134:135], v[134:135], off
	s_nop 0
	global_load_dwordx2 v[130:131], v[142:143], off
.LBB120_157:                            ;   in Loop: Header=BB120_150 Depth=1
	s_or_b64 exec, exec, s[0:1]
	v_add_co_u32_e32 v142, vcc, 1, v138
	v_addc_co_u32_e32 v143, vcc, 0, v139, vcc
	v_cmp_gt_i64_e32 vcc, s[12:13], v[142:143]
	v_pk_mov_b32 v[142:143], 0, 0
	v_accvgpr_write_b32 a130, v142
	v_accvgpr_write_b32 a131, v143
	v_pk_mov_b32 v[128:129], v[142:143], v[142:143] op_sel:[0,1]
	s_and_saveexec_b64 s[0:1], vcc
	s_cbranch_execz .LBB120_159
; %bb.158:                              ;   in Loop: Header=BB120_150 Depth=1
	v_add_co_u32_e32 v144, vcc, v252, v132
	v_accvgpr_read_b32 v129, a123
	v_addc_co_u32_e32 v145, vcc, v129, v133, vcc
	v_accvgpr_read_b32 v128, a126
	global_load_dwordx2 a[130:131], v[144:145], off
	v_add_co_u32_e32 v144, vcc, v128, v132
	v_accvgpr_read_b32 v129, a125
	v_addc_co_u32_e32 v145, vcc, v129, v133, vcc
	global_load_dwordx2 v[128:129], v[144:145], off
.LBB120_159:                            ;   in Loop: Header=BB120_150 Depth=1
	s_or_b64 exec, exec, s[0:1]
	v_add_co_u32_e32 v144, vcc, 2, v138
	s_waitcnt vmcnt(0)
	v_accvgpr_write_b32 a133, v129
	v_addc_co_u32_e32 v145, vcc, 0, v139, vcc
	v_accvgpr_write_b32 a132, v128
	v_cmp_gt_i64_e32 vcc, s[12:13], v[144:145]
	v_pk_mov_b32 v[126:127], v[142:143], v[142:143] op_sel:[0,1]
	s_and_saveexec_b64 s[0:1], vcc
	s_cbranch_execz .LBB120_161
; %bb.160:                              ;   in Loop: Header=BB120_150 Depth=1
	v_accvgpr_read_b32 v128, a122
	v_add_co_u32_e32 v142, vcc, v128, v132
	v_accvgpr_read_b32 v129, a119
	v_addc_co_u32_e32 v143, vcc, v129, v133, vcc
	v_accvgpr_read_b32 v128, a124
	v_add_co_u32_e32 v144, vcc, v128, v132
	v_accvgpr_read_b32 v129, a121
	v_addc_co_u32_e32 v145, vcc, v129, v133, vcc
	global_load_dwordx2 v[142:143], v[142:143], off
	s_nop 0
	global_load_dwordx2 v[126:127], v[144:145], off
.LBB120_161:                            ;   in Loop: Header=BB120_150 Depth=1
	s_or_b64 exec, exec, s[0:1]
	v_add_co_u32_e32 v144, vcc, 3, v138
	v_pk_mov_b32 v[150:151], 0, 0
	v_addc_co_u32_e32 v145, vcc, 0, v139, vcc
	v_accvgpr_write_b32 a138, v150
	v_cmp_gt_i64_e32 vcc, s[12:13], v[144:145]
	v_accvgpr_write_b32 a139, v151
	v_pk_mov_b32 v[128:129], v[150:151], v[150:151] op_sel:[0,1]
	s_and_saveexec_b64 s[0:1], vcc
	s_cbranch_execz .LBB120_163
; %bb.162:                              ;   in Loop: Header=BB120_150 Depth=1
	v_accvgpr_read_b32 v128, a118
	v_add_co_u32_e32 v144, vcc, v128, v132
	v_accvgpr_read_b32 v129, a115
	v_addc_co_u32_e32 v145, vcc, v129, v133, vcc
	v_accvgpr_read_b32 v128, a120
	global_load_dwordx2 a[138:139], v[144:145], off
	v_add_co_u32_e32 v144, vcc, v128, v132
	v_accvgpr_read_b32 v129, a117
	v_addc_co_u32_e32 v145, vcc, v129, v133, vcc
	global_load_dwordx2 v[128:129], v[144:145], off
.LBB120_163:                            ;   in Loop: Header=BB120_150 Depth=1
	s_or_b64 exec, exec, s[0:1]
	v_add_co_u32_e32 v144, vcc, 4, v138
	s_waitcnt vmcnt(0)
	v_accvgpr_write_b32 a141, v129
	v_addc_co_u32_e32 v145, vcc, 0, v139, vcc
	v_accvgpr_write_b32 a140, v128
	v_cmp_gt_i64_e32 vcc, s[12:13], v[144:145]
	v_pk_mov_b32 v[158:159], v[150:151], v[150:151] op_sel:[0,1]
	s_and_saveexec_b64 s[0:1], vcc
	s_cbranch_execz .LBB120_165
; %bb.164:                              ;   in Loop: Header=BB120_150 Depth=1
	v_accvgpr_read_b32 v128, a114
	v_add_co_u32_e32 v144, vcc, v128, v132
	v_accvgpr_read_b32 v129, a111
	v_addc_co_u32_e32 v145, vcc, v129, v133, vcc
	v_accvgpr_read_b32 v128, a116
	global_load_dwordx2 v[150:151], v[144:145], off
	v_add_co_u32_e32 v144, vcc, v128, v132
	v_accvgpr_read_b32 v129, a113
	v_addc_co_u32_e32 v145, vcc, v129, v133, vcc
	global_load_dwordx2 v[158:159], v[144:145], off
.LBB120_165:                            ;   in Loop: Header=BB120_150 Depth=1
	s_or_b64 exec, exec, s[0:1]
	v_add_co_u32_e32 v144, vcc, 5, v138
	v_addc_co_u32_e32 v145, vcc, 0, v139, vcc
	v_pk_mov_b32 v[160:161], 0, 0
	v_cmp_gt_i64_e32 vcc, s[12:13], v[144:145]
	v_pk_mov_b32 v[162:163], v[160:161], v[160:161] op_sel:[0,1]
	v_pk_mov_b32 v[164:165], v[160:161], v[160:161] op_sel:[0,1]
	s_and_saveexec_b64 s[0:1], vcc
	s_cbranch_execz .LBB120_167
; %bb.166:                              ;   in Loop: Header=BB120_150 Depth=1
	v_accvgpr_read_b32 v128, a110
	v_add_co_u32_e32 v144, vcc, v128, v132
	v_accvgpr_read_b32 v129, a107
	v_addc_co_u32_e32 v145, vcc, v129, v133, vcc
	v_accvgpr_read_b32 v128, a112
	global_load_dwordx2 v[162:163], v[144:145], off
	v_add_co_u32_e32 v144, vcc, v128, v132
	v_accvgpr_read_b32 v129, a109
	v_addc_co_u32_e32 v145, vcc, v129, v133, vcc
	global_load_dwordx2 v[164:165], v[144:145], off
.LBB120_167:                            ;   in Loop: Header=BB120_150 Depth=1
	s_or_b64 exec, exec, s[0:1]
	v_add_co_u32_e32 v144, vcc, 6, v138
	v_addc_co_u32_e32 v145, vcc, 0, v139, vcc
	v_cmp_gt_i64_e32 vcc, s[12:13], v[144:145]
	v_pk_mov_b32 v[168:169], v[160:161], v[160:161] op_sel:[0,1]
	s_and_saveexec_b64 s[0:1], vcc
	s_cbranch_execz .LBB120_169
; %bb.168:                              ;   in Loop: Header=BB120_150 Depth=1
	v_accvgpr_read_b32 v128, a106
	v_add_co_u32_e32 v144, vcc, v128, v132
	v_accvgpr_read_b32 v129, a103
	v_addc_co_u32_e32 v145, vcc, v129, v133, vcc
	v_accvgpr_read_b32 v128, a108
	global_load_dwordx2 v[160:161], v[144:145], off
	v_add_co_u32_e32 v144, vcc, v128, v132
	v_accvgpr_read_b32 v129, a105
	v_addc_co_u32_e32 v145, vcc, v129, v133, vcc
	global_load_dwordx2 v[168:169], v[144:145], off
.LBB120_169:                            ;   in Loop: Header=BB120_150 Depth=1
	s_or_b64 exec, exec, s[0:1]
	v_add_co_u32_e32 v144, vcc, 7, v138
	v_addc_co_u32_e32 v145, vcc, 0, v139, vcc
	v_pk_mov_b32 v[166:167], 0, 0
	v_cmp_gt_i64_e32 vcc, s[12:13], v[144:145]
	v_pk_mov_b32 v[170:171], v[166:167], v[166:167] op_sel:[0,1]
	v_pk_mov_b32 v[172:173], v[166:167], v[166:167] op_sel:[0,1]
	s_and_saveexec_b64 s[0:1], vcc
	s_cbranch_execz .LBB120_171
; %bb.170:                              ;   in Loop: Header=BB120_150 Depth=1
	v_accvgpr_read_b32 v128, a102
	v_add_co_u32_e32 v144, vcc, v128, v132
	v_accvgpr_read_b32 v129, a99
	v_addc_co_u32_e32 v145, vcc, v129, v133, vcc
	v_accvgpr_read_b32 v128, a104
	global_load_dwordx2 v[170:171], v[144:145], off
	v_add_co_u32_e32 v144, vcc, v128, v132
	v_accvgpr_read_b32 v129, a101
	v_addc_co_u32_e32 v145, vcc, v129, v133, vcc
	global_load_dwordx2 v[172:173], v[144:145], off
.LBB120_171:                            ;   in Loop: Header=BB120_150 Depth=1
	s_or_b64 exec, exec, s[0:1]
	v_add_co_u32_e32 v144, vcc, 8, v138
	v_addc_co_u32_e32 v145, vcc, 0, v139, vcc
	v_cmp_gt_i64_e32 vcc, s[12:13], v[144:145]
	v_pk_mov_b32 v[176:177], v[166:167], v[166:167] op_sel:[0,1]
	s_and_saveexec_b64 s[0:1], vcc
	s_cbranch_execz .LBB120_173
; %bb.172:                              ;   in Loop: Header=BB120_150 Depth=1
	v_accvgpr_read_b32 v128, a98
	v_add_co_u32_e32 v144, vcc, v128, v132
	v_accvgpr_read_b32 v129, a95
	v_addc_co_u32_e32 v145, vcc, v129, v133, vcc
	v_accvgpr_read_b32 v128, a100
	global_load_dwordx2 v[166:167], v[144:145], off
	v_add_co_u32_e32 v144, vcc, v128, v132
	v_accvgpr_read_b32 v129, a97
	v_addc_co_u32_e32 v145, vcc, v129, v133, vcc
	global_load_dwordx2 v[176:177], v[144:145], off
.LBB120_173:                            ;   in Loop: Header=BB120_150 Depth=1
	s_or_b64 exec, exec, s[0:1]
	v_add_co_u32_e32 v144, vcc, 9, v138
	v_addc_co_u32_e32 v145, vcc, 0, v139, vcc
	v_pk_mov_b32 v[174:175], 0, 0
	v_cmp_gt_i64_e32 vcc, s[12:13], v[144:145]
	v_pk_mov_b32 v[144:145], v[174:175], v[174:175] op_sel:[0,1]
	v_pk_mov_b32 v[178:179], v[174:175], v[174:175] op_sel:[0,1]
	s_and_saveexec_b64 s[0:1], vcc
	s_cbranch_execz .LBB120_175
; %bb.174:                              ;   in Loop: Header=BB120_150 Depth=1
	v_accvgpr_read_b32 v128, a94
	v_add_co_u32_e32 v144, vcc, v128, v132
	v_accvgpr_read_b32 v129, a91
	v_addc_co_u32_e32 v145, vcc, v129, v133, vcc
	v_accvgpr_read_b32 v128, a96
	v_add_co_u32_e32 v146, vcc, v128, v132
	v_accvgpr_read_b32 v129, a93
	v_addc_co_u32_e32 v147, vcc, v129, v133, vcc
	global_load_dwordx2 v[144:145], v[144:145], off
	s_nop 0
	global_load_dwordx2 v[178:179], v[146:147], off
.LBB120_175:                            ;   in Loop: Header=BB120_150 Depth=1
	s_or_b64 exec, exec, s[0:1]
	v_add_co_u32_e32 v146, vcc, 10, v138
	v_addc_co_u32_e32 v147, vcc, 0, v139, vcc
	v_cmp_gt_i64_e32 vcc, s[12:13], v[146:147]
	v_pk_mov_b32 v[180:181], v[174:175], v[174:175] op_sel:[0,1]
	s_and_saveexec_b64 s[0:1], vcc
	s_cbranch_execz .LBB120_177
; %bb.176:                              ;   in Loop: Header=BB120_150 Depth=1
	v_accvgpr_read_b32 v128, a90
	v_add_co_u32_e32 v146, vcc, v128, v132
	v_accvgpr_read_b32 v129, a87
	v_addc_co_u32_e32 v147, vcc, v129, v133, vcc
	v_accvgpr_read_b32 v128, a92
	global_load_dwordx2 v[174:175], v[146:147], off
	v_add_co_u32_e32 v146, vcc, v128, v132
	v_accvgpr_read_b32 v129, a89
	v_addc_co_u32_e32 v147, vcc, v129, v133, vcc
	global_load_dwordx2 v[180:181], v[146:147], off
.LBB120_177:                            ;   in Loop: Header=BB120_150 Depth=1
	s_or_b64 exec, exec, s[0:1]
	v_add_co_u32_e32 v146, vcc, 11, v138
	v_addc_co_u32_e32 v147, vcc, 0, v139, vcc
	v_pk_mov_b32 v[182:183], 0, 0
	v_cmp_gt_i64_e32 vcc, s[12:13], v[146:147]
	v_pk_mov_b32 v[184:185], v[182:183], v[182:183] op_sel:[0,1]
	v_pk_mov_b32 v[186:187], v[182:183], v[182:183] op_sel:[0,1]
	s_and_saveexec_b64 s[0:1], vcc
	s_cbranch_execz .LBB120_179
; %bb.178:                              ;   in Loop: Header=BB120_150 Depth=1
	v_accvgpr_read_b32 v128, a86
	v_add_co_u32_e32 v146, vcc, v128, v132
	v_accvgpr_read_b32 v129, a83
	v_addc_co_u32_e32 v147, vcc, v129, v133, vcc
	v_accvgpr_read_b32 v128, a88
	global_load_dwordx2 v[184:185], v[146:147], off
	v_add_co_u32_e32 v146, vcc, v128, v132
	v_accvgpr_read_b32 v129, a85
	v_addc_co_u32_e32 v147, vcc, v129, v133, vcc
	global_load_dwordx2 v[186:187], v[146:147], off
.LBB120_179:                            ;   in Loop: Header=BB120_150 Depth=1
	s_or_b64 exec, exec, s[0:1]
	v_add_co_u32_e32 v146, vcc, 12, v138
	v_addc_co_u32_e32 v147, vcc, 0, v139, vcc
	v_cmp_gt_i64_e32 vcc, s[12:13], v[146:147]
	v_pk_mov_b32 v[190:191], v[182:183], v[182:183] op_sel:[0,1]
	s_and_saveexec_b64 s[0:1], vcc
	s_cbranch_execz .LBB120_181
; %bb.180:                              ;   in Loop: Header=BB120_150 Depth=1
	v_accvgpr_read_b32 v128, a82
	v_add_co_u32_e32 v146, vcc, v128, v132
	v_accvgpr_read_b32 v129, a79
	v_addc_co_u32_e32 v147, vcc, v129, v133, vcc
	v_accvgpr_read_b32 v128, a84
	global_load_dwordx2 v[182:183], v[146:147], off
	v_add_co_u32_e32 v146, vcc, v128, v132
	v_accvgpr_read_b32 v129, a81
	v_addc_co_u32_e32 v147, vcc, v129, v133, vcc
	global_load_dwordx2 v[190:191], v[146:147], off
.LBB120_181:                            ;   in Loop: Header=BB120_150 Depth=1
	s_or_b64 exec, exec, s[0:1]
	v_add_co_u32_e32 v146, vcc, 13, v138
	v_addc_co_u32_e32 v147, vcc, 0, v139, vcc
	v_pk_mov_b32 v[188:189], 0, 0
	v_cmp_gt_i64_e32 vcc, s[12:13], v[146:147]
	v_pk_mov_b32 v[192:193], v[188:189], v[188:189] op_sel:[0,1]
	v_pk_mov_b32 v[146:147], v[188:189], v[188:189] op_sel:[0,1]
	s_and_saveexec_b64 s[0:1], vcc
	s_cbranch_execz .LBB120_183
; %bb.182:                              ;   in Loop: Header=BB120_150 Depth=1
	v_accvgpr_read_b32 v128, a78
	v_add_co_u32_e32 v146, vcc, v128, v132
	v_accvgpr_read_b32 v129, a75
	v_addc_co_u32_e32 v147, vcc, v129, v133, vcc
	v_accvgpr_read_b32 v128, a80
	global_load_dwordx2 v[192:193], v[146:147], off
	v_add_co_u32_e32 v146, vcc, v128, v132
	v_accvgpr_read_b32 v129, a77
	v_addc_co_u32_e32 v147, vcc, v129, v133, vcc
	global_load_dwordx2 v[146:147], v[146:147], off
.LBB120_183:                            ;   in Loop: Header=BB120_150 Depth=1
	;; [unrolled: 40-line block ×5, first 2 shown]
	s_or_b64 exec, exec, s[0:1]
	v_add_co_u32_e32 v148, vcc, 20, v138
	v_addc_co_u32_e32 v149, vcc, 0, v139, vcc
	v_cmp_gt_i64_e32 vcc, s[12:13], v[148:149]
	v_pk_mov_b32 v[218:219], v[210:211], v[210:211] op_sel:[0,1]
	s_and_saveexec_b64 s[0:1], vcc
	s_cbranch_execz .LBB120_197
; %bb.196:                              ;   in Loop: Header=BB120_150 Depth=1
	v_accvgpr_read_b32 v128, a50
	v_add_co_u32_e32 v148, vcc, v128, v132
	v_accvgpr_read_b32 v129, a47
	v_addc_co_u32_e32 v149, vcc, v129, v133, vcc
	v_accvgpr_read_b32 v128, a52
	global_load_dwordx2 v[210:211], v[148:149], off
	v_add_co_u32_e32 v148, vcc, v128, v132
	v_accvgpr_read_b32 v129, a49
	v_addc_co_u32_e32 v149, vcc, v129, v133, vcc
	global_load_dwordx2 v[218:219], v[148:149], off
.LBB120_197:                            ;   in Loop: Header=BB120_150 Depth=1
	s_or_b64 exec, exec, s[0:1]
	v_add_co_u32_e32 v148, vcc, 21, v138
	v_addc_co_u32_e32 v149, vcc, 0, v139, vcc
	v_cmp_gt_i64_e32 vcc, s[12:13], v[148:149]
	v_pk_mov_b32 v[148:149], 0, 0
	v_pk_mov_b32 v[220:221], v[148:149], v[148:149] op_sel:[0,1]
	v_pk_mov_b32 v[222:223], v[148:149], v[148:149] op_sel:[0,1]
	s_and_saveexec_b64 s[0:1], vcc
	s_cbranch_execz .LBB120_199
; %bb.198:                              ;   in Loop: Header=BB120_150 Depth=1
	v_accvgpr_read_b32 v128, a46
	v_add_co_u32_e32 v152, vcc, v128, v132
	v_accvgpr_read_b32 v129, a43
	v_addc_co_u32_e32 v153, vcc, v129, v133, vcc
	v_accvgpr_read_b32 v128, a48
	global_load_dwordx2 v[220:221], v[152:153], off
	v_add_co_u32_e32 v152, vcc, v128, v132
	v_accvgpr_read_b32 v129, a45
	v_addc_co_u32_e32 v153, vcc, v129, v133, vcc
	global_load_dwordx2 v[222:223], v[152:153], off
.LBB120_199:                            ;   in Loop: Header=BB120_150 Depth=1
	s_or_b64 exec, exec, s[0:1]
	v_add_co_u32_e32 v152, vcc, 22, v138
	v_addc_co_u32_e32 v153, vcc, 0, v139, vcc
	v_cmp_gt_i64_e32 vcc, s[12:13], v[152:153]
	v_pk_mov_b32 v[224:225], v[148:149], v[148:149] op_sel:[0,1]
	s_and_saveexec_b64 s[0:1], vcc
	s_cbranch_execz .LBB120_201
; %bb.200:                              ;   in Loop: Header=BB120_150 Depth=1
	v_accvgpr_read_b32 v128, a42
	v_add_co_u32_e32 v148, vcc, v128, v132
	v_accvgpr_read_b32 v129, a39
	v_addc_co_u32_e32 v149, vcc, v129, v133, vcc
	v_accvgpr_read_b32 v128, a44
	v_add_co_u32_e32 v152, vcc, v128, v132
	v_accvgpr_read_b32 v129, a41
	v_addc_co_u32_e32 v153, vcc, v129, v133, vcc
	global_load_dwordx2 v[148:149], v[148:149], off
	s_nop 0
	global_load_dwordx2 v[224:225], v[152:153], off
.LBB120_201:                            ;   in Loop: Header=BB120_150 Depth=1
	s_or_b64 exec, exec, s[0:1]
	v_add_co_u32_e32 v152, vcc, 23, v138
	v_addc_co_u32_e32 v153, vcc, 0, v139, vcc
	v_pk_mov_b32 v[226:227], 0, 0
	v_cmp_gt_i64_e32 vcc, s[12:13], v[152:153]
	v_pk_mov_b32 v[228:229], v[226:227], v[226:227] op_sel:[0,1]
	v_pk_mov_b32 v[230:231], v[226:227], v[226:227] op_sel:[0,1]
	s_and_saveexec_b64 s[0:1], vcc
	s_cbranch_execz .LBB120_203
; %bb.202:                              ;   in Loop: Header=BB120_150 Depth=1
	v_accvgpr_read_b32 v128, a38
	v_add_co_u32_e32 v152, vcc, v128, v132
	v_accvgpr_read_b32 v129, a35
	v_addc_co_u32_e32 v153, vcc, v129, v133, vcc
	v_accvgpr_read_b32 v128, a40
	global_load_dwordx2 v[228:229], v[152:153], off
	v_add_co_u32_e32 v152, vcc, v128, v132
	v_accvgpr_read_b32 v129, a37
	v_addc_co_u32_e32 v153, vcc, v129, v133, vcc
	global_load_dwordx2 v[230:231], v[152:153], off
.LBB120_203:                            ;   in Loop: Header=BB120_150 Depth=1
	s_or_b64 exec, exec, s[0:1]
	v_add_co_u32_e32 v152, vcc, 24, v138
	v_addc_co_u32_e32 v153, vcc, 0, v139, vcc
	v_cmp_gt_i64_e32 vcc, s[12:13], v[152:153]
	v_pk_mov_b32 v[234:235], v[226:227], v[226:227] op_sel:[0,1]
	s_and_saveexec_b64 s[0:1], vcc
	s_cbranch_execz .LBB120_205
; %bb.204:                              ;   in Loop: Header=BB120_150 Depth=1
	v_accvgpr_read_b32 v128, a34
	v_add_co_u32_e32 v152, vcc, v128, v132
	v_accvgpr_read_b32 v129, a31
	v_addc_co_u32_e32 v153, vcc, v129, v133, vcc
	v_accvgpr_read_b32 v128, a36
	global_load_dwordx2 v[226:227], v[152:153], off
	v_add_co_u32_e32 v152, vcc, v128, v132
	v_accvgpr_read_b32 v129, a33
	v_addc_co_u32_e32 v153, vcc, v129, v133, vcc
	global_load_dwordx2 v[234:235], v[152:153], off
.LBB120_205:                            ;   in Loop: Header=BB120_150 Depth=1
	s_or_b64 exec, exec, s[0:1]
	v_add_co_u32_e32 v152, vcc, 25, v138
	v_addc_co_u32_e32 v153, vcc, 0, v139, vcc
	v_pk_mov_b32 v[232:233], 0, 0
	v_cmp_gt_i64_e32 vcc, s[12:13], v[152:153]
	v_pk_mov_b32 v[236:237], v[232:233], v[232:233] op_sel:[0,1]
	v_pk_mov_b32 v[238:239], v[232:233], v[232:233] op_sel:[0,1]
	s_and_saveexec_b64 s[0:1], vcc
	s_cbranch_execz .LBB120_207
; %bb.206:                              ;   in Loop: Header=BB120_150 Depth=1
	v_accvgpr_read_b32 v128, a30
	v_add_co_u32_e32 v152, vcc, v128, v132
	v_accvgpr_read_b32 v129, a27
	v_addc_co_u32_e32 v153, vcc, v129, v133, vcc
	v_accvgpr_read_b32 v128, a32
	global_load_dwordx2 v[236:237], v[152:153], off
	v_add_co_u32_e32 v152, vcc, v128, v132
	v_accvgpr_read_b32 v129, a29
	v_addc_co_u32_e32 v153, vcc, v129, v133, vcc
	global_load_dwordx2 v[238:239], v[152:153], off
.LBB120_207:                            ;   in Loop: Header=BB120_150 Depth=1
	s_or_b64 exec, exec, s[0:1]
	v_add_co_u32_e32 v152, vcc, 26, v138
	v_addc_co_u32_e32 v153, vcc, 0, v139, vcc
	v_cmp_gt_i64_e32 vcc, s[12:13], v[152:153]
	v_pk_mov_b32 v[242:243], v[232:233], v[232:233] op_sel:[0,1]
	s_and_saveexec_b64 s[0:1], vcc
	s_cbranch_execz .LBB120_209
; %bb.208:                              ;   in Loop: Header=BB120_150 Depth=1
	v_accvgpr_read_b32 v128, a26
	v_add_co_u32_e32 v152, vcc, v128, v132
	v_accvgpr_read_b32 v129, a23
	v_addc_co_u32_e32 v153, vcc, v129, v133, vcc
	v_accvgpr_read_b32 v128, a28
	global_load_dwordx2 v[232:233], v[152:153], off
	v_add_co_u32_e32 v152, vcc, v128, v132
	v_accvgpr_read_b32 v129, a25
	v_addc_co_u32_e32 v153, vcc, v129, v133, vcc
	global_load_dwordx2 v[242:243], v[152:153], off
.LBB120_209:                            ;   in Loop: Header=BB120_150 Depth=1
	;; [unrolled: 40-line block ×4, first 2 shown]
	s_or_b64 exec, exec, s[0:1]
	v_add_co_u32_e32 v156, vcc, 31, v138
	v_accvgpr_write_b32 a137, v127
	v_addc_co_u32_e32 v157, vcc, 0, v139, vcc
	v_accvgpr_write_b32 a136, v126
	v_cmp_gt_i64_e32 vcc, s[12:13], v[156:157]
	v_pk_mov_b32 v[156:157], 0, 0
	s_and_saveexec_b64 s[0:1], vcc
	s_cbranch_execz .LBB120_219
; %bb.218:                              ;   in Loop: Header=BB120_150 Depth=1
	v_accvgpr_read_b32 v128, a6
	v_add_co_u32_e32 v156, vcc, v128, v132
	v_accvgpr_read_b32 v129, a3
	v_addc_co_u32_e32 v157, vcc, v129, v133, vcc
	v_accvgpr_read_b32 v128, a8
	v_add_co_u32_e32 v128, vcc, v128, v132
	v_accvgpr_read_b32 v129, a5
	v_addc_co_u32_e32 v129, vcc, v129, v133, vcc
	global_load_dwordx2 v[156:157], v[156:157], off
	s_nop 0
	global_load_dwordx2 v[128:129], v[128:129], off
	s_waitcnt vmcnt(0)
	v_mul_f64 v[156:157], v[156:157], v[128:129]
.LBB120_219:                            ;   in Loop: Header=BB120_150 Depth=1
	s_or_b64 exec, exec, s[0:1]
	ds_bpermute_b32 v128, v0, v140
	ds_bpermute_b32 v129, v0, v141
	v_mul_f64 v[134:135], v[134:135], v[130:131]
	v_accvgpr_read_b32 v130, a130
	v_accvgpr_read_b32 v126, a132
	;; [unrolled: 1-line block ×3, first 2 shown]
	s_waitcnt lgkmcnt(0)
	v_fma_f64 v[134:135], v[134:135], v[128:129], v[136:137]
	ds_bpermute_b32 v128, v0, v140 offset:4
	ds_bpermute_b32 v129, v0, v141 offset:4
	v_accvgpr_read_b32 v127, a133
	v_mul_f64 v[130:131], v[130:131], v[126:127]
	v_accvgpr_read_b32 v126, a136
	v_accvgpr_read_b32 v127, a137
	s_waitcnt lgkmcnt(0)
	v_fmac_f64_e32 v[134:135], v[130:131], v[128:129]
	ds_bpermute_b32 v128, v0, v140 offset:8
	ds_bpermute_b32 v129, v0, v141 offset:8
	v_mul_f64 v[130:131], v[142:143], v[126:127]
	v_accvgpr_read_b32 v126, a138
	v_accvgpr_read_b32 v127, a139
	s_waitcnt lgkmcnt(0)
	v_fmac_f64_e32 v[134:135], v[130:131], v[128:129]
	ds_bpermute_b32 v128, v0, v140 offset:12
	ds_bpermute_b32 v129, v0, v141 offset:12
	v_accvgpr_read_b32 v130, a140
	v_accvgpr_read_b32 v131, a141
	v_mul_f64 v[130:131], v[126:127], v[130:131]
	s_waitcnt lgkmcnt(0)
	v_fmac_f64_e32 v[134:135], v[130:131], v[128:129]
	ds_bpermute_b32 v128, v0, v140 offset:16
	ds_bpermute_b32 v129, v0, v141 offset:16
	s_waitcnt vmcnt(0)
	v_mul_f64 v[130:131], v[150:151], v[158:159]
	s_waitcnt lgkmcnt(0)
	v_fmac_f64_e32 v[134:135], v[130:131], v[128:129]
	ds_bpermute_b32 v128, v0, v140 offset:20
	ds_bpermute_b32 v129, v0, v141 offset:20
	v_mul_f64 v[130:131], v[162:163], v[164:165]
	s_waitcnt lgkmcnt(0)
	v_fmac_f64_e32 v[134:135], v[130:131], v[128:129]
	ds_bpermute_b32 v128, v0, v140 offset:24
	ds_bpermute_b32 v129, v0, v141 offset:24
	;; [unrolled: 5-line block ×27, first 2 shown]
	s_waitcnt lgkmcnt(0)
	v_fmac_f64_e32 v[134:135], v[156:157], v[128:129]
	s_branch .LBB120_226
.LBB120_220:                            ;   in Loop: Header=BB120_150 Depth=1
                                        ; implicit-def: $vgpr134_vgpr135
	s_cbranch_execz .LBB120_226
; %bb.221:                              ;   in Loop: Header=BB120_150 Depth=1
	s_load_dword s0, s[10:11], 0x0
	v_accvgpr_read_b32 v129, a129
	v_accvgpr_read_b32 v130, a127
	v_pk_mov_b32 v[134:135], 0, 0
	s_waitcnt lgkmcnt(0)
	s_cmp_lt_u32 s6, s0
	s_cselect_b32 s0, 12, 18
	s_add_u32 s0, s10, s0
	s_addc_u32 s1, s11, 0
	global_load_ushort v128, v129, s[0:1]
	v_accvgpr_read_b32 v129, a1
	s_waitcnt vmcnt(0)
	v_mad_u32_u24 v128, v129, v128, v130
	v_and_b32_e32 v140, 63, v128
	v_cmp_gt_u32_e32 vcc, 32, v140
	s_and_saveexec_b64 s[0:1], vcc
	s_cbranch_execz .LBB120_225
; %bb.222:                              ;   in Loop: Header=BB120_150 Depth=1
	v_add_co_u32_e32 v138, vcc, v138, v140
	v_addc_co_u32_e32 v139, vcc, 0, v139, vcc
	v_cmp_gt_i64_e32 vcc, s[12:13], v[138:139]
	v_pk_mov_b32 v[134:135], 0, 0
	s_and_saveexec_b64 s[26:27], vcc
	s_cbranch_execz .LBB120_224
; %bb.223:                              ;   in Loop: Header=BB120_150 Depth=1
	v_lshlrev_b64 v[134:135], 3, v[138:139]
	v_mov_b32_e32 v128, s21
	v_add_co_u32_e32 v134, vcc, s20, v134
	v_addc_co_u32_e32 v135, vcc, v128, v135, vcc
	global_load_dwordx2 v[134:135], v[134:135], off
.LBB120_224:                            ;   in Loop: Header=BB120_150 Depth=1
	s_or_b64 exec, exec, s[26:27]
.LBB120_225:                            ;   in Loop: Header=BB120_150 Depth=1
	s_or_b64 exec, exec, s[0:1]
	v_accvgpr_read_b32 v128, a2
	v_add_co_u32_e32 v138, vcc, v128, v132
	v_addc_co_u32_e32 v139, vcc, v1, v133, vcc
	v_accvgpr_read_b32 v128, a4
	global_load_dwordx2 v[238:239], v[138:139], off
	v_add_co_u32_e32 v138, vcc, v128, v132
	v_accvgpr_read_b32 v127, a135
	v_addc_co_u32_e32 v139, vcc, v127, v133, vcc
	global_load_dwordx2 v[240:241], v[138:139], off
	v_add_co_u32_e32 v138, vcc, v2, v132
	v_addc_co_u32_e32 v139, vcc, v3, v133, vcc
	global_load_dwordx2 v[232:233], v[138:139], off
	v_add_co_u32_e32 v138, vcc, v22, v132
	;; [unrolled: 3-line block ×11, first 2 shown]
	v_addc_co_u32_e32 v139, vcc, v13, v133, vcc
	v_add_co_u32_e32 v140, vcc, v34, v132
	v_addc_co_u32_e32 v141, vcc, v35, v133, vcc
	global_load_dwordx2 v[146:147], v[140:141], off
	v_add_co_u32_e32 v140, vcc, v14, v132
	v_addc_co_u32_e32 v141, vcc, v15, v133, vcc
	v_add_co_u32_e32 v142, vcc, v36, v132
	v_addc_co_u32_e32 v143, vcc, v37, v133, vcc
	global_load_dwordx2 v[148:149], v[142:143], off
	v_add_co_u32_e32 v142, vcc, v16, v132
	v_addc_co_u32_e32 v143, vcc, v17, v133, vcc
	global_load_dwordx2 v[144:145], v[142:143], off
	v_add_co_u32_e32 v142, vcc, v38, v132
	v_addc_co_u32_e32 v143, vcc, v39, v133, vcc
	global_load_dwordx2 v[158:159], v[142:143], off
	v_add_co_u32_e32 v142, vcc, v18, v132
	v_addc_co_u32_e32 v143, vcc, v19, v133, vcc
	v_add_co_u32_e32 v150, vcc, v42, v132
	v_addc_co_u32_e32 v151, vcc, v43, v133, vcc
	v_add_co_u32_e32 v152, vcc, v20, v132
	v_addc_co_u32_e32 v153, vcc, v21, v133, vcc
	v_add_co_u32_e32 v154, vcc, v44, v132
	v_addc_co_u32_e32 v155, vcc, v45, v133, vcc
	global_load_dwordx2 v[162:163], v[154:155], off
	v_add_co_u32_e32 v154, vcc, v28, v132
	v_addc_co_u32_e32 v155, vcc, v29, v133, vcc
	global_load_dwordx2 v[160:161], v[154:155], off
	v_add_co_u32_e32 v154, vcc, v46, v132
	v_addc_co_u32_e32 v155, vcc, v47, v133, vcc
	global_load_dwordx2 v[174:175], v[154:155], off
	v_add_co_u32_e32 v154, vcc, v40, v132
	v_addc_co_u32_e32 v155, vcc, v41, v133, vcc
	v_add_co_u32_e32 v164, vcc, v48, v132
	v_addc_co_u32_e32 v165, vcc, v49, v133, vcc
	;; [unrolled: 15-line block ×3, first 2 shown]
	v_add_co_u32_e32 v182, vcc, v62, v132
	v_addc_co_u32_e32 v183, vcc, v63, v133, vcc
	v_add_co_u32_e32 v184, vcc, v64, v132
	v_addc_co_u32_e32 v185, vcc, v65, v133, vcc
	global_load_dwordx2 v[138:139], v[138:139], off
	s_waitcnt vmcnt(23)
	ds_bpermute_b32 v242, v0, v134
	global_load_dwordx2 v[194:195], v[184:185], off
	v_add_co_u32_e32 v184, vcc, v66, v132
	v_addc_co_u32_e32 v185, vcc, v67, v133, vcc
	global_load_dwordx2 v[190:191], v[184:185], off
	v_add_co_u32_e32 v184, vcc, v68, v132
	v_addc_co_u32_e32 v185, vcc, v69, v133, vcc
	global_load_dwordx2 v[140:141], v[140:141], off
	ds_bpermute_b32 v243, v0, v135
	global_load_dwordx2 v[202:203], v[184:185], off
	v_add_co_u32_e32 v184, vcc, v70, v132
	v_addc_co_u32_e32 v185, vcc, v71, v133, vcc
	v_add_co_u32_e32 v196, vcc, v72, v132
	v_addc_co_u32_e32 v197, vcc, v73, v133, vcc
	;; [unrolled: 2-line block ×3, first 2 shown]
	global_load_dwordx2 v[142:143], v[142:143], off
	v_add_co_u32_e32 v200, vcc, v76, v132
	global_load_dwordx2 v[150:151], v[150:151], off
	v_addc_co_u32_e32 v201, vcc, v77, v133, vcc
	global_load_dwordx2 v[152:153], v[152:153], off
	s_waitcnt vmcnt(28)
	v_mul_f64 v[240:241], v[238:239], v[240:241]
	global_load_dwordx2 v[208:209], v[200:201], off
	v_add_co_u32_e32 v200, vcc, v78, v132
	v_addc_co_u32_e32 v201, vcc, v79, v133, vcc
	global_load_dwordx2 v[204:205], v[200:201], off
	v_add_co_u32_e32 v200, vcc, v80, v132
	v_addc_co_u32_e32 v201, vcc, v81, v133, vcc
	global_load_dwordx2 v[218:219], v[200:201], off
	v_add_co_u32_e32 v200, vcc, v82, v132
	global_load_dwordx2 v[154:155], v[154:155], off
	v_addc_co_u32_e32 v201, vcc, v83, v133, vcc
	global_load_dwordx2 v[164:165], v[164:165], off
	v_add_co_u32_e32 v210, vcc, v84, v132
	global_load_dwordx2 v[166:167], v[166:167], off
	v_addc_co_u32_e32 v211, vcc, v85, v133, vcc
	v_add_co_u32_e32 v212, vcc, v86, v132
	v_addc_co_u32_e32 v213, vcc, v87, v133, vcc
	v_add_co_u32_e32 v214, vcc, v88, v132
	v_addc_co_u32_e32 v215, vcc, v89, v133, vcc
	global_load_dwordx2 v[168:169], v[168:169], off
	s_waitcnt lgkmcnt(0)
	v_fmac_f64_e32 v[136:137], v[240:241], v[242:243]
	global_load_dwordx2 v[180:181], v[180:181], off
	ds_bpermute_b32 v242, v0, v134 offset:4
	global_load_dwordx2 v[222:223], v[214:215], off
	v_add_co_u32_e32 v214, vcc, v90, v132
	global_load_dwordx2 v[182:183], v[182:183], off
	v_addc_co_u32_e32 v215, vcc, v91, v133, vcc
	global_load_dwordx2 v[220:221], v[214:215], off
	v_add_co_u32_e32 v214, vcc, v92, v132
	v_addc_co_u32_e32 v215, vcc, v93, v133, vcc
	global_load_dwordx2 v[230:231], v[214:215], off
	v_add_co_u32_e32 v214, vcc, v94, v132
	v_addc_co_u32_e32 v215, vcc, v95, v133, vcc
	v_add_co_u32_e32 v224, vcc, v96, v132
	global_load_dwordx2 v[184:185], v[184:185], off
	v_addc_co_u32_e32 v225, vcc, v97, v133, vcc
	global_load_dwordx2 v[196:197], v[196:197], off
	v_add_co_u32_e32 v226, vcc, v98, v132
	global_load_dwordx2 v[198:199], v[198:199], off
	v_addc_co_u32_e32 v227, vcc, v99, v133, vcc
	ds_bpermute_b32 v243, v0, v135 offset:4
	v_add_co_u32_e32 v234, vcc, v100, v132
	v_addc_co_u32_e32 v235, vcc, v101, v133, vcc
	v_add_co_u32_e32 v238, vcc, v102, v132
	v_addc_co_u32_e32 v239, vcc, v103, v133, vcc
	s_waitcnt vmcnt(41)
	v_mul_f64 v[236:237], v[232:233], v[236:237]
	global_load_dwordx2 v[200:201], v[200:201], off
	v_add_co_u32_e32 v240, vcc, v104, v132
	global_load_dwordx2 v[210:211], v[210:211], off
	s_waitcnt lgkmcnt(0)
	v_fmac_f64_e32 v[136:137], v[236:237], v[242:243]
	ds_bpermute_b32 v242, v0, v134 offset:8
	ds_bpermute_b32 v243, v0, v135 offset:8
	global_load_dwordx2 v[212:213], v[212:213], off
	v_addc_co_u32_e32 v241, vcc, v105, v133, vcc
	v_add_co_u32_e32 v232, vcc, v106, v132
	v_addc_co_u32_e32 v233, vcc, v107, v133, vcc
	v_add_co_u32_e32 v236, vcc, v108, v132
	s_waitcnt vmcnt(42)
	v_mul_f64 v[216:217], v[216:217], v[228:229]
	v_addc_co_u32_e32 v237, vcc, v109, v133, vcc
	s_waitcnt lgkmcnt(0)
	v_fmac_f64_e32 v[136:137], v[216:217], v[242:243]
	ds_bpermute_b32 v242, v0, v134 offset:12
	ds_bpermute_b32 v243, v0, v135 offset:12
	v_add_co_u32_e32 v228, vcc, v110, v132
	global_load_dwordx2 v[214:215], v[214:215], off
	v_addc_co_u32_e32 v229, vcc, v111, v133, vcc
	global_load_dwordx2 v[224:225], v[224:225], off
	v_add_co_u32_e32 v216, vcc, v112, v132
	global_load_dwordx2 v[226:227], v[226:227], off
	v_addc_co_u32_e32 v217, vcc, v113, v133, vcc
	global_load_dwordx2 v[234:235], v[234:235], off
	s_waitcnt vmcnt(44)
	v_mul_f64 v[192:193], v[192:193], v[206:207]
	v_add_co_u32_e32 v206, vcc, v114, v132
	s_waitcnt lgkmcnt(0)
	v_fmac_f64_e32 v[136:137], v[192:193], v[242:243]
	ds_bpermute_b32 v242, v0, v134 offset:16
	ds_bpermute_b32 v243, v0, v135 offset:16
	v_addc_co_u32_e32 v207, vcc, v115, v133, vcc
	v_add_co_u32_e32 v192, vcc, v116, v132
	global_load_dwordx2 v[238:239], v[238:239], off
	v_addc_co_u32_e32 v193, vcc, v117, v133, vcc
	global_load_dwordx2 v[240:241], v[240:241], off
	s_waitcnt vmcnt(44)
	v_mul_f64 v[172:173], v[172:173], v[186:187]
	global_load_dwordx2 v[232:233], v[232:233], off
	v_add_co_u32_e32 v186, vcc, v118, v132
	global_load_dwordx2 v[236:237], v[236:237], off
	v_addc_co_u32_e32 v187, vcc, v119, v133, vcc
	global_load_dwordx2 v[228:229], v[228:229], off
	s_waitcnt lgkmcnt(0)
	v_fmac_f64_e32 v[136:137], v[172:173], v[242:243]
	global_load_dwordx2 v[216:217], v[216:217], off
	ds_bpermute_b32 v242, v0, v134 offset:20
	ds_bpermute_b32 v243, v0, v135 offset:20
	v_add_co_u32_e32 v172, vcc, v120, v132
	v_addc_co_u32_e32 v173, vcc, v121, v133, vcc
	s_waitcnt vmcnt(46)
	v_mul_f64 v[156:157], v[156:157], v[170:171]
	v_add_co_u32_e32 v170, vcc, v122, v132
	v_addc_co_u32_e32 v171, vcc, v123, v133, vcc
	global_load_dwordx2 v[206:207], v[206:207], off
	s_waitcnt lgkmcnt(0)
	v_fmac_f64_e32 v[136:137], v[156:157], v[242:243]
	global_load_dwordx2 v[192:193], v[192:193], off
	v_add_co_u32_e32 v242, vcc, v124, v132
	global_load_dwordx2 v[186:187], v[186:187], off
	v_addc_co_u32_e32 v243, vcc, v125, v133, vcc
	global_load_dwordx2 v[172:173], v[172:173], off
	ds_bpermute_b32 v156, v0, v134 offset:24
	global_load_dwordx2 v[170:171], v[170:171], off
	ds_bpermute_b32 v157, v0, v135 offset:24
	global_load_dwordx2 v[242:243], v[242:243], off
	s_waitcnt vmcnt(41)
	v_mul_f64 v[138:139], v[138:139], v[146:147]
	ds_bpermute_b32 v146, v0, v134 offset:28
	ds_bpermute_b32 v147, v0, v135 offset:28
	s_waitcnt lgkmcnt(2)
	v_fmac_f64_e32 v[136:137], v[138:139], v[156:157]
	s_waitcnt vmcnt(38)
	v_mul_f64 v[138:139], v[140:141], v[148:149]
	v_mul_f64 v[140:141], v[144:145], v[158:159]
	ds_bpermute_b32 v144, v0, v134 offset:36
	s_waitcnt lgkmcnt(1)
	v_fmac_f64_e32 v[136:137], v[138:139], v[146:147]
	ds_bpermute_b32 v138, v0, v134 offset:32
	ds_bpermute_b32 v139, v0, v135 offset:32
	;; [unrolled: 1-line block ×5, first 2 shown]
	s_waitcnt lgkmcnt(3)
	v_fmac_f64_e32 v[136:137], v[140:141], v[138:139]
	s_waitcnt vmcnt(35)
	v_mul_f64 v[138:139], v[142:143], v[150:151]
	s_waitcnt lgkmcnt(2)
	v_fmac_f64_e32 v[136:137], v[138:139], v[144:145]
	s_waitcnt vmcnt(34)
	v_mul_f64 v[138:139], v[152:153], v[162:163]
	s_waitcnt lgkmcnt(0)
	v_fmac_f64_e32 v[136:137], v[138:139], v[146:147]
	ds_bpermute_b32 v138, v0, v134 offset:44
	ds_bpermute_b32 v139, v0, v135 offset:44
	ds_bpermute_b32 v142, v0, v134 offset:48
	ds_bpermute_b32 v143, v0, v135 offset:48
	ds_bpermute_b32 v144, v0, v134 offset:52
	ds_bpermute_b32 v145, v0, v135 offset:52
	v_mul_f64 v[140:141], v[160:161], v[174:175]
	s_waitcnt lgkmcnt(4)
	v_fmac_f64_e32 v[136:137], v[140:141], v[138:139]
	s_waitcnt vmcnt(29)
	v_mul_f64 v[138:139], v[154:155], v[164:165]
	s_waitcnt lgkmcnt(2)
	v_fmac_f64_e32 v[136:137], v[138:139], v[142:143]
	s_waitcnt vmcnt(28)
	v_mul_f64 v[138:139], v[166:167], v[178:179]
	s_waitcnt lgkmcnt(0)
	v_fmac_f64_e32 v[136:137], v[138:139], v[144:145]
	ds_bpermute_b32 v138, v0, v134 offset:56
	ds_bpermute_b32 v139, v0, v135 offset:56
	ds_bpermute_b32 v142, v0, v134 offset:60
	ds_bpermute_b32 v143, v0, v135 offset:60
	ds_bpermute_b32 v144, v0, v134 offset:64
	ds_bpermute_b32 v145, v0, v135 offset:64
	v_mul_f64 v[140:141], v[176:177], v[188:189]
	;; [unrolled: 17-line block ×5, first 2 shown]
	s_waitcnt lgkmcnt(4)
	v_fmac_f64_e32 v[136:137], v[140:141], v[138:139]
	s_waitcnt vmcnt(14)
	v_mul_f64 v[138:139], v[214:215], v[224:225]
	s_waitcnt lgkmcnt(2)
	v_fmac_f64_e32 v[136:137], v[138:139], v[142:143]
	s_waitcnt vmcnt(12)
	v_mul_f64 v[138:139], v[226:227], v[234:235]
	s_waitcnt lgkmcnt(0)
	v_fmac_f64_e32 v[136:137], v[138:139], v[144:145]
	ds_bpermute_b32 v138, v0, v134 offset:104
	ds_bpermute_b32 v139, v0, v135 offset:104
	;; [unrolled: 1-line block ×6, first 2 shown]
	s_waitcnt vmcnt(10)
	v_mul_f64 v[140:141], v[238:239], v[240:241]
	s_waitcnt lgkmcnt(4)
	v_fmac_f64_e32 v[136:137], v[140:141], v[138:139]
	s_waitcnt vmcnt(8)
	v_mul_f64 v[138:139], v[232:233], v[236:237]
	s_waitcnt lgkmcnt(2)
	v_fmac_f64_e32 v[136:137], v[138:139], v[142:143]
	;; [unrolled: 4-line block ×3, first 2 shown]
	ds_bpermute_b32 v138, v0, v134 offset:116
	ds_bpermute_b32 v139, v0, v135 offset:116
	;; [unrolled: 1-line block ×6, first 2 shown]
	s_waitcnt vmcnt(4)
	v_mul_f64 v[140:141], v[206:207], v[192:193]
	s_waitcnt lgkmcnt(4)
	v_fmac_f64_e32 v[136:137], v[140:141], v[138:139]
	s_waitcnt vmcnt(2)
	v_mul_f64 v[138:139], v[186:187], v[172:173]
	s_waitcnt lgkmcnt(2)
	v_fmac_f64_e32 v[136:137], v[138:139], v[142:143]
	s_waitcnt vmcnt(0)
	v_mul_f64 v[138:139], v[170:171], v[242:243]
	s_waitcnt lgkmcnt(0)
	v_fmac_f64_e32 v[136:137], v[138:139], v[134:135]
	v_pk_mov_b32 v[134:135], v[136:137], v[136:137] op_sel:[0,1]
.LBB120_226:                            ;   in Loop: Header=BB120_150 Depth=1
	v_accvgpr_read_b32 v126, a128
	v_add_co_u32_e32 v126, vcc, s7, v126
	v_mov_b32_e32 v128, s9
	v_addc_co_u32_e32 v253, vcc, v253, v128, vcc
	v_add_co_u32_e32 v2, vcc, s16, v2
	v_mov_b32_e32 v128, s17
	v_addc_co_u32_e32 v3, vcc, v3, v128, vcc
	v_add_co_u32_e32 v4, vcc, s16, v4
	v_addc_co_u32_e32 v5, vcc, v5, v128, vcc
	v_add_co_u32_e32 v6, vcc, s16, v6
	;; [unrolled: 2-line block ×30, first 2 shown]
	v_addc_co_u32_e32 v123, vcc, v123, v128, vcc
	v_accvgpr_read_b32 v130, a2
	v_add_co_u32_e32 v130, vcc, s16, v130
	v_addc_co_u32_e32 v1, vcc, v1, v128, vcc
	v_add_co_u32_e32 v22, vcc, s16, v22
	v_addc_co_u32_e32 v23, vcc, v23, v128, vcc
	;; [unrolled: 2-line block ×31, first 2 shown]
	v_add_co_u32_e32 v124, vcc, s16, v124
	v_accvgpr_write_b32 a2, v130
	v_addc_co_u32_e32 v125, vcc, v125, v128, vcc
	v_accvgpr_read_b32 v130, a4
	v_add_co_u32_e32 v130, vcc, s16, v130
	v_accvgpr_read_b32 v127, a135
	v_accvgpr_write_b32 a4, v130
	v_addc_co_u32_e32 v127, vcc, v127, v128, vcc
	v_accvgpr_read_b32 v130, a6
	v_add_co_u32_e32 v130, vcc, s16, v130
	v_accvgpr_read_b32 v129, a3
	v_accvgpr_write_b32 a6, v130
	v_addc_co_u32_e32 v129, vcc, v129, v128, vcc
	v_accvgpr_read_b32 v130, a8
	v_accvgpr_write_b32 a3, v129
	v_add_co_u32_e32 v130, vcc, s16, v130
	v_accvgpr_read_b32 v129, a5
	v_accvgpr_write_b32 a8, v130
	v_addc_co_u32_e32 v129, vcc, v129, v128, vcc
	v_accvgpr_read_b32 v130, a10
	v_accvgpr_write_b32 a5, v129
	;; [unrolled: 6-line block ×59, first 2 shown]
	v_add_co_u32_e32 v130, vcc, s16, v130
	v_accvgpr_read_b32 v129, a121
	v_addc_co_u32_e32 v129, vcc, v129, v128, vcc
	v_accvgpr_write_b32 a121, v129
	v_add_co_u32_e32 v252, vcc, s16, v252
	v_accvgpr_read_b32 v129, a123
	v_accvgpr_write_b32 a124, v130
	v_addc_co_u32_e32 v129, vcc, v129, v128, vcc
	v_accvgpr_read_b32 v130, a126
	v_accvgpr_write_b32 a123, v129
	v_add_co_u32_e32 v130, vcc, s16, v130
	v_accvgpr_read_b32 v129, a125
	s_add_u32 s24, s24, s7
	v_addc_co_u32_e32 v129, vcc, v129, v128, vcc
	s_addc_u32 s25, s25, 0
	v_accvgpr_write_b32 a125, v129
	v_pk_mov_b32 v[128:129], s[12:13], s[12:13] op_sel:[0,1]
	s_add_u32 s18, s18, s7
	v_cmp_ge_i64_e32 vcc, s[24:25], v[128:129]
	s_addc_u32 s19, s19, 0
	s_cbranch_vccnz .LBB120_228
; %bb.227:                              ;   in Loop: Header=BB120_150 Depth=1
	v_accvgpr_write_b32 a128, v126
	v_accvgpr_write_b32 a135, v127
	;; [unrolled: 1-line block ×3, first 2 shown]
	v_pk_mov_b32 v[136:137], v[134:135], v[134:135] op_sel:[0,1]
	s_branch .LBB120_150
.LBB120_228:
	v_accvgpr_read_b32 v132, a0
.LBB120_229:
	s_mov_b32 s7, 0
	s_lshl_b64 s[0:1], s[6:7], 6
	v_and_b32_e32 v0, 0x3ff, v132
	v_or_b32_e32 v2, s0, v0
	v_mov_b32_e32 v3, s1
	s_waitcnt lgkmcnt(0)
	s_cmp_lg_u64 s[2:3], 0
	v_cmp_gt_i64_e32 vcc, s[14:15], v[2:3]
	s_cselect_b64 s[0:1], -1, 0
	s_and_b64 s[0:1], vcc, s[0:1]
	s_and_saveexec_b64 s[6:7], s[0:1]
	s_cbranch_execz .LBB120_231
; %bb.230:
	s_load_dword s0, s[4:5], 0x4c
	v_bfe_u32 v0, v132, 10, 10
	v_mov_b32_e32 v1, 0
	v_mov_b32_e32 v4, s8
	s_waitcnt lgkmcnt(0)
	s_lshr_b32 s0, s0, 16
	v_mad_u64_u32 v[0:1], s[0:1], s0, v4, v[0:1]
	v_mul_lo_u32 v4, v1, s14
	v_mul_lo_u32 v5, v0, s15
	v_mad_u64_u32 v[0:1], s[0:1], v0, s14, 0
	v_add3_u32 v1, v1, v5, v4
	v_lshlrev_b64 v[0:1], 3, v[0:1]
	v_mov_b32_e32 v4, s3
	v_add_co_u32_e32 v5, vcc, s2, v0
	v_addc_co_u32_e32 v4, vcc, v4, v1, vcc
	v_lshlrev_b64 v[0:1], 3, v[2:3]
	v_add_co_u32_e32 v0, vcc, v5, v0
	v_addc_co_u32_e32 v1, vcc, v4, v1, vcc
	global_store_dwordx2 v[0:1], v[134:135], off
.LBB120_231:
	s_endpgm
	.section	.rodata,"a",@progbits
	.p2align	6, 0x0
	.amdhsa_kernel _ZN2at6native12_GLOBAL__N_135GammaBetaBackwardCUDAKernelTemplateIddLj64ELj1ELj32ELb1ELb0ELb1EEEvllPKT_S5_PKT0_S8_PS3_S9_
		.amdhsa_group_segment_fixed_size 0
		.amdhsa_private_segment_fixed_size 0
		.amdhsa_kernarg_size 320
		.amdhsa_user_sgpr_count 6
		.amdhsa_user_sgpr_private_segment_buffer 1
		.amdhsa_user_sgpr_dispatch_ptr 0
		.amdhsa_user_sgpr_queue_ptr 0
		.amdhsa_user_sgpr_kernarg_segment_ptr 1
		.amdhsa_user_sgpr_dispatch_id 0
		.amdhsa_user_sgpr_flat_scratch_init 0
		.amdhsa_user_sgpr_kernarg_preload_length 0
		.amdhsa_user_sgpr_kernarg_preload_offset 0
		.amdhsa_user_sgpr_private_segment_size 0
		.amdhsa_uses_dynamic_stack 0
		.amdhsa_system_sgpr_private_segment_wavefront_offset 0
		.amdhsa_system_sgpr_workgroup_id_x 1
		.amdhsa_system_sgpr_workgroup_id_y 1
		.amdhsa_system_sgpr_workgroup_id_z 0
		.amdhsa_system_sgpr_workgroup_info 0
		.amdhsa_system_vgpr_workitem_id 1
		.amdhsa_next_free_vgpr 398
		.amdhsa_next_free_sgpr 36
		.amdhsa_accum_offset 256
		.amdhsa_reserve_vcc 1
		.amdhsa_reserve_flat_scratch 0
		.amdhsa_float_round_mode_32 0
		.amdhsa_float_round_mode_16_64 0
		.amdhsa_float_denorm_mode_32 3
		.amdhsa_float_denorm_mode_16_64 3
		.amdhsa_dx10_clamp 1
		.amdhsa_ieee_mode 1
		.amdhsa_fp16_overflow 0
		.amdhsa_tg_split 0
		.amdhsa_exception_fp_ieee_invalid_op 0
		.amdhsa_exception_fp_denorm_src 0
		.amdhsa_exception_fp_ieee_div_zero 0
		.amdhsa_exception_fp_ieee_overflow 0
		.amdhsa_exception_fp_ieee_underflow 0
		.amdhsa_exception_fp_ieee_inexact 0
		.amdhsa_exception_int_div_zero 0
	.end_amdhsa_kernel
	.section	.text._ZN2at6native12_GLOBAL__N_135GammaBetaBackwardCUDAKernelTemplateIddLj64ELj1ELj32ELb1ELb0ELb1EEEvllPKT_S5_PKT0_S8_PS3_S9_,"axG",@progbits,_ZN2at6native12_GLOBAL__N_135GammaBetaBackwardCUDAKernelTemplateIddLj64ELj1ELj32ELb1ELb0ELb1EEEvllPKT_S5_PKT0_S8_PS3_S9_,comdat
.Lfunc_end120:
	.size	_ZN2at6native12_GLOBAL__N_135GammaBetaBackwardCUDAKernelTemplateIddLj64ELj1ELj32ELb1ELb0ELb1EEEvllPKT_S5_PKT0_S8_PS3_S9_, .Lfunc_end120-_ZN2at6native12_GLOBAL__N_135GammaBetaBackwardCUDAKernelTemplateIddLj64ELj1ELj32ELb1ELb0ELb1EEEvllPKT_S5_PKT0_S8_PS3_S9_
                                        ; -- End function
	.section	.AMDGPU.csdata,"",@progbits
; Kernel info:
; codeLenInByte = 25972
; NumSgprs: 40
; NumVgprs: 256
; NumAgprs: 142
; TotalNumVgprs: 398
; ScratchSize: 0
; MemoryBound: 1
; FloatMode: 240
; IeeeMode: 1
; LDSByteSize: 0 bytes/workgroup (compile time only)
; SGPRBlocks: 4
; VGPRBlocks: 49
; NumSGPRsForWavesPerEU: 40
; NumVGPRsForWavesPerEU: 398
; AccumOffset: 256
; Occupancy: 1
; WaveLimiterHint : 0
; COMPUTE_PGM_RSRC2:SCRATCH_EN: 0
; COMPUTE_PGM_RSRC2:USER_SGPR: 6
; COMPUTE_PGM_RSRC2:TRAP_HANDLER: 0
; COMPUTE_PGM_RSRC2:TGID_X_EN: 1
; COMPUTE_PGM_RSRC2:TGID_Y_EN: 1
; COMPUTE_PGM_RSRC2:TGID_Z_EN: 0
; COMPUTE_PGM_RSRC2:TIDIG_COMP_CNT: 1
; COMPUTE_PGM_RSRC3_GFX90A:ACCUM_OFFSET: 63
; COMPUTE_PGM_RSRC3_GFX90A:TG_SPLIT: 0
	.section	.text._ZN2at6native12_GLOBAL__N_135GammaBetaBackwardCUDAKernelTemplateIddLj64ELj1ELj8ELb1ELb1ELb1EEEvllPKT_S5_PKT0_S8_PS3_S9_,"axG",@progbits,_ZN2at6native12_GLOBAL__N_135GammaBetaBackwardCUDAKernelTemplateIddLj64ELj1ELj8ELb1ELb1ELb1EEEvllPKT_S5_PKT0_S8_PS3_S9_,comdat
	.globl	_ZN2at6native12_GLOBAL__N_135GammaBetaBackwardCUDAKernelTemplateIddLj64ELj1ELj8ELb1ELb1ELb1EEEvllPKT_S5_PKT0_S8_PS3_S9_ ; -- Begin function _ZN2at6native12_GLOBAL__N_135GammaBetaBackwardCUDAKernelTemplateIddLj64ELj1ELj8ELb1ELb1ELb1EEEvllPKT_S5_PKT0_S8_PS3_S9_
	.p2align	8
	.type	_ZN2at6native12_GLOBAL__N_135GammaBetaBackwardCUDAKernelTemplateIddLj64ELj1ELj8ELb1ELb1ELb1EEEvllPKT_S5_PKT0_S8_PS3_S9_,@function
_ZN2at6native12_GLOBAL__N_135GammaBetaBackwardCUDAKernelTemplateIddLj64ELj1ELj8ELb1ELb1ELb1EEEvllPKT_S5_PKT0_S8_PS3_S9_: ; @_ZN2at6native12_GLOBAL__N_135GammaBetaBackwardCUDAKernelTemplateIddLj64ELj1ELj8ELb1ELb1ELb1EEEvllPKT_S5_PKT0_S8_PS3_S9_
; %bb.0:
	s_load_dwordx4 s[8:11], s[4:5], 0x0
	s_load_dwordx2 s[16:17], s[4:5], 0x30
	s_lshl_b32 s18, s7, 3
	s_mov_b32 s19, 0
	s_mov_b32 s2, s7
	s_waitcnt lgkmcnt(0)
	v_pk_mov_b32 v[2:3], s[8:9], s[8:9] op_sel:[0,1]
	v_cmp_ge_i64_e32 vcc, s[18:19], v[2:3]
	v_pk_mov_b32 v[4:5], 0, 0
	v_bfe_u32 v2, v0, 10, 10
	s_cbranch_vccnz .LBB121_7
; %bb.1:
	s_load_dword s0, s[4:5], 0x4c
	s_load_dword s3, s[4:5], 0x44
	s_load_dwordx4 s[12:15], s[4:5], 0x10
	s_load_dwordx2 s[22:23], s[4:5], 0x28
	v_and_b32_e32 v1, 0x3ff, v0
	s_waitcnt lgkmcnt(0)
	s_and_b32 s0, s0, 0xffff
	v_mad_u32_u24 v3, v2, s0, v1
	v_lshl_or_b32 v4, s6, 6, v1
	v_mbcnt_lo_u32_b32 v1, -1, 0
	v_mbcnt_hi_u32_b32 v1, -1, v1
	v_lshlrev_b32_e32 v7, 3, v2
	v_lshlrev_b32_e32 v1, 2, v1
	v_and_b32_e32 v6, 63, v3
	v_and_b32_e32 v3, 0x100, v1
	v_mov_b32_e32 v1, s19
	v_add_co_u32_e32 v10, vcc, s18, v7
	v_addc_co_u32_e32 v1, vcc, 0, v1, vcc
	v_cmp_gt_u32_e64 s[0:1], 8, v6
	v_add_co_u32_e32 v6, vcc, v10, v6
	v_addc_co_u32_e32 v7, vcc, 0, v1, vcc
	v_lshlrev_b64 v[8:9], 3, v[6:7]
	v_mov_b32_e32 v12, s23
	v_add_co_u32_e32 v8, vcc, s22, v8
	v_addc_co_u32_e32 v9, vcc, v12, v9, vcc
	v_mul_lo_u32 v14, s11, v10
	v_mul_lo_u32 v1, s10, v1
	v_mad_u64_u32 v[12:13], s[24:25], s10, v10, 0
	v_mov_b32_e32 v5, 0
	s_lshl_b32 s20, s3, 3
	v_add3_u32 v13, v13, v1, v14
	v_lshlrev_b64 v[12:13], 3, v[12:13]
	v_lshlrev_b64 v[4:5], 3, v[4:5]
	s_mul_i32 s3, s11, s20
	s_mul_hi_u32 s7, s10, s20
	s_mov_b32 s21, s19
	v_add_co_u32_e32 v10, vcc, v12, v4
	s_add_i32 s25, s7, s3
	s_mul_i32 s24, s10, s20
	s_lshl_b64 s[22:23], s[20:21], 3
	v_addc_co_u32_e32 v1, vcc, v13, v5, vcc
	s_lshl_b64 s[24:25], s[24:25], 3
	s_lshl_b64 s[26:27], s[10:11], 3
	v_pk_mov_b32 v[12:13], 0, 0
	v_or_b32_e32 v11, 4, v3
	v_or_b32_e32 v18, 8, v3
	;; [unrolled: 1-line block ×7, first 2 shown]
	v_mov_b32_e32 v24, s13
	v_mov_b32_e32 v25, s15
	;; [unrolled: 1-line block ×6, first 2 shown]
	v_pk_mov_b32 v[14:15], s[8:9], s[8:9] op_sel:[0,1]
	v_pk_mov_b32 v[4:5], v[12:13], v[12:13] op_sel:[0,1]
	s_branch .LBB121_4
.LBB121_2:                              ;   in Loop: Header=BB121_4 Depth=1
	s_or_b64 exec, exec, s[30:31]
.LBB121_3:                              ;   in Loop: Header=BB121_4 Depth=1
	s_or_b64 exec, exec, s[28:29]
	v_add_co_u32_e32 v30, vcc, s12, v10
	v_addc_co_u32_e32 v31, vcc, v24, v1, vcc
	v_add_co_u32_e32 v34, vcc, s14, v10
	v_addc_co_u32_e32 v35, vcc, v25, v1, vcc
	global_load_dwordx2 v[32:33], v[30:31], off
	v_add_co_u32_e32 v30, vcc, s26, v30
	v_addc_co_u32_e32 v31, vcc, v31, v26, vcc
	global_load_dwordx2 v[36:37], v[34:35], off
	;; [unrolled: 3-line block ×13, first 2 shown]
	v_add_co_u32_e32 v30, vcc, s26, v30
	v_addc_co_u32_e32 v31, vcc, v31, v26, vcc
	v_add_co_u32_e32 v60, vcc, s26, v34
	v_addc_co_u32_e32 v61, vcc, v35, v26, vcc
	global_load_dwordx2 v[34:35], v[34:35], off
	s_nop 0
	global_load_dwordx2 v[30:31], v[30:31], off
	s_nop 0
	global_load_dwordx2 v[60:61], v[60:61], off
	v_add_co_u32_e32 v8, vcc, s22, v8
	v_addc_co_u32_e32 v9, vcc, v9, v27, vcc
	v_add_co_u32_e32 v6, vcc, s20, v6
	v_addc_co_u32_e32 v7, vcc, v7, v28, vcc
	s_add_u32 s18, s18, s20
	v_add_co_u32_e32 v10, vcc, s24, v10
	s_addc_u32 s19, s19, 0
	v_addc_co_u32_e32 v1, vcc, v1, v29, vcc
	v_cmp_lt_i64_e32 vcc, s[18:19], v[14:15]
	s_waitcnt vmcnt(14)
	v_mul_f64 v[32:33], v[32:33], v[36:37]
	ds_bpermute_b32 v36, v3, v16
	ds_bpermute_b32 v37, v3, v17
	s_and_b64 vcc, exec, vcc
	s_waitcnt lgkmcnt(0)
	v_fmac_f64_e32 v[4:5], v[32:33], v[36:37]
	ds_bpermute_b32 v32, v11, v16
	ds_bpermute_b32 v33, v11, v17
	s_waitcnt vmcnt(12)
	v_mul_f64 v[36:37], v[38:39], v[40:41]
	ds_bpermute_b32 v38, v19, v16
	ds_bpermute_b32 v39, v19, v17
	;; [unrolled: 1-line block ×3, first 2 shown]
	s_waitcnt lgkmcnt(3)
	v_fmac_f64_e32 v[4:5], v[36:37], v[32:33]
	ds_bpermute_b32 v32, v18, v16
	ds_bpermute_b32 v33, v18, v17
	;; [unrolled: 1-line block ×3, first 2 shown]
	s_waitcnt vmcnt(10)
	v_mul_f64 v[36:37], v[42:43], v[44:45]
	s_waitcnt lgkmcnt(1)
	v_fmac_f64_e32 v[4:5], v[36:37], v[32:33]
	s_waitcnt vmcnt(8)
	v_mul_f64 v[32:33], v[46:47], v[48:49]
	v_fmac_f64_e32 v[4:5], v[32:33], v[38:39]
	ds_bpermute_b32 v38, v22, v16
	ds_bpermute_b32 v39, v22, v17
	s_waitcnt vmcnt(6)
	v_mul_f64 v[32:33], v[50:51], v[52:53]
	s_waitcnt lgkmcnt(2)
	v_fmac_f64_e32 v[4:5], v[32:33], v[40:41]
	ds_bpermute_b32 v32, v21, v16
	ds_bpermute_b32 v33, v21, v17
	;; [unrolled: 1-line block ×4, first 2 shown]
	s_waitcnt vmcnt(4)
	v_mul_f64 v[36:37], v[54:55], v[56:57]
	s_waitcnt lgkmcnt(2)
	v_fmac_f64_e32 v[4:5], v[36:37], v[32:33]
	s_waitcnt vmcnt(2)
	v_mul_f64 v[32:33], v[58:59], v[34:35]
	v_fmac_f64_e32 v[4:5], v[32:33], v[38:39]
	s_waitcnt vmcnt(0)
	v_mul_f64 v[30:31], v[30:31], v[60:61]
	s_waitcnt lgkmcnt(0)
	v_fmac_f64_e32 v[4:5], v[30:31], v[16:17]
	s_cbranch_vccz .LBB121_7
.LBB121_4:                              ; =>This Inner Loop Header: Depth=1
	v_pk_mov_b32 v[16:17], v[12:13], v[12:13] op_sel:[0,1]
	s_and_saveexec_b64 s[28:29], s[0:1]
	s_cbranch_execz .LBB121_3
; %bb.5:                                ;   in Loop: Header=BB121_4 Depth=1
	v_cmp_gt_i64_e32 vcc, s[8:9], v[6:7]
	v_pk_mov_b32 v[16:17], 0, 0
	s_and_saveexec_b64 s[30:31], vcc
	s_cbranch_execz .LBB121_2
; %bb.6:                                ;   in Loop: Header=BB121_4 Depth=1
	global_load_dwordx2 v[16:17], v[8:9], off
	s_branch .LBB121_2
.LBB121_7:
	s_cmp_eq_u64 s[16:17], 0
	s_cbranch_scc1 .LBB121_9
; %bb.8:
	s_load_dword s0, s[4:5], 0x4c
	v_mov_b32_e32 v3, 0
	v_mov_b32_e32 v1, s2
	s_mov_b32 s7, 0
	v_and_b32_e32 v0, 0x3ff, v0
	s_waitcnt lgkmcnt(0)
	s_lshr_b32 s0, s0, 16
	v_mad_u64_u32 v[2:3], s[0:1], s0, v1, v[2:3]
	v_mul_lo_u32 v1, v3, s10
	v_mul_lo_u32 v6, v2, s11
	v_mad_u64_u32 v[2:3], s[0:1], v2, s10, 0
	s_lshl_b64 s[0:1], s[6:7], 9
	v_add3_u32 v3, v3, v6, v1
	s_add_u32 s0, s0, s16
	v_lshlrev_b64 v[2:3], 3, v[2:3]
	s_addc_u32 s1, s1, s17
	v_mov_b32_e32 v1, s1
	v_add_co_u32_e32 v2, vcc, s0, v2
	v_addc_co_u32_e32 v1, vcc, v1, v3, vcc
	v_lshlrev_b32_e32 v0, 3, v0
	v_add_co_u32_e32 v0, vcc, v2, v0
	v_addc_co_u32_e32 v1, vcc, 0, v1, vcc
	global_store_dwordx2 v[0:1], v[4:5], off
.LBB121_9:
	s_endpgm
	.section	.rodata,"a",@progbits
	.p2align	6, 0x0
	.amdhsa_kernel _ZN2at6native12_GLOBAL__N_135GammaBetaBackwardCUDAKernelTemplateIddLj64ELj1ELj8ELb1ELb1ELb1EEEvllPKT_S5_PKT0_S8_PS3_S9_
		.amdhsa_group_segment_fixed_size 0
		.amdhsa_private_segment_fixed_size 0
		.amdhsa_kernarg_size 320
		.amdhsa_user_sgpr_count 6
		.amdhsa_user_sgpr_private_segment_buffer 1
		.amdhsa_user_sgpr_dispatch_ptr 0
		.amdhsa_user_sgpr_queue_ptr 0
		.amdhsa_user_sgpr_kernarg_segment_ptr 1
		.amdhsa_user_sgpr_dispatch_id 0
		.amdhsa_user_sgpr_flat_scratch_init 0
		.amdhsa_user_sgpr_kernarg_preload_length 0
		.amdhsa_user_sgpr_kernarg_preload_offset 0
		.amdhsa_user_sgpr_private_segment_size 0
		.amdhsa_uses_dynamic_stack 0
		.amdhsa_system_sgpr_private_segment_wavefront_offset 0
		.amdhsa_system_sgpr_workgroup_id_x 1
		.amdhsa_system_sgpr_workgroup_id_y 1
		.amdhsa_system_sgpr_workgroup_id_z 0
		.amdhsa_system_sgpr_workgroup_info 0
		.amdhsa_system_vgpr_workitem_id 1
		.amdhsa_next_free_vgpr 62
		.amdhsa_next_free_sgpr 32
		.amdhsa_accum_offset 64
		.amdhsa_reserve_vcc 1
		.amdhsa_reserve_flat_scratch 0
		.amdhsa_float_round_mode_32 0
		.amdhsa_float_round_mode_16_64 0
		.amdhsa_float_denorm_mode_32 3
		.amdhsa_float_denorm_mode_16_64 3
		.amdhsa_dx10_clamp 1
		.amdhsa_ieee_mode 1
		.amdhsa_fp16_overflow 0
		.amdhsa_tg_split 0
		.amdhsa_exception_fp_ieee_invalid_op 0
		.amdhsa_exception_fp_denorm_src 0
		.amdhsa_exception_fp_ieee_div_zero 0
		.amdhsa_exception_fp_ieee_overflow 0
		.amdhsa_exception_fp_ieee_underflow 0
		.amdhsa_exception_fp_ieee_inexact 0
		.amdhsa_exception_int_div_zero 0
	.end_amdhsa_kernel
	.section	.text._ZN2at6native12_GLOBAL__N_135GammaBetaBackwardCUDAKernelTemplateIddLj64ELj1ELj8ELb1ELb1ELb1EEEvllPKT_S5_PKT0_S8_PS3_S9_,"axG",@progbits,_ZN2at6native12_GLOBAL__N_135GammaBetaBackwardCUDAKernelTemplateIddLj64ELj1ELj8ELb1ELb1ELb1EEEvllPKT_S5_PKT0_S8_PS3_S9_,comdat
.Lfunc_end121:
	.size	_ZN2at6native12_GLOBAL__N_135GammaBetaBackwardCUDAKernelTemplateIddLj64ELj1ELj8ELb1ELb1ELb1EEEvllPKT_S5_PKT0_S8_PS3_S9_, .Lfunc_end121-_ZN2at6native12_GLOBAL__N_135GammaBetaBackwardCUDAKernelTemplateIddLj64ELj1ELj8ELb1ELb1ELb1EEEvllPKT_S5_PKT0_S8_PS3_S9_
                                        ; -- End function
	.section	.AMDGPU.csdata,"",@progbits
; Kernel info:
; codeLenInByte = 1176
; NumSgprs: 36
; NumVgprs: 62
; NumAgprs: 0
; TotalNumVgprs: 62
; ScratchSize: 0
; MemoryBound: 0
; FloatMode: 240
; IeeeMode: 1
; LDSByteSize: 0 bytes/workgroup (compile time only)
; SGPRBlocks: 4
; VGPRBlocks: 7
; NumSGPRsForWavesPerEU: 36
; NumVGPRsForWavesPerEU: 62
; AccumOffset: 64
; Occupancy: 8
; WaveLimiterHint : 0
; COMPUTE_PGM_RSRC2:SCRATCH_EN: 0
; COMPUTE_PGM_RSRC2:USER_SGPR: 6
; COMPUTE_PGM_RSRC2:TRAP_HANDLER: 0
; COMPUTE_PGM_RSRC2:TGID_X_EN: 1
; COMPUTE_PGM_RSRC2:TGID_Y_EN: 1
; COMPUTE_PGM_RSRC2:TGID_Z_EN: 0
; COMPUTE_PGM_RSRC2:TIDIG_COMP_CNT: 1
; COMPUTE_PGM_RSRC3_GFX90A:ACCUM_OFFSET: 15
; COMPUTE_PGM_RSRC3_GFX90A:TG_SPLIT: 0
	.section	.text._ZN2at6native12_GLOBAL__N_135GammaBetaBackwardCUDAKernelTemplateIddLj64ELj1ELj8ELb1ELb0ELb1EEEvllPKT_S5_PKT0_S8_PS3_S9_,"axG",@progbits,_ZN2at6native12_GLOBAL__N_135GammaBetaBackwardCUDAKernelTemplateIddLj64ELj1ELj8ELb1ELb0ELb1EEEvllPKT_S5_PKT0_S8_PS3_S9_,comdat
	.globl	_ZN2at6native12_GLOBAL__N_135GammaBetaBackwardCUDAKernelTemplateIddLj64ELj1ELj8ELb1ELb0ELb1EEEvllPKT_S5_PKT0_S8_PS3_S9_ ; -- Begin function _ZN2at6native12_GLOBAL__N_135GammaBetaBackwardCUDAKernelTemplateIddLj64ELj1ELj8ELb1ELb0ELb1EEEvllPKT_S5_PKT0_S8_PS3_S9_
	.p2align	8
	.type	_ZN2at6native12_GLOBAL__N_135GammaBetaBackwardCUDAKernelTemplateIddLj64ELj1ELj8ELb1ELb0ELb1EEEvllPKT_S5_PKT0_S8_PS3_S9_,@function
_ZN2at6native12_GLOBAL__N_135GammaBetaBackwardCUDAKernelTemplateIddLj64ELj1ELj8ELb1ELb0ELb1EEEvllPKT_S5_PKT0_S8_PS3_S9_: ; @_ZN2at6native12_GLOBAL__N_135GammaBetaBackwardCUDAKernelTemplateIddLj64ELj1ELj8ELb1ELb0ELb1EEEvllPKT_S5_PKT0_S8_PS3_S9_
; %bb.0:
	s_load_dwordx8 s[36:43], s[4:5], 0x0
	s_load_dwordx2 s[28:29], s[4:5], 0x28
	s_mov_b32 s8, s7
	s_lshl_b32 s7, s6, 6
	s_or_b32 s30, s7, 63
	s_mov_b32 s31, 0
	s_waitcnt lgkmcnt(0)
	v_pk_mov_b32 v[2:3], s[38:39], s[38:39] op_sel:[0,1]
	v_cmp_ge_i64_e32 vcc, s[30:31], v[2:3]
	s_lshl_b32 s30, s8, 3
	v_pk_mov_b32 v[2:3], s[36:37], s[36:37] op_sel:[0,1]
	v_cmp_lt_i64_e64 s[0:1], s[30:31], v[2:3]
	v_cndmask_b32_e64 v1, 0, 1, s[0:1]
	v_cmp_ne_u32_e64 s[0:1], 1, v1
	s_cbranch_vccz .LBB122_49
; %bb.1:
	s_and_b64 vcc, exec, s[0:1]
	v_pk_mov_b32 v[2:3], 0, 0
	s_cbranch_vccnz .LBB122_50
; %bb.2:
	v_and_b32_e32 v85, 0x3ff, v0
	v_mov_b32_e32 v4, 0
	v_bfe_u32 v92, v0, 10, 10
	v_add_u32_e32 v2, s7, v85
	v_mov_b32_e32 v3, v4
	v_lshlrev_b32_e32 v50, 3, v92
	v_cmp_gt_i64_e64 s[2:3], s[38:39], v[2:3]
	v_lshlrev_b64 v[52:53], 3, v[2:3]
	v_mov_b32_e32 v2, s31
	v_add_co_u32_e32 v5, vcc, s30, v50
	v_addc_co_u32_e32 v6, vcc, 0, v2, vcc
	v_add_co_u32_e32 v2, vcc, 7, v5
	v_addc_co_u32_e32 v3, vcc, 0, v6, vcc
	v_mul_lo_u32 v7, s39, v2
	v_mul_lo_u32 v8, s38, v3
	v_mad_u64_u32 v[2:3], s[10:11], s38, v2, 0
	s_load_dword s9, s[4:5], 0x44
	v_add3_u32 v3, v3, v8, v7
	v_lshlrev_b64 v[2:3], 3, v[2:3]
	v_mov_b32_e32 v7, s41
	v_add_co_u32_e32 v54, vcc, s40, v2
	v_addc_co_u32_e32 v51, vcc, v7, v3, vcc
	s_add_u32 s34, s4, 64
	v_mov_b32_e32 v8, s43
	v_add_co_u32_e32 v56, vcc, s42, v2
	s_addc_u32 s35, s5, 0
	s_waitcnt lgkmcnt(0)
	s_lshl_b32 s9, s9, 3
	v_addc_co_u32_e32 v55, vcc, v8, v3, vcc
	s_mul_i32 s10, s39, s9
	s_mul_hi_u32 s11, s38, s9
	v_add_co_u32_e32 v2, vcc, 6, v5
	s_add_i32 s11, s11, s10
	s_mul_i32 s10, s38, s9
	v_addc_co_u32_e32 v3, vcc, 0, v6, vcc
	s_lshl_b64 s[46:47], s[10:11], 3
	v_mul_lo_u32 v9, s39, v2
	v_mul_lo_u32 v10, s38, v3
	v_mad_u64_u32 v[2:3], s[10:11], s38, v2, 0
	v_add3_u32 v3, v3, v10, v9
	v_lshlrev_b64 v[2:3], 3, v[2:3]
	v_add_co_u32_e32 v58, vcc, s40, v2
	v_addc_co_u32_e32 v57, vcc, v7, v3, vcc
	v_add_co_u32_e32 v60, vcc, s42, v2
	v_addc_co_u32_e32 v59, vcc, v8, v3, vcc
	v_add_co_u32_e32 v2, vcc, 5, v5
	v_addc_co_u32_e32 v3, vcc, 0, v6, vcc
	v_mul_lo_u32 v9, s39, v2
	v_mul_lo_u32 v10, s38, v3
	v_mad_u64_u32 v[2:3], s[10:11], s38, v2, 0
	v_add3_u32 v3, v3, v10, v9
	v_lshlrev_b64 v[2:3], 3, v[2:3]
	v_add_co_u32_e32 v62, vcc, s40, v2
	v_addc_co_u32_e32 v61, vcc, v7, v3, vcc
	v_add_co_u32_e32 v64, vcc, s42, v2
	v_addc_co_u32_e32 v63, vcc, v8, v3, vcc
	v_add_co_u32_e32 v2, vcc, 4, v5
	v_addc_co_u32_e32 v3, vcc, 0, v6, vcc
	;; [unrolled: 11-line block ×4, first 2 shown]
	v_mul_lo_u32 v9, s39, v2
	v_mul_lo_u32 v10, s38, v3
	v_mad_u64_u32 v[2:3], s[10:11], s38, v2, 0
	v_add3_u32 v3, v3, v10, v9
	v_lshlrev_b64 v[2:3], 3, v[2:3]
	v_add_co_u32_e32 v74, vcc, s40, v2
	v_addc_co_u32_e32 v73, vcc, v7, v3, vcc
	v_add_co_u32_e32 v76, vcc, s42, v2
	v_addc_co_u32_e32 v75, vcc, v8, v3, vcc
	v_pk_mov_b32 v[2:3], s[38:39], s[38:39] op_sel:[0,1]
	v_mad_u64_u32 v[2:3], s[10:11], s38, v5, v[2:3]
	v_mul_lo_u32 v6, s38, v6
	v_mul_lo_u32 v9, s39, v5
	v_add3_u32 v3, v9, v3, v6
	v_lshlrev_b64 v[2:3], 3, v[2:3]
	v_add_co_u32_e32 v78, vcc, s40, v2
	v_addc_co_u32_e32 v77, vcc, v7, v3, vcc
	v_add_co_u32_e32 v80, vcc, s42, v2
	v_addc_co_u32_e32 v79, vcc, v8, v3, vcc
	v_mad_u64_u32 v[2:3], s[10:11], s38, v5, 0
	v_add3_u32 v3, v3, v6, v9
	v_lshlrev_b64 v[2:3], 3, v[2:3]
	v_add_co_u32_e32 v82, vcc, s40, v2
	v_addc_co_u32_e32 v81, vcc, v7, v3, vcc
	v_add_co_u32_e32 v84, vcc, s42, v2
	v_mbcnt_lo_u32_b32 v2, -1, 0
	v_mbcnt_hi_u32_b32 v2, -1, v2
	s_mov_b32 s12, 0
	v_lshlrev_b32_e32 v2, 2, v2
	v_mov_b32_e32 v1, v4
	s_mov_b32 s33, s12
	s_mov_b64 s[44:45], 7
	v_addc_co_u32_e32 v83, vcc, v8, v3, vcc
	v_pk_mov_b32 v[86:87], 0, 0
	v_and_b32_e32 v93, 0x100, v2
	s_mov_b64 s[48:49], s[30:31]
.LBB122_3:                              ; =>This Inner Loop Header: Depth=1
	s_add_u32 s10, s30, s44
	s_addc_u32 s11, 0, s45
	v_pk_mov_b32 v[2:3], s[36:37], s[36:37] op_sel:[0,1]
	v_cmp_ge_i64_e32 vcc, s[10:11], v[2:3]
	v_mov_b32_e32 v2, s31
	v_add_co_u32_e64 v88, s[10:11], s30, v50
	v_addc_co_u32_e64 v89, s[10:11], v2, v1, s[10:11]
	s_cbranch_vccz .LBB122_25
; %bb.4:                                ;   in Loop: Header=BB122_3 Depth=1
	s_load_dword s10, s[34:35], 0xc
	v_pk_mov_b32 v[90:91], 0, 0
	s_waitcnt lgkmcnt(0)
	s_and_b32 s10, s10, 0xffff
	v_mad_u32_u24 v2, v92, s10, v85
	v_and_b32_e32 v2, 63, v2
	v_cmp_gt_u32_e32 vcc, 8, v2
	s_and_saveexec_b64 s[10:11], vcc
	s_cbranch_execz .LBB122_8
; %bb.5:                                ;   in Loop: Header=BB122_3 Depth=1
	v_add_co_u32_e32 v2, vcc, v88, v2
	v_addc_co_u32_e32 v3, vcc, 0, v89, vcc
	v_cmp_gt_i64_e32 vcc, s[36:37], v[2:3]
	v_pk_mov_b32 v[90:91], 0, 0
	s_and_saveexec_b64 s[14:15], vcc
	s_cbranch_execz .LBB122_7
; %bb.6:                                ;   in Loop: Header=BB122_3 Depth=1
	v_lshlrev_b64 v[2:3], 3, v[2:3]
	v_mov_b32_e32 v5, s29
	v_add_co_u32_e32 v2, vcc, s28, v2
	v_addc_co_u32_e32 v3, vcc, v5, v3, vcc
	global_load_dwordx2 v[90:91], v[2:3], off
.LBB122_7:                              ;   in Loop: Header=BB122_3 Depth=1
	s_or_b64 exec, exec, s[14:15]
.LBB122_8:                              ;   in Loop: Header=BB122_3 Depth=1
	s_or_b64 exec, exec, s[10:11]
	s_mov_b32 s26, s12
	s_mov_b32 s27, s12
	;; [unrolled: 1-line block ×15, first 2 shown]
	v_pk_mov_b32 v[32:33], s[26:27], s[26:27] op_sel:[0,1]
	v_cmp_gt_i64_e32 vcc, s[36:37], v[88:89]
	v_pk_mov_b32 v[30:31], s[24:25], s[24:25] op_sel:[0,1]
	v_pk_mov_b32 v[28:29], s[22:23], s[22:23] op_sel:[0,1]
	;; [unrolled: 1-line block ×8, first 2 shown]
	s_and_b64 s[50:51], s[2:3], vcc
	v_pk_mov_b32 v[46:47], v[30:31], v[30:31] op_sel:[0,1]
	v_pk_mov_b32 v[44:45], v[28:29], v[28:29] op_sel:[0,1]
	;; [unrolled: 1-line block ×7, first 2 shown]
	s_and_saveexec_b64 s[10:11], s[50:51]
	s_cbranch_execz .LBB122_10
; %bb.9:                                ;   in Loop: Header=BB122_3 Depth=1
	v_add_co_u32_e32 v2, vcc, v82, v52
	v_addc_co_u32_e32 v3, vcc, v81, v53, vcc
	v_add_co_u32_e32 v6, vcc, v84, v52
	global_load_dwordx2 v[2:3], v[2:3], off
	v_addc_co_u32_e32 v7, vcc, v83, v53, vcc
	global_load_dwordx2 v[18:19], v[6:7], off
	v_mov_b32_e32 v16, v4
	v_mov_b32_e32 v17, v4
	;; [unrolled: 1-line block ×13, first 2 shown]
	s_waitcnt vmcnt(1)
	v_pk_mov_b32 v[48:49], v[16:17], v[16:17] op_sel:[0,1]
	v_mov_b32_e32 v20, v4
	v_mov_b32_e32 v21, v4
	;; [unrolled: 1-line block ×14, first 2 shown]
	v_pk_mov_b32 v[46:47], v[14:15], v[14:15] op_sel:[0,1]
	v_pk_mov_b32 v[44:45], v[12:13], v[12:13] op_sel:[0,1]
	;; [unrolled: 1-line block ×7, first 2 shown]
.LBB122_10:                             ;   in Loop: Header=BB122_3 Depth=1
	s_or_b64 exec, exec, s[10:11]
	v_add_co_u32_e32 v2, vcc, 1, v88
	v_addc_co_u32_e32 v3, vcc, 0, v89, vcc
	v_cmp_gt_i64_e32 vcc, s[36:37], v[2:3]
	s_and_b64 s[14:15], s[2:3], vcc
	s_and_saveexec_b64 s[10:11], s[14:15]
	s_cbranch_execz .LBB122_12
; %bb.11:                               ;   in Loop: Header=BB122_3 Depth=1
	v_add_co_u32_e32 v2, vcc, v78, v52
	v_addc_co_u32_e32 v3, vcc, v77, v53, vcc
	global_load_dwordx2 v[36:37], v[2:3], off
	v_add_co_u32_e32 v2, vcc, v80, v52
	v_addc_co_u32_e32 v3, vcc, v79, v53, vcc
	global_load_dwordx2 v[20:21], v[2:3], off
.LBB122_12:                             ;   in Loop: Header=BB122_3 Depth=1
	s_or_b64 exec, exec, s[10:11]
	v_add_co_u32_e32 v2, vcc, 2, v88
	v_addc_co_u32_e32 v3, vcc, 0, v89, vcc
	v_cmp_gt_i64_e32 vcc, s[36:37], v[2:3]
	s_and_b64 s[14:15], s[2:3], vcc
	s_and_saveexec_b64 s[10:11], s[14:15]
	s_cbranch_execz .LBB122_14
; %bb.13:                               ;   in Loop: Header=BB122_3 Depth=1
	v_add_co_u32_e32 v2, vcc, v74, v52
	v_addc_co_u32_e32 v3, vcc, v73, v53, vcc
	global_load_dwordx2 v[38:39], v[2:3], off
	v_add_co_u32_e32 v2, vcc, v76, v52
	v_addc_co_u32_e32 v3, vcc, v75, v53, vcc
	global_load_dwordx2 v[22:23], v[2:3], off
.LBB122_14:                             ;   in Loop: Header=BB122_3 Depth=1
	;; [unrolled: 15-line block ×7, first 2 shown]
	s_or_b64 exec, exec, s[10:11]
	s_waitcnt vmcnt(0)
	ds_bpermute_b32 v2, v93, v90
	ds_bpermute_b32 v3, v93, v91
	ds_bpermute_b32 v6, v93, v90 offset:4
	ds_bpermute_b32 v7, v93, v91 offset:4
	v_mul_f64 v[8:9], v[18:19], v[34:35]
	ds_bpermute_b32 v10, v93, v90 offset:12
	s_waitcnt lgkmcnt(3)
	v_fma_f64 v[2:3], v[8:9], v[2:3], v[86:87]
	v_mul_f64 v[8:9], v[20:21], v[36:37]
	s_waitcnt lgkmcnt(1)
	v_fmac_f64_e32 v[2:3], v[8:9], v[6:7]
	ds_bpermute_b32 v6, v93, v90 offset:8
	ds_bpermute_b32 v7, v93, v91 offset:8
	;; [unrolled: 1-line block ×5, first 2 shown]
	v_mul_f64 v[8:9], v[22:23], v[38:39]
	s_waitcnt lgkmcnt(3)
	v_fmac_f64_e32 v[2:3], v[8:9], v[6:7]
	v_mul_f64 v[6:7], v[24:25], v[40:41]
	s_waitcnt lgkmcnt(2)
	v_fmac_f64_e32 v[2:3], v[6:7], v[10:11]
	v_mul_f64 v[6:7], v[26:27], v[42:43]
	ds_bpermute_b32 v8, v93, v90 offset:20
	ds_bpermute_b32 v9, v93, v91 offset:20
	s_waitcnt lgkmcnt(2)
	v_fmac_f64_e32 v[2:3], v[6:7], v[12:13]
	ds_bpermute_b32 v12, v93, v90 offset:24
	ds_bpermute_b32 v13, v93, v91 offset:24
	;; [unrolled: 1-line block ×4, first 2 shown]
	v_mul_f64 v[10:11], v[28:29], v[44:45]
	s_waitcnt lgkmcnt(4)
	v_fmac_f64_e32 v[2:3], v[10:11], v[8:9]
	v_mul_f64 v[8:9], v[30:31], v[46:47]
	s_waitcnt lgkmcnt(2)
	v_fmac_f64_e32 v[2:3], v[8:9], v[12:13]
	s_branch .LBB122_40
.LBB122_25:                             ;   in Loop: Header=BB122_3 Depth=1
                                        ; implicit-def: $vgpr2_vgpr3
                                        ; implicit-def: $vgpr18_vgpr19_vgpr20_vgpr21_vgpr22_vgpr23_vgpr24_vgpr25_vgpr26_vgpr27_vgpr28_vgpr29_vgpr30_vgpr31_vgpr32_vgpr33
                                        ; implicit-def: $vgpr34_vgpr35_vgpr36_vgpr37_vgpr38_vgpr39_vgpr40_vgpr41_vgpr42_vgpr43_vgpr44_vgpr45_vgpr46_vgpr47_vgpr48_vgpr49
                                        ; implicit-def: $vgpr6
	s_cbranch_execz .LBB122_40
; %bb.26:                               ;   in Loop: Header=BB122_3 Depth=1
	s_load_dword s10, s[34:35], 0x0
	v_pk_mov_b32 v[90:91], 0, 0
	s_waitcnt lgkmcnt(0)
	s_cmp_lt_u32 s6, s10
	s_cselect_b32 s10, 12, 18
	s_add_u32 s10, s34, s10
	s_addc_u32 s11, s35, 0
	global_load_ushort v2, v4, s[10:11]
	s_waitcnt vmcnt(0)
	v_mad_u32_u24 v2, v92, v2, v85
	v_and_b32_e32 v2, 63, v2
	v_cmp_gt_u32_e32 vcc, 8, v2
	s_and_saveexec_b64 s[10:11], vcc
	s_cbranch_execz .LBB122_30
; %bb.27:                               ;   in Loop: Header=BB122_3 Depth=1
	v_add_co_u32_e32 v2, vcc, v88, v2
	v_addc_co_u32_e32 v3, vcc, 0, v89, vcc
	v_cmp_gt_i64_e32 vcc, s[36:37], v[2:3]
	v_pk_mov_b32 v[90:91], 0, 0
	s_and_saveexec_b64 s[14:15], vcc
	s_cbranch_execz .LBB122_29
; %bb.28:                               ;   in Loop: Header=BB122_3 Depth=1
	v_lshlrev_b64 v[2:3], 3, v[2:3]
	v_mov_b32_e32 v5, s29
	v_add_co_u32_e32 v2, vcc, s28, v2
	v_addc_co_u32_e32 v3, vcc, v5, v3, vcc
	global_load_dwordx2 v[90:91], v[2:3], off
.LBB122_29:                             ;   in Loop: Header=BB122_3 Depth=1
	s_or_b64 exec, exec, s[14:15]
.LBB122_30:                             ;   in Loop: Header=BB122_3 Depth=1
	s_or_b64 exec, exec, s[10:11]
	s_mov_b32 s26, s12
	s_mov_b32 s27, s12
	;; [unrolled: 1-line block ×15, first 2 shown]
	v_pk_mov_b32 v[32:33], s[26:27], s[26:27] op_sel:[0,1]
	v_pk_mov_b32 v[30:31], s[24:25], s[24:25] op_sel:[0,1]
	;; [unrolled: 1-line block ×16, first 2 shown]
	s_and_saveexec_b64 s[10:11], s[2:3]
	s_cbranch_execnz .LBB122_42
; %bb.31:                               ;   in Loop: Header=BB122_3 Depth=1
	s_or_b64 exec, exec, s[10:11]
	s_and_saveexec_b64 s[10:11], s[2:3]
	s_cbranch_execnz .LBB122_43
.LBB122_32:                             ;   in Loop: Header=BB122_3 Depth=1
	s_or_b64 exec, exec, s[10:11]
	s_and_saveexec_b64 s[10:11], s[2:3]
	s_cbranch_execnz .LBB122_44
.LBB122_33:                             ;   in Loop: Header=BB122_3 Depth=1
	s_or_b64 exec, exec, s[10:11]
	s_and_saveexec_b64 s[10:11], s[2:3]
	s_cbranch_execnz .LBB122_45
.LBB122_34:                             ;   in Loop: Header=BB122_3 Depth=1
	s_or_b64 exec, exec, s[10:11]
	s_and_saveexec_b64 s[10:11], s[2:3]
	s_cbranch_execnz .LBB122_46
.LBB122_35:                             ;   in Loop: Header=BB122_3 Depth=1
	s_or_b64 exec, exec, s[10:11]
	s_and_saveexec_b64 s[10:11], s[2:3]
	s_cbranch_execnz .LBB122_47
.LBB122_36:                             ;   in Loop: Header=BB122_3 Depth=1
	s_or_b64 exec, exec, s[10:11]
	s_and_saveexec_b64 s[10:11], s[2:3]
	s_cbranch_execnz .LBB122_48
.LBB122_37:                             ;   in Loop: Header=BB122_3 Depth=1
	s_or_b64 exec, exec, s[10:11]
	s_and_saveexec_b64 s[10:11], s[2:3]
	s_cbranch_execz .LBB122_39
.LBB122_38:                             ;   in Loop: Header=BB122_3 Depth=1
	v_add_co_u32_e32 v2, vcc, v54, v52
	v_addc_co_u32_e32 v3, vcc, v51, v53, vcc
	global_load_dwordx2 v[48:49], v[2:3], off
	v_add_co_u32_e32 v2, vcc, v56, v52
	v_addc_co_u32_e32 v3, vcc, v55, v53, vcc
	global_load_dwordx2 v[32:33], v[2:3], off
.LBB122_39:                             ;   in Loop: Header=BB122_3 Depth=1
	s_or_b64 exec, exec, s[10:11]
	s_waitcnt vmcnt(0)
	ds_bpermute_b32 v2, v93, v90
	ds_bpermute_b32 v3, v93, v91
	ds_bpermute_b32 v6, v93, v90 offset:4
	ds_bpermute_b32 v7, v93, v91 offset:4
	v_mul_f64 v[8:9], v[18:19], v[34:35]
	ds_bpermute_b32 v10, v93, v90 offset:16
	s_waitcnt lgkmcnt(3)
	v_fmac_f64_e32 v[86:87], v[8:9], v[2:3]
	v_mul_f64 v[2:3], v[20:21], v[36:37]
	s_waitcnt lgkmcnt(1)
	v_fmac_f64_e32 v[86:87], v[2:3], v[6:7]
	ds_bpermute_b32 v2, v93, v90 offset:8
	ds_bpermute_b32 v3, v93, v91 offset:8
	;; [unrolled: 1-line block ×5, first 2 shown]
	v_mul_f64 v[6:7], v[22:23], v[38:39]
	s_waitcnt lgkmcnt(3)
	v_fmac_f64_e32 v[86:87], v[6:7], v[2:3]
	v_mul_f64 v[2:3], v[24:25], v[40:41]
	s_waitcnt lgkmcnt(1)
	v_fmac_f64_e32 v[86:87], v[2:3], v[8:9]
	;; [unrolled: 3-line block ×3, first 2 shown]
	ds_bpermute_b32 v2, v93, v90 offset:20
	ds_bpermute_b32 v3, v93, v91 offset:20
	ds_bpermute_b32 v10, v93, v90 offset:24
	ds_bpermute_b32 v11, v93, v91 offset:24
	v_mul_f64 v[8:9], v[28:29], v[44:45]
	ds_bpermute_b32 v6, v93, v90 offset:28
	s_waitcnt lgkmcnt(3)
	v_fmac_f64_e32 v[86:87], v[8:9], v[2:3]
	v_mul_f64 v[2:3], v[30:31], v[46:47]
	s_waitcnt lgkmcnt(1)
	v_fmac_f64_e32 v[86:87], v[2:3], v[10:11]
	ds_bpermute_b32 v7, v93, v91 offset:28
	v_pk_mov_b32 v[2:3], v[86:87], v[86:87] op_sel:[0,1]
.LBB122_40:                             ;   in Loop: Header=BB122_3 Depth=1
	v_mov_b32_e32 v5, s47
	v_add_co_u32_e32 v54, vcc, s46, v54
	v_addc_co_u32_e32 v51, vcc, v51, v5, vcc
	v_add_co_u32_e32 v56, vcc, s46, v56
	v_addc_co_u32_e32 v55, vcc, v55, v5, vcc
	;; [unrolled: 2-line block ×13, first 2 shown]
	v_add_co_u32_e32 v80, vcc, s46, v80
	v_mul_f64 v[8:9], v[48:49], v[32:33]
	v_addc_co_u32_e32 v79, vcc, v79, v5, vcc
	s_waitcnt lgkmcnt(0)
	v_fmac_f64_e32 v[2:3], v[8:9], v[6:7]
	v_mov_b32_e32 v6, s33
	v_add_co_u32_e32 v50, vcc, s9, v50
	v_addc_co_u32_e32 v1, vcc, v1, v6, vcc
	v_add_co_u32_e32 v82, vcc, s46, v82
	v_addc_co_u32_e32 v81, vcc, v81, v5, vcc
	s_add_u32 s48, s48, s9
	v_add_co_u32_e32 v84, vcc, s46, v84
	s_addc_u32 s49, s49, 0
	v_addc_co_u32_e32 v83, vcc, v83, v5, vcc
	v_pk_mov_b32 v[6:7], s[36:37], s[36:37] op_sel:[0,1]
	s_add_u32 s44, s44, s9
	v_cmp_lt_i64_e32 vcc, s[48:49], v[6:7]
	s_addc_u32 s45, s45, 0
	s_cbranch_vccz .LBB122_50
; %bb.41:                               ;   in Loop: Header=BB122_3 Depth=1
	v_pk_mov_b32 v[86:87], v[2:3], v[2:3] op_sel:[0,1]
	s_branch .LBB122_3
.LBB122_42:                             ;   in Loop: Header=BB122_3 Depth=1
	v_add_co_u32_e32 v2, vcc, v82, v52
	v_addc_co_u32_e32 v3, vcc, v81, v53, vcc
	v_add_co_u32_e32 v6, vcc, v84, v52
	global_load_dwordx2 v[2:3], v[2:3], off
	v_addc_co_u32_e32 v7, vcc, v83, v53, vcc
	global_load_dwordx2 v[18:19], v[6:7], off
	v_mov_b32_e32 v16, v4
	v_mov_b32_e32 v17, v4
	;; [unrolled: 1-line block ×13, first 2 shown]
	s_waitcnt vmcnt(1)
	v_pk_mov_b32 v[48:49], v[16:17], v[16:17] op_sel:[0,1]
	v_mov_b32_e32 v20, v4
	v_mov_b32_e32 v21, v4
	;; [unrolled: 1-line block ×14, first 2 shown]
	v_pk_mov_b32 v[46:47], v[14:15], v[14:15] op_sel:[0,1]
	v_pk_mov_b32 v[44:45], v[12:13], v[12:13] op_sel:[0,1]
	;; [unrolled: 1-line block ×7, first 2 shown]
	s_or_b64 exec, exec, s[10:11]
	s_and_saveexec_b64 s[10:11], s[2:3]
	s_cbranch_execz .LBB122_32
.LBB122_43:                             ;   in Loop: Header=BB122_3 Depth=1
	v_add_co_u32_e32 v2, vcc, v78, v52
	v_addc_co_u32_e32 v3, vcc, v77, v53, vcc
	global_load_dwordx2 v[36:37], v[2:3], off
	v_add_co_u32_e32 v2, vcc, v80, v52
	v_addc_co_u32_e32 v3, vcc, v79, v53, vcc
	global_load_dwordx2 v[20:21], v[2:3], off
	s_or_b64 exec, exec, s[10:11]
	s_and_saveexec_b64 s[10:11], s[2:3]
	s_cbranch_execz .LBB122_33
.LBB122_44:                             ;   in Loop: Header=BB122_3 Depth=1
	v_add_co_u32_e32 v2, vcc, v74, v52
	v_addc_co_u32_e32 v3, vcc, v73, v53, vcc
	global_load_dwordx2 v[38:39], v[2:3], off
	v_add_co_u32_e32 v2, vcc, v76, v52
	v_addc_co_u32_e32 v3, vcc, v75, v53, vcc
	global_load_dwordx2 v[22:23], v[2:3], off
	s_or_b64 exec, exec, s[10:11]
	s_and_saveexec_b64 s[10:11], s[2:3]
	s_cbranch_execz .LBB122_34
.LBB122_45:                             ;   in Loop: Header=BB122_3 Depth=1
	v_add_co_u32_e32 v2, vcc, v70, v52
	v_addc_co_u32_e32 v3, vcc, v69, v53, vcc
	global_load_dwordx2 v[40:41], v[2:3], off
	v_add_co_u32_e32 v2, vcc, v72, v52
	v_addc_co_u32_e32 v3, vcc, v71, v53, vcc
	global_load_dwordx2 v[24:25], v[2:3], off
	s_or_b64 exec, exec, s[10:11]
	s_and_saveexec_b64 s[10:11], s[2:3]
	s_cbranch_execz .LBB122_35
.LBB122_46:                             ;   in Loop: Header=BB122_3 Depth=1
	v_add_co_u32_e32 v2, vcc, v66, v52
	v_addc_co_u32_e32 v3, vcc, v65, v53, vcc
	global_load_dwordx2 v[42:43], v[2:3], off
	v_add_co_u32_e32 v2, vcc, v68, v52
	v_addc_co_u32_e32 v3, vcc, v67, v53, vcc
	global_load_dwordx2 v[26:27], v[2:3], off
	s_or_b64 exec, exec, s[10:11]
	s_and_saveexec_b64 s[10:11], s[2:3]
	s_cbranch_execz .LBB122_36
.LBB122_47:                             ;   in Loop: Header=BB122_3 Depth=1
	v_add_co_u32_e32 v2, vcc, v62, v52
	v_addc_co_u32_e32 v3, vcc, v61, v53, vcc
	global_load_dwordx2 v[44:45], v[2:3], off
	v_add_co_u32_e32 v2, vcc, v64, v52
	v_addc_co_u32_e32 v3, vcc, v63, v53, vcc
	global_load_dwordx2 v[28:29], v[2:3], off
	s_or_b64 exec, exec, s[10:11]
	s_and_saveexec_b64 s[10:11], s[2:3]
	s_cbranch_execz .LBB122_37
.LBB122_48:                             ;   in Loop: Header=BB122_3 Depth=1
	v_add_co_u32_e32 v2, vcc, v58, v52
	v_addc_co_u32_e32 v3, vcc, v57, v53, vcc
	global_load_dwordx2 v[46:47], v[2:3], off
	v_add_co_u32_e32 v2, vcc, v60, v52
	v_addc_co_u32_e32 v3, vcc, v59, v53, vcc
	global_load_dwordx2 v[30:31], v[2:3], off
	s_or_b64 exec, exec, s[10:11]
	s_and_saveexec_b64 s[10:11], s[2:3]
	s_cbranch_execnz .LBB122_38
	s_branch .LBB122_39
.LBB122_49:
                                        ; implicit-def: $vgpr2_vgpr3
	s_load_dwordx2 s[2:3], s[4:5], 0x30
	s_branch .LBB122_51
.LBB122_50:
	s_load_dwordx2 s[2:3], s[4:5], 0x30
	s_cbranch_execnz .LBB122_83
.LBB122_51:
	s_and_b64 vcc, exec, s[0:1]
	v_pk_mov_b32 v[2:3], 0, 0
	s_cbranch_vccnz .LBB122_83
; %bb.52:
	v_bfe_u32 v111, v0, 10, 10
	s_add_u32 s10, s4, 64
	s_addc_u32 s11, s5, 0
	v_lshlrev_b32_e32 v1, 6, v111
	s_lshl_b64 s[0:1], s[30:31], 3
	v_mov_b32_e32 v2, s1
	v_add_co_u32_e32 v1, vcc, s0, v1
	v_addc_co_u32_e32 v4, vcc, 0, v2, vcc
	v_add_co_u32_e32 v6, vcc, 8, v1
	v_addc_co_u32_e32 v5, vcc, 0, v4, vcc
	v_add_co_u32_e32 v9, vcc, 16, v1
	v_mul_lo_u32 v7, s38, v5
	v_addc_co_u32_e32 v5, vcc, 0, v4, vcc
	v_add_co_u32_e32 v12, vcc, 24, v1
	v_mul_lo_u32 v10, s38, v5
	;; [unrolled: 3-line block ×5, first 2 shown]
	v_addc_co_u32_e32 v5, vcc, 0, v4, vcc
	v_add_co_u32_e32 v24, vcc, 56, v1
	v_lshlrev_b32_e32 v50, 3, v111
	v_addc_co_u32_e32 v1, vcc, 0, v4, vcc
	v_mul_lo_u32 v25, s38, v1
	v_mov_b32_e32 v1, s31
	v_add_co_u32_e32 v27, vcc, s30, v50
	v_pk_mov_b32 v[2:3], s[40:41], s[40:41] op_sel:[0,1]
	v_addc_co_u32_e32 v28, vcc, 0, v1, vcc
	v_mad_u64_u32 v[52:53], s[0:1], s38, v6, v[2:3]
	v_mad_u64_u32 v[54:55], s[0:1], s38, v9, v[2:3]
	;; [unrolled: 1-line block ×7, first 2 shown]
	v_mul_lo_u32 v29, s39, v27
	v_mul_lo_u32 v30, s38, v28
	v_mad_u64_u32 v[2:3], s[0:1], s38, v27, 0
	v_add3_u32 v3, v3, v30, v29
	v_lshlrev_b64 v[2:3], 3, v[2:3]
	v_mul_lo_u32 v22, s38, v5
	v_mov_b32_e32 v31, s41
	v_add_co_u32_e32 v66, vcc, s40, v2
	v_pk_mov_b32 v[4:5], s[42:43], s[42:43] op_sel:[0,1]
	v_mul_lo_u32 v17, s39, v15
	v_addc_co_u32_e32 v1, vcc, v31, v3, vcc
	v_mad_u64_u32 v[74:75], s[0:1], s38, v15, v[4:5]
	v_add3_u32 v59, v17, v59, v16
	v_add3_u32 v75, v17, v75, v16
	v_mov_b32_e32 v16, s43
	v_add_co_u32_e32 v82, vcc, s42, v2
	v_addc_co_u32_e32 v51, vcc, v16, v3, vcc
	v_add_co_u32_e32 v2, vcc, 7, v27
	v_addc_co_u32_e32 v3, vcc, 0, v28, vcc
	v_mad_u64_u32 v[68:69], s[0:1], s38, v6, v[4:5]
	v_mad_u64_u32 v[70:71], s[0:1], s38, v9, v[4:5]
	v_mad_u64_u32 v[72:73], s[0:1], s38, v12, v[4:5]
	v_mad_u64_u32 v[76:77], s[0:1], s38, v18, v[4:5]
	v_mad_u64_u32 v[78:79], s[0:1], s38, v21, v[4:5]
	v_mad_u64_u32 v[80:81], s[0:1], s38, v24, v[4:5]
	v_mul_lo_u32 v4, s39, v2
	v_mul_lo_u32 v5, s38, v3
	v_mad_u64_u32 v[2:3], s[0:1], s38, v2, 0
	v_add3_u32 v3, v3, v5, v4
	v_add_co_u32_e32 v4, vcc, 6, v27
	v_mul_lo_u32 v8, s39, v6
	v_addc_co_u32_e32 v5, vcc, 0, v28, vcc
	v_add3_u32 v53, v8, v53, v7
	v_add3_u32 v69, v8, v69, v7
	v_mul_lo_u32 v6, s39, v4
	v_mul_lo_u32 v7, s38, v5
	v_mad_u64_u32 v[4:5], s[0:1], s38, v4, 0
	v_add3_u32 v5, v5, v7, v6
	v_add_co_u32_e32 v6, vcc, 5, v27
	v_addc_co_u32_e32 v7, vcc, 0, v28, vcc
	v_mul_lo_u32 v11, s39, v9
	v_mul_lo_u32 v8, s39, v6
	;; [unrolled: 1-line block ×3, first 2 shown]
	v_mad_u64_u32 v[6:7], s[0:1], s38, v6, 0
	v_add3_u32 v7, v7, v9, v8
	v_add_co_u32_e32 v8, vcc, 4, v27
	v_addc_co_u32_e32 v9, vcc, 0, v28, vcc
	v_add3_u32 v55, v11, v55, v10
	v_add3_u32 v71, v11, v71, v10
	v_mul_lo_u32 v10, s39, v8
	v_mul_lo_u32 v11, s38, v9
	v_mad_u64_u32 v[8:9], s[0:1], s38, v8, 0
	v_add3_u32 v9, v9, v11, v10
	v_add_co_u32_e32 v10, vcc, 3, v27
	v_mul_lo_u32 v14, s39, v12
	v_addc_co_u32_e32 v11, vcc, 0, v28, vcc
	v_add3_u32 v57, v14, v57, v13
	v_add3_u32 v73, v14, v73, v13
	v_mul_lo_u32 v12, s39, v10
	v_mul_lo_u32 v13, s38, v11
	v_mad_u64_u32 v[10:11], s[0:1], s38, v10, 0
	v_add3_u32 v11, v11, v13, v12
	v_add_co_u32_e32 v12, vcc, 2, v27
	v_lshlrev_b64 v[2:3], 3, v[2:3]
	v_addc_co_u32_e32 v13, vcc, 0, v28, vcc
	v_add_co_u32_e32 v84, vcc, s40, v2
	v_addc_co_u32_e32 v67, vcc, v31, v3, vcc
	v_add_co_u32_e32 v86, vcc, s42, v2
	v_addc_co_u32_e32 v83, vcc, v16, v3, vcc
	v_lshlrev_b64 v[2:3], 3, v[4:5]
	v_add_co_u32_e32 v88, vcc, s40, v2
	v_addc_co_u32_e32 v85, vcc, v31, v3, vcc
	v_add_co_u32_e32 v90, vcc, s42, v2
	v_addc_co_u32_e32 v87, vcc, v16, v3, vcc
	v_lshlrev_b64 v[2:3], 3, v[6:7]
	;; [unrolled: 5-line block ×4, first 2 shown]
	v_add_co_u32_e32 v100, vcc, s40, v2
	v_mul_lo_u32 v14, s39, v12
	v_mul_lo_u32 v15, s38, v13
	v_mad_u64_u32 v[12:13], s[0:1], s38, v12, 0
	v_addc_co_u32_e32 v97, vcc, v31, v3, vcc
	v_add3_u32 v13, v13, v15, v14
	v_add_co_u32_e32 v102, vcc, s42, v2
	v_addc_co_u32_e32 v99, vcc, v16, v3, vcc
	v_lshlrev_b64 v[2:3], 3, v[12:13]
	v_pk_mov_b32 v[14:15], s[38:39], s[38:39] op_sel:[0,1]
	v_add_co_u32_e32 v104, vcc, s40, v2
	v_mad_u64_u32 v[14:15], s[0:1], s38, v27, v[14:15]
	v_addc_co_u32_e32 v101, vcc, v31, v3, vcc
	v_add3_u32 v15, v29, v15, v30
	v_add_co_u32_e32 v106, vcc, s42, v2
	v_addc_co_u32_e32 v103, vcc, v16, v3, vcc
	v_lshlrev_b64 v[2:3], 3, v[14:15]
	s_load_dword s0, s[4:5], 0x44
	v_add_co_u32_e32 v108, vcc, s40, v2
	v_addc_co_u32_e32 v105, vcc, v31, v3, vcc
	v_add_co_u32_e32 v110, vcc, s42, v2
	v_and_b32_e32 v120, 0x3ff, v0
	v_mov_b32_e32 v4, 0
	v_addc_co_u32_e32 v107, vcc, v16, v3, vcc
	v_add_u32_e32 v2, s7, v120
	v_mov_b32_e32 v3, v4
	s_waitcnt lgkmcnt(0)
	s_lshl_b32 s7, s0, 3
	v_lshlrev_b64 v[112:113], 3, v[2:3]
	v_mbcnt_lo_u32_b32 v2, -1, 0
	s_mul_i32 s0, s39, s7
	s_mul_hi_u32 s1, s38, s7
	v_mbcnt_hi_u32_b32 v2, -1, v2
	v_mul_lo_u32 v20, s39, v18
	v_mul_lo_u32 v23, s39, v21
	;; [unrolled: 1-line block ×3, first 2 shown]
	s_mov_b32 s12, 0
	s_add_i32 s1, s1, s0
	s_mul_i32 s0, s38, s7
	v_lshlrev_b32_e32 v2, 2, v2
	v_add3_u32 v61, v20, v61, v19
	v_add3_u32 v63, v23, v63, v22
	;; [unrolled: 1-line block ×6, first 2 shown]
	s_mov_b32 s9, s12
	s_lshl_b64 s[34:35], s[0:1], 3
	s_mov_b64 s[40:41], 7
	v_and_b32_e32 v121, 0x100, v2
	s_mov_b64 s[42:43], s[30:31]
	v_mov_b32_e32 v109, v4
	v_pk_mov_b32 v[114:115], 0, 0
.LBB122_53:                             ; =>This Inner Loop Header: Depth=1
	s_add_u32 s0, s30, s40
	s_addc_u32 s1, 0, s41
	v_pk_mov_b32 v[2:3], s[36:37], s[36:37] op_sel:[0,1]
	v_cmp_ge_i64_e32 vcc, s[0:1], v[2:3]
	v_mov_b32_e32 v2, s31
	v_add_co_u32_e64 v116, s[0:1], s30, v50
	v_addc_co_u32_e64 v117, s[0:1], v2, v109, s[0:1]
	s_cbranch_vccz .LBB122_75
; %bb.54:                               ;   in Loop: Header=BB122_53 Depth=1
	s_load_dword s0, s[10:11], 0xc
	v_pk_mov_b32 v[118:119], 0, 0
	s_waitcnt lgkmcnt(0)
	s_and_b32 s0, s0, 0xffff
	v_mad_u32_u24 v2, v111, s0, v120
	v_and_b32_e32 v2, 63, v2
	v_cmp_gt_u32_e32 vcc, 8, v2
	s_and_saveexec_b64 s[0:1], vcc
	s_cbranch_execz .LBB122_58
; %bb.55:                               ;   in Loop: Header=BB122_53 Depth=1
	v_add_co_u32_e32 v2, vcc, v116, v2
	v_addc_co_u32_e32 v3, vcc, 0, v117, vcc
	v_cmp_gt_i64_e32 vcc, s[36:37], v[2:3]
	v_pk_mov_b32 v[118:119], 0, 0
	s_and_saveexec_b64 s[14:15], vcc
	s_cbranch_execz .LBB122_57
; %bb.56:                               ;   in Loop: Header=BB122_53 Depth=1
	v_lshlrev_b64 v[2:3], 3, v[2:3]
	v_mov_b32_e32 v5, s29
	v_add_co_u32_e32 v2, vcc, s28, v2
	v_addc_co_u32_e32 v3, vcc, v5, v3, vcc
	global_load_dwordx2 v[118:119], v[2:3], off
.LBB122_57:                             ;   in Loop: Header=BB122_53 Depth=1
	s_or_b64 exec, exec, s[14:15]
.LBB122_58:                             ;   in Loop: Header=BB122_53 Depth=1
	s_or_b64 exec, exec, s[0:1]
	s_mov_b32 s26, s12
	s_mov_b32 s27, s12
	;; [unrolled: 1-line block ×15, first 2 shown]
	v_pk_mov_b32 v[32:33], s[26:27], s[26:27] op_sel:[0,1]
	v_pk_mov_b32 v[30:31], s[24:25], s[24:25] op_sel:[0,1]
	;; [unrolled: 1-line block ×9, first 2 shown]
	v_cmp_gt_i64_e32 vcc, s[36:37], v[116:117]
	v_pk_mov_b32 v[46:47], v[30:31], v[30:31] op_sel:[0,1]
	v_pk_mov_b32 v[44:45], v[28:29], v[28:29] op_sel:[0,1]
	;; [unrolled: 1-line block ×7, first 2 shown]
	s_and_saveexec_b64 s[0:1], vcc
	s_cbranch_execz .LBB122_60
; %bb.59:                               ;   in Loop: Header=BB122_53 Depth=1
	v_add_co_u32_e32 v2, vcc, v66, v112
	v_addc_co_u32_e32 v3, vcc, v1, v113, vcc
	v_add_co_u32_e32 v6, vcc, v82, v112
	global_load_dwordx2 v[2:3], v[2:3], off
	v_addc_co_u32_e32 v7, vcc, v51, v113, vcc
	global_load_dwordx2 v[18:19], v[6:7], off
	v_mov_b32_e32 v16, v4
	v_mov_b32_e32 v17, v4
	v_mov_b32_e32 v5, v4
	v_mov_b32_e32 v6, v4
	v_mov_b32_e32 v7, v4
	v_mov_b32_e32 v8, v4
	v_mov_b32_e32 v9, v4
	v_mov_b32_e32 v10, v4
	v_mov_b32_e32 v11, v4
	v_mov_b32_e32 v12, v4
	v_mov_b32_e32 v13, v4
	v_mov_b32_e32 v14, v4
	v_mov_b32_e32 v15, v4
	s_waitcnt vmcnt(1)
	v_pk_mov_b32 v[48:49], v[16:17], v[16:17] op_sel:[0,1]
	v_mov_b32_e32 v20, v4
	v_mov_b32_e32 v21, v4
	;; [unrolled: 1-line block ×14, first 2 shown]
	v_pk_mov_b32 v[46:47], v[14:15], v[14:15] op_sel:[0,1]
	v_pk_mov_b32 v[44:45], v[12:13], v[12:13] op_sel:[0,1]
	;; [unrolled: 1-line block ×7, first 2 shown]
.LBB122_60:                             ;   in Loop: Header=BB122_53 Depth=1
	s_or_b64 exec, exec, s[0:1]
	v_add_co_u32_e32 v2, vcc, 1, v116
	v_addc_co_u32_e32 v3, vcc, 0, v117, vcc
	v_cmp_gt_i64_e32 vcc, s[36:37], v[2:3]
	s_and_saveexec_b64 s[0:1], vcc
	s_cbranch_execz .LBB122_62
; %bb.61:                               ;   in Loop: Header=BB122_53 Depth=1
	v_add_co_u32_e32 v2, vcc, v108, v112
	v_addc_co_u32_e32 v3, vcc, v105, v113, vcc
	global_load_dwordx2 v[36:37], v[2:3], off
	v_add_co_u32_e32 v2, vcc, v110, v112
	v_addc_co_u32_e32 v3, vcc, v107, v113, vcc
	global_load_dwordx2 v[20:21], v[2:3], off
.LBB122_62:                             ;   in Loop: Header=BB122_53 Depth=1
	s_or_b64 exec, exec, s[0:1]
	v_add_co_u32_e32 v2, vcc, 2, v116
	v_addc_co_u32_e32 v3, vcc, 0, v117, vcc
	v_cmp_gt_i64_e32 vcc, s[36:37], v[2:3]
	s_and_saveexec_b64 s[0:1], vcc
	s_cbranch_execz .LBB122_64
; %bb.63:                               ;   in Loop: Header=BB122_53 Depth=1
	v_add_co_u32_e32 v2, vcc, v104, v112
	v_addc_co_u32_e32 v3, vcc, v101, v113, vcc
	global_load_dwordx2 v[38:39], v[2:3], off
	v_add_co_u32_e32 v2, vcc, v106, v112
	v_addc_co_u32_e32 v3, vcc, v103, v113, vcc
	global_load_dwordx2 v[22:23], v[2:3], off
.LBB122_64:                             ;   in Loop: Header=BB122_53 Depth=1
	;; [unrolled: 14-line block ×7, first 2 shown]
	s_or_b64 exec, exec, s[0:1]
	s_waitcnt vmcnt(0)
	ds_bpermute_b32 v2, v121, v118
	ds_bpermute_b32 v3, v121, v119
	ds_bpermute_b32 v6, v121, v118 offset:4
	ds_bpermute_b32 v7, v121, v119 offset:4
	v_mul_f64 v[8:9], v[18:19], v[34:35]
	ds_bpermute_b32 v10, v121, v118 offset:12
	s_waitcnt lgkmcnt(3)
	v_fma_f64 v[2:3], v[8:9], v[2:3], v[114:115]
	v_mul_f64 v[8:9], v[20:21], v[36:37]
	s_waitcnt lgkmcnt(1)
	v_fmac_f64_e32 v[2:3], v[8:9], v[6:7]
	ds_bpermute_b32 v6, v121, v118 offset:8
	ds_bpermute_b32 v7, v121, v119 offset:8
	;; [unrolled: 1-line block ×5, first 2 shown]
	v_mul_f64 v[8:9], v[22:23], v[38:39]
	s_waitcnt lgkmcnt(3)
	v_fmac_f64_e32 v[2:3], v[8:9], v[6:7]
	v_mul_f64 v[6:7], v[24:25], v[40:41]
	s_waitcnt lgkmcnt(2)
	v_fmac_f64_e32 v[2:3], v[6:7], v[10:11]
	;; [unrolled: 3-line block ×3, first 2 shown]
	ds_bpermute_b32 v6, v121, v118 offset:20
	ds_bpermute_b32 v7, v121, v119 offset:20
	;; [unrolled: 1-line block ×6, first 2 shown]
	v_mul_f64 v[8:9], v[28:29], v[44:45]
	s_waitcnt lgkmcnt(4)
	v_fmac_f64_e32 v[2:3], v[8:9], v[6:7]
	v_mul_f64 v[6:7], v[30:31], v[46:47]
	s_waitcnt lgkmcnt(2)
	v_fmac_f64_e32 v[2:3], v[6:7], v[10:11]
	;; [unrolled: 3-line block ×3, first 2 shown]
	s_branch .LBB122_81
.LBB122_75:                             ;   in Loop: Header=BB122_53 Depth=1
                                        ; implicit-def: $vgpr2_vgpr3
	s_cbranch_execz .LBB122_81
; %bb.76:                               ;   in Loop: Header=BB122_53 Depth=1
	s_load_dword s0, s[10:11], 0x0
	s_waitcnt lgkmcnt(0)
	s_cmp_lt_u32 s6, s0
	s_cselect_b32 s0, 12, 18
	s_add_u32 s0, s10, s0
	s_addc_u32 s1, s11, 0
	global_load_ushort v2, v4, s[0:1]
	s_waitcnt vmcnt(0)
	v_mad_u32_u24 v2, v111, v2, v120
	v_and_b32_e32 v5, 63, v2
	v_cmp_gt_u32_e32 vcc, 8, v5
	v_pk_mov_b32 v[2:3], 0, 0
	s_and_saveexec_b64 s[0:1], vcc
	s_cbranch_execz .LBB122_80
; %bb.77:                               ;   in Loop: Header=BB122_53 Depth=1
	v_add_co_u32_e32 v6, vcc, v116, v5
	v_addc_co_u32_e32 v7, vcc, 0, v117, vcc
	v_cmp_gt_i64_e32 vcc, s[36:37], v[6:7]
	v_pk_mov_b32 v[2:3], 0, 0
	s_and_saveexec_b64 s[14:15], vcc
	s_cbranch_execz .LBB122_79
; %bb.78:                               ;   in Loop: Header=BB122_53 Depth=1
	v_lshlrev_b64 v[2:3], 3, v[6:7]
	v_mov_b32_e32 v5, s29
	v_add_co_u32_e32 v2, vcc, s28, v2
	v_addc_co_u32_e32 v3, vcc, v5, v3, vcc
	global_load_dwordx2 v[2:3], v[2:3], off
.LBB122_79:                             ;   in Loop: Header=BB122_53 Depth=1
	s_or_b64 exec, exec, s[14:15]
.LBB122_80:                             ;   in Loop: Header=BB122_53 Depth=1
	s_or_b64 exec, exec, s[0:1]
	v_add_co_u32_e32 v6, vcc, v66, v112
	v_addc_co_u32_e32 v7, vcc, v1, v113, vcc
	v_add_co_u32_e32 v8, vcc, v82, v112
	v_addc_co_u32_e32 v9, vcc, v51, v113, vcc
	;; [unrolled: 2-line block ×8, first 2 shown]
	v_add_co_u32_e32 v22, vcc, v58, v112
	global_load_dwordx2 v[6:7], v[6:7], off
	v_addc_co_u32_e32 v23, vcc, v59, v113, vcc
	global_load_dwordx2 v[8:9], v[8:9], off
	v_add_co_u32_e32 v24, vcc, v74, v112
	global_load_dwordx2 v[10:11], v[10:11], off
	v_addc_co_u32_e32 v25, vcc, v75, v113, vcc
	global_load_dwordx2 v[12:13], v[12:13], off
	v_add_co_u32_e32 v26, vcc, v60, v112
	v_addc_co_u32_e32 v27, vcc, v61, v113, vcc
	v_add_co_u32_e32 v28, vcc, v76, v112
	global_load_dwordx2 v[14:15], v[14:15], off
	v_addc_co_u32_e32 v29, vcc, v77, v113, vcc
	global_load_dwordx2 v[16:17], v[16:17], off
	v_add_co_u32_e32 v30, vcc, v62, v112
	global_load_dwordx2 v[18:19], v[18:19], off
	v_addc_co_u32_e32 v31, vcc, v63, v113, vcc
	global_load_dwordx2 v[20:21], v[20:21], off
	;; [unrolled: 4-line block ×3, first 2 shown]
	v_add_co_u32_e32 v34, vcc, v64, v112
	v_addc_co_u32_e32 v35, vcc, v65, v113, vcc
	global_load_dwordx2 v[26:27], v[26:27], off
	v_add_co_u32_e32 v36, vcc, v80, v112
	global_load_dwordx2 v[28:29], v[28:29], off
	v_addc_co_u32_e32 v37, vcc, v81, v113, vcc
	global_load_dwordx2 v[30:31], v[30:31], off
	s_waitcnt vmcnt(13)
	ds_bpermute_b32 v38, v121, v2
	global_load_dwordx2 v[32:33], v[32:33], off
	ds_bpermute_b32 v39, v121, v3
	global_load_dwordx2 v[34:35], v[34:35], off
	ds_bpermute_b32 v40, v121, v2 offset:4
	global_load_dwordx2 v[36:37], v[36:37], off
	ds_bpermute_b32 v41, v121, v3 offset:4
	s_waitcnt vmcnt(14)
	v_mul_f64 v[6:7], v[6:7], v[8:9]
	s_waitcnt lgkmcnt(2)
	v_fmac_f64_e32 v[114:115], v[6:7], v[38:39]
	s_waitcnt vmcnt(12)
	v_mul_f64 v[6:7], v[10:11], v[12:13]
	s_waitcnt lgkmcnt(0)
	v_fmac_f64_e32 v[114:115], v[6:7], v[40:41]
	ds_bpermute_b32 v6, v121, v2 offset:8
	ds_bpermute_b32 v7, v121, v3 offset:8
	;; [unrolled: 1-line block ×6, first 2 shown]
	s_waitcnt vmcnt(10)
	v_mul_f64 v[8:9], v[14:15], v[16:17]
	s_waitcnt lgkmcnt(4)
	v_fmac_f64_e32 v[114:115], v[8:9], v[6:7]
	s_waitcnt vmcnt(8)
	v_mul_f64 v[6:7], v[18:19], v[20:21]
	s_waitcnt lgkmcnt(2)
	v_fmac_f64_e32 v[114:115], v[6:7], v[10:11]
	ds_bpermute_b32 v10, v121, v2 offset:24
	ds_bpermute_b32 v11, v121, v3 offset:24
	s_waitcnt vmcnt(6)
	v_mul_f64 v[6:7], v[22:23], v[24:25]
	s_waitcnt lgkmcnt(2)
	v_fmac_f64_e32 v[114:115], v[6:7], v[12:13]
	ds_bpermute_b32 v6, v121, v2 offset:20
	ds_bpermute_b32 v7, v121, v3 offset:20
	;; [unrolled: 1-line block ×4, first 2 shown]
	s_waitcnt vmcnt(4)
	v_mul_f64 v[8:9], v[26:27], v[28:29]
	s_waitcnt lgkmcnt(2)
	v_fmac_f64_e32 v[114:115], v[8:9], v[6:7]
	s_waitcnt vmcnt(2)
	v_mul_f64 v[6:7], v[30:31], v[32:33]
	v_fmac_f64_e32 v[114:115], v[6:7], v[10:11]
	s_waitcnt vmcnt(0)
	v_mul_f64 v[6:7], v[34:35], v[36:37]
	s_waitcnt lgkmcnt(0)
	v_fmac_f64_e32 v[114:115], v[6:7], v[2:3]
	v_pk_mov_b32 v[2:3], v[114:115], v[114:115] op_sel:[0,1]
.LBB122_81:                             ;   in Loop: Header=BB122_53 Depth=1
	v_mov_b32_e32 v5, s9
	v_add_co_u32_e32 v50, vcc, s7, v50
	v_addc_co_u32_e32 v109, vcc, v109, v5, vcc
	v_mov_b32_e32 v5, s35
	v_add_co_u32_e32 v52, vcc, s34, v52
	v_addc_co_u32_e32 v53, vcc, v53, v5, vcc
	v_add_co_u32_e32 v54, vcc, s34, v54
	v_addc_co_u32_e32 v55, vcc, v55, v5, vcc
	;; [unrolled: 2-line block ×29, first 2 shown]
	s_add_u32 s42, s42, s7
	v_add_co_u32_e32 v110, vcc, s34, v110
	s_addc_u32 s43, s43, 0
	v_addc_co_u32_e32 v107, vcc, v107, v5, vcc
	v_pk_mov_b32 v[6:7], s[36:37], s[36:37] op_sel:[0,1]
	s_add_u32 s40, s40, s7
	v_cmp_ge_i64_e32 vcc, s[42:43], v[6:7]
	s_addc_u32 s41, s41, 0
	s_cbranch_vccnz .LBB122_83
; %bb.82:                               ;   in Loop: Header=BB122_53 Depth=1
	v_pk_mov_b32 v[114:115], v[2:3], v[2:3] op_sel:[0,1]
	s_branch .LBB122_53
.LBB122_83:
	s_mov_b32 s7, 0
	s_lshl_b64 s[0:1], s[6:7], 6
	v_and_b32_e32 v1, 0x3ff, v0
	v_or_b32_e32 v4, s0, v1
	v_mov_b32_e32 v5, s1
	s_waitcnt lgkmcnt(0)
	s_cmp_lg_u64 s[2:3], 0
	v_cmp_gt_i64_e32 vcc, s[38:39], v[4:5]
	s_cselect_b64 s[0:1], -1, 0
	s_and_b64 s[0:1], vcc, s[0:1]
	s_and_saveexec_b64 s[6:7], s[0:1]
	s_cbranch_execz .LBB122_85
; %bb.84:
	s_load_dword s0, s[4:5], 0x4c
	v_bfe_u32 v0, v0, 10, 10
	v_mov_b32_e32 v1, 0
	v_mov_b32_e32 v6, s8
	s_waitcnt lgkmcnt(0)
	s_lshr_b32 s0, s0, 16
	v_mad_u64_u32 v[0:1], s[0:1], s0, v6, v[0:1]
	v_mul_lo_u32 v6, v1, s38
	v_mul_lo_u32 v7, v0, s39
	v_mad_u64_u32 v[0:1], s[0:1], v0, s38, 0
	v_add3_u32 v1, v1, v7, v6
	v_lshlrev_b64 v[0:1], 3, v[0:1]
	v_mov_b32_e32 v6, s3
	v_add_co_u32_e32 v7, vcc, s2, v0
	v_addc_co_u32_e32 v6, vcc, v6, v1, vcc
	v_lshlrev_b64 v[0:1], 3, v[4:5]
	v_add_co_u32_e32 v0, vcc, v7, v0
	v_addc_co_u32_e32 v1, vcc, v6, v1, vcc
	global_store_dwordx2 v[0:1], v[2:3], off
.LBB122_85:
	s_endpgm
	.section	.rodata,"a",@progbits
	.p2align	6, 0x0
	.amdhsa_kernel _ZN2at6native12_GLOBAL__N_135GammaBetaBackwardCUDAKernelTemplateIddLj64ELj1ELj8ELb1ELb0ELb1EEEvllPKT_S5_PKT0_S8_PS3_S9_
		.amdhsa_group_segment_fixed_size 0
		.amdhsa_private_segment_fixed_size 0
		.amdhsa_kernarg_size 320
		.amdhsa_user_sgpr_count 6
		.amdhsa_user_sgpr_private_segment_buffer 1
		.amdhsa_user_sgpr_dispatch_ptr 0
		.amdhsa_user_sgpr_queue_ptr 0
		.amdhsa_user_sgpr_kernarg_segment_ptr 1
		.amdhsa_user_sgpr_dispatch_id 0
		.amdhsa_user_sgpr_flat_scratch_init 0
		.amdhsa_user_sgpr_kernarg_preload_length 0
		.amdhsa_user_sgpr_kernarg_preload_offset 0
		.amdhsa_user_sgpr_private_segment_size 0
		.amdhsa_uses_dynamic_stack 0
		.amdhsa_system_sgpr_private_segment_wavefront_offset 0
		.amdhsa_system_sgpr_workgroup_id_x 1
		.amdhsa_system_sgpr_workgroup_id_y 1
		.amdhsa_system_sgpr_workgroup_id_z 0
		.amdhsa_system_sgpr_workgroup_info 0
		.amdhsa_system_vgpr_workitem_id 1
		.amdhsa_next_free_vgpr 122
		.amdhsa_next_free_sgpr 52
		.amdhsa_accum_offset 124
		.amdhsa_reserve_vcc 1
		.amdhsa_reserve_flat_scratch 0
		.amdhsa_float_round_mode_32 0
		.amdhsa_float_round_mode_16_64 0
		.amdhsa_float_denorm_mode_32 3
		.amdhsa_float_denorm_mode_16_64 3
		.amdhsa_dx10_clamp 1
		.amdhsa_ieee_mode 1
		.amdhsa_fp16_overflow 0
		.amdhsa_tg_split 0
		.amdhsa_exception_fp_ieee_invalid_op 0
		.amdhsa_exception_fp_denorm_src 0
		.amdhsa_exception_fp_ieee_div_zero 0
		.amdhsa_exception_fp_ieee_overflow 0
		.amdhsa_exception_fp_ieee_underflow 0
		.amdhsa_exception_fp_ieee_inexact 0
		.amdhsa_exception_int_div_zero 0
	.end_amdhsa_kernel
	.section	.text._ZN2at6native12_GLOBAL__N_135GammaBetaBackwardCUDAKernelTemplateIddLj64ELj1ELj8ELb1ELb0ELb1EEEvllPKT_S5_PKT0_S8_PS3_S9_,"axG",@progbits,_ZN2at6native12_GLOBAL__N_135GammaBetaBackwardCUDAKernelTemplateIddLj64ELj1ELj8ELb1ELb0ELb1EEEvllPKT_S5_PKT0_S8_PS3_S9_,comdat
.Lfunc_end122:
	.size	_ZN2at6native12_GLOBAL__N_135GammaBetaBackwardCUDAKernelTemplateIddLj64ELj1ELj8ELb1ELb0ELb1EEEvllPKT_S5_PKT0_S8_PS3_S9_, .Lfunc_end122-_ZN2at6native12_GLOBAL__N_135GammaBetaBackwardCUDAKernelTemplateIddLj64ELj1ELj8ELb1ELb0ELb1EEEvllPKT_S5_PKT0_S8_PS3_S9_
                                        ; -- End function
	.section	.AMDGPU.csdata,"",@progbits
; Kernel info:
; codeLenInByte = 6920
; NumSgprs: 56
; NumVgprs: 122
; NumAgprs: 0
; TotalNumVgprs: 122
; ScratchSize: 0
; MemoryBound: 1
; FloatMode: 240
; IeeeMode: 1
; LDSByteSize: 0 bytes/workgroup (compile time only)
; SGPRBlocks: 6
; VGPRBlocks: 15
; NumSGPRsForWavesPerEU: 56
; NumVGPRsForWavesPerEU: 122
; AccumOffset: 124
; Occupancy: 4
; WaveLimiterHint : 0
; COMPUTE_PGM_RSRC2:SCRATCH_EN: 0
; COMPUTE_PGM_RSRC2:USER_SGPR: 6
; COMPUTE_PGM_RSRC2:TRAP_HANDLER: 0
; COMPUTE_PGM_RSRC2:TGID_X_EN: 1
; COMPUTE_PGM_RSRC2:TGID_Y_EN: 1
; COMPUTE_PGM_RSRC2:TGID_Z_EN: 0
; COMPUTE_PGM_RSRC2:TIDIG_COMP_CNT: 1
; COMPUTE_PGM_RSRC3_GFX90A:ACCUM_OFFSET: 30
; COMPUTE_PGM_RSRC3_GFX90A:TG_SPLIT: 0
	.section	.text._ZN2at6native12_GLOBAL__N_135GammaBetaBackwardCUDAKernelTemplateIddLj64ELj8ELj64ELb0ELb1ELb1EEEvllPKT_S5_PKT0_S8_PS3_S9_,"axG",@progbits,_ZN2at6native12_GLOBAL__N_135GammaBetaBackwardCUDAKernelTemplateIddLj64ELj8ELj64ELb0ELb1ELb1EEEvllPKT_S5_PKT0_S8_PS3_S9_,comdat
	.globl	_ZN2at6native12_GLOBAL__N_135GammaBetaBackwardCUDAKernelTemplateIddLj64ELj8ELj64ELb0ELb1ELb1EEEvllPKT_S5_PKT0_S8_PS3_S9_ ; -- Begin function _ZN2at6native12_GLOBAL__N_135GammaBetaBackwardCUDAKernelTemplateIddLj64ELj8ELj64ELb0ELb1ELb1EEEvllPKT_S5_PKT0_S8_PS3_S9_
	.p2align	8
	.type	_ZN2at6native12_GLOBAL__N_135GammaBetaBackwardCUDAKernelTemplateIddLj64ELj8ELj64ELb0ELb1ELb1EEEvllPKT_S5_PKT0_S8_PS3_S9_,@function
_ZN2at6native12_GLOBAL__N_135GammaBetaBackwardCUDAKernelTemplateIddLj64ELj8ELj64ELb0ELb1ELb1EEEvllPKT_S5_PKT0_S8_PS3_S9_: ; @_ZN2at6native12_GLOBAL__N_135GammaBetaBackwardCUDAKernelTemplateIddLj64ELj8ELj64ELb0ELb1ELb1EEEvllPKT_S5_PKT0_S8_PS3_S9_
; %bb.0:
	s_load_dwordx4 s[8:11], s[4:5], 0x0
	s_lshl_b32 s16, s7, 6
	s_mov_b32 s17, 0
	v_bfe_u32 v16, v0, 10, 10
	s_waitcnt lgkmcnt(0)
	v_pk_mov_b32 v[2:3], s[8:9], s[8:9] op_sel:[0,1]
	v_cmp_lt_i64_e32 vcc, s[16:17], v[2:3]
	s_cbranch_vccnz .LBB123_2
; %bb.1:
	s_mov_b64 s[0:1], 0
	s_mov_b64 s[12:13], 0
	v_bfe_u32 v1, v0, 10, 10
	s_branch .LBB123_3
.LBB123_2:
	s_mov_b64 s[0:1], -1
                                        ; implicit-def: $sgpr12_sgpr13
                                        ; implicit-def: $vgpr1
.LBB123_3:
	s_load_dwordx2 s[2:3], s[4:5], 0x30
	v_and_b32_e32 v14, 0x3ff, v0
	s_andn2_b64 vcc, exec, s[0:1]
	v_pk_mov_b32 v[6:7], s[12:13], s[12:13] op_sel:[0,1]
	v_mbcnt_lo_u32_b32 v15, -1, 0
	s_cbranch_vccnz .LBB123_11
; %bb.4:
	s_load_dword s0, s[4:5], 0x4c
	s_load_dword s7, s[4:5], 0x44
	s_load_dwordx4 s[12:15], s[4:5], 0x10
	s_load_dwordx2 s[18:19], s[4:5], 0x28
	v_mbcnt_hi_u32_b32 v2, -1, v15
	v_lshlrev_b32_e32 v0, 3, v16
	s_waitcnt lgkmcnt(0)
	s_and_b32 s0, s0, 0xffff
	v_lshlrev_b32_e32 v2, 2, v2
	v_mad_u32_u24 v1, v16, s0, v14
	v_and_b32_e32 v17, 0x100, v2
	v_mov_b32_e32 v2, s17
	v_add_co_u32_e32 v6, vcc, s16, v0
	v_and_b32_e32 v1, 63, v1
	v_addc_co_u32_e32 v7, vcc, 0, v2, vcc
	v_add_co_u32_e32 v0, vcc, v6, v1
	v_cmp_gt_u32_e64 s[0:1], 8, v1
	v_addc_co_u32_e32 v1, vcc, 0, v7, vcc
	v_lshlrev_b64 v[2:3], 3, v[0:1]
	v_mov_b32_e32 v8, s19
	v_add_co_u32_e32 v2, vcc, s18, v2
	s_lshl_b32 s4, s7, 6
	v_addc_co_u32_e32 v3, vcc, v8, v3, vcc
	v_mul_lo_u32 v8, s11, v6
	v_mul_lo_u32 v9, s10, v7
	v_mad_u64_u32 v[6:7], s[20:21], s10, v6, 0
	v_mov_b32_e32 v5, 0
	v_lshl_add_u32 v4, s6, 6, v14
	v_add3_u32 v7, v7, v9, v8
	s_mul_i32 s7, s11, s4
	s_mul_hi_u32 s20, s10, s4
	s_mov_b32 s5, 0
	v_lshlrev_b64 v[6:7], 3, v[6:7]
	v_lshlrev_b64 v[4:5], 3, v[4:5]
	s_add_i32 s21, s20, s7
	s_mul_i32 s20, s10, s4
	s_lshl_b64 s[18:19], s[4:5], 3
	v_add_co_u32_e32 v4, vcc, v6, v4
	s_lshl_b64 s[20:21], s[20:21], 3
	s_lshl_b64 s[10:11], s[10:11], 3
	v_pk_mov_b32 v[8:9], 0, 0
	v_or_b32_e32 v18, 4, v17
	v_or_b32_e32 v19, 8, v17
	;; [unrolled: 1-line block ×7, first 2 shown]
	v_addc_co_u32_e32 v5, vcc, v7, v5, vcc
	v_mov_b32_e32 v25, s13
	v_mov_b32_e32 v26, s15
	;; [unrolled: 1-line block ×6, first 2 shown]
	v_pk_mov_b32 v[10:11], s[8:9], s[8:9] op_sel:[0,1]
	v_pk_mov_b32 v[6:7], v[8:9], v[8:9] op_sel:[0,1]
	s_branch .LBB123_7
.LBB123_5:                              ;   in Loop: Header=BB123_7 Depth=1
	s_or_b64 exec, exec, s[24:25]
.LBB123_6:                              ;   in Loop: Header=BB123_7 Depth=1
	s_or_b64 exec, exec, s[22:23]
	v_add_co_u32_e32 v32, vcc, s12, v4
	v_addc_co_u32_e32 v33, vcc, v25, v5, vcc
	v_add_co_u32_e32 v36, vcc, s14, v4
	v_addc_co_u32_e32 v37, vcc, v26, v5, vcc
	global_load_dwordx2 v[34:35], v[32:33], off
	v_add_co_u32_e32 v32, vcc, s10, v32
	v_addc_co_u32_e32 v33, vcc, v33, v27, vcc
	global_load_dwordx2 v[38:39], v[36:37], off
	;; [unrolled: 3-line block ×13, first 2 shown]
	v_add_co_u32_e32 v32, vcc, s10, v32
	v_addc_co_u32_e32 v33, vcc, v33, v27, vcc
	v_add_co_u32_e32 v62, vcc, s10, v36
	v_addc_co_u32_e32 v63, vcc, v37, v27, vcc
	global_load_dwordx2 v[36:37], v[36:37], off
	s_nop 0
	global_load_dwordx2 v[32:33], v[32:33], off
	s_nop 0
	global_load_dwordx2 v[62:63], v[62:63], off
	v_add_co_u32_e32 v2, vcc, s18, v2
	v_addc_co_u32_e32 v3, vcc, v3, v28, vcc
	v_add_co_u32_e32 v0, vcc, s4, v0
	v_addc_co_u32_e32 v1, vcc, v1, v29, vcc
	s_add_u32 s16, s16, s4
	v_add_co_u32_e32 v4, vcc, s20, v4
	s_addc_u32 s17, s17, 0
	v_addc_co_u32_e32 v5, vcc, v5, v30, vcc
	v_cmp_lt_i64_e32 vcc, s[16:17], v[10:11]
	s_waitcnt vmcnt(14)
	v_mul_f64 v[34:35], v[34:35], v[38:39]
	ds_bpermute_b32 v38, v17, v12
	ds_bpermute_b32 v39, v17, v13
	s_and_b64 vcc, exec, vcc
	s_waitcnt lgkmcnt(0)
	v_fmac_f64_e32 v[6:7], v[34:35], v[38:39]
	ds_bpermute_b32 v34, v18, v12
	ds_bpermute_b32 v35, v18, v13
	s_waitcnt vmcnt(12)
	v_mul_f64 v[38:39], v[40:41], v[42:43]
	ds_bpermute_b32 v40, v20, v12
	ds_bpermute_b32 v41, v20, v13
	;; [unrolled: 1-line block ×3, first 2 shown]
	s_waitcnt lgkmcnt(3)
	v_fmac_f64_e32 v[6:7], v[38:39], v[34:35]
	ds_bpermute_b32 v34, v19, v12
	ds_bpermute_b32 v35, v19, v13
	;; [unrolled: 1-line block ×3, first 2 shown]
	s_waitcnt vmcnt(10)
	v_mul_f64 v[38:39], v[44:45], v[46:47]
	s_waitcnt lgkmcnt(1)
	v_fmac_f64_e32 v[6:7], v[38:39], v[34:35]
	s_waitcnt vmcnt(8)
	v_mul_f64 v[34:35], v[48:49], v[50:51]
	v_fmac_f64_e32 v[6:7], v[34:35], v[40:41]
	ds_bpermute_b32 v40, v23, v12
	ds_bpermute_b32 v41, v23, v13
	s_waitcnt vmcnt(6)
	v_mul_f64 v[34:35], v[52:53], v[54:55]
	s_waitcnt lgkmcnt(2)
	v_fmac_f64_e32 v[6:7], v[34:35], v[42:43]
	ds_bpermute_b32 v34, v22, v12
	ds_bpermute_b32 v35, v22, v13
	;; [unrolled: 1-line block ×4, first 2 shown]
	s_waitcnt vmcnt(4)
	v_mul_f64 v[38:39], v[56:57], v[58:59]
	s_waitcnt lgkmcnt(2)
	v_fmac_f64_e32 v[6:7], v[38:39], v[34:35]
	s_waitcnt vmcnt(2)
	v_mul_f64 v[34:35], v[60:61], v[36:37]
	v_fmac_f64_e32 v[6:7], v[34:35], v[40:41]
	s_waitcnt vmcnt(0)
	v_mul_f64 v[32:33], v[32:33], v[62:63]
	s_waitcnt lgkmcnt(0)
	v_fmac_f64_e32 v[6:7], v[32:33], v[12:13]
	s_cbranch_vccz .LBB123_10
.LBB123_7:                              ; =>This Inner Loop Header: Depth=1
	v_pk_mov_b32 v[12:13], v[8:9], v[8:9] op_sel:[0,1]
	s_and_saveexec_b64 s[22:23], s[0:1]
	s_cbranch_execz .LBB123_6
; %bb.8:                                ;   in Loop: Header=BB123_7 Depth=1
	v_cmp_gt_i64_e32 vcc, s[8:9], v[0:1]
	v_pk_mov_b32 v[12:13], 0, 0
	s_and_saveexec_b64 s[24:25], vcc
	s_cbranch_execz .LBB123_5
; %bb.9:                                ;   in Loop: Header=BB123_7 Depth=1
	global_load_dwordx2 v[12:13], v[2:3], off
	s_branch .LBB123_5
.LBB123_10:
	v_mov_b32_e32 v1, v16
.LBB123_11:
	s_movk_i32 s0, 0x41
	v_mad_u32_u24 v0, v1, s0, v14
	v_mov_b32_e32 v2, 0
	v_lshl_add_u32 v0, v0, 3, 0
	v_mov_b32_e32 v3, v2
	ds_write_b64 v0, v[6:7]
	ds_write_b64 v0, v[2:3] offset:4160
	v_lshrrev_b32_e32 v0, 6, v14
	v_add_u32_e32 v2, v0, v1
	s_mov_b32 s7, 0
	v_cmp_gt_u32_e32 vcc, 64, v2
	s_waitcnt lgkmcnt(0)
	s_barrier
	s_and_saveexec_b64 s[0:1], vcc
	s_cbranch_execz .LBB123_18
; %bb.12:
	v_mbcnt_hi_u32_b32 v6, -1, v15
	v_and_b32_e32 v4, 64, v6
	s_cmp_lg_u64 s[2:3], 0
	v_add_u32_e32 v7, 64, v4
	v_cmp_eq_u32_e64 s[0:1], 0, v14
	s_cselect_b64 s[8:9], -1, 0
	v_xor_b32_e32 v4, 4, v6
	s_and_b64 s[8:9], s[0:1], s[8:9]
	v_cmp_lt_i32_e64 s[0:1], v4, v7
	v_xor_b32_e32 v5, 2, v6
	v_cndmask_b32_e64 v4, v6, v4, s[0:1]
	v_cmp_lt_i32_e64 s[0:1], v5, v7
	v_xor_b32_e32 v8, 1, v6
	v_cndmask_b32_e64 v5, v6, v5, s[0:1]
	v_cmp_lt_i32_e64 s[0:1], v8, v7
	v_cndmask_b32_e64 v6, v6, v8, s[0:1]
	v_add_co_u32_e64 v0, s[0:1], v0, v1
	s_lshl_b64 s[6:7], s[6:7], 9
	v_addc_co_u32_e64 v1, s[0:1], 0, 0, s[0:1]
	s_add_u32 s0, s2, s6
	v_and_b32_e32 v3, 63, v14
	v_lshlrev_b64 v[0:1], 3, v[0:1]
	s_addc_u32 s1, s3, s7
	v_cmp_gt_u32_e32 vcc, 8, v3
	v_mul_u32_u24_e32 v3, 0x208, v3
	v_lshlrev_b32_e32 v7, 3, v2
	v_add_u32_e32 v8, -8, v2
	v_mov_b32_e32 v2, s1
	v_add_co_u32_e64 v0, s[0:1], s0, v0
	s_mov_b64 s[4:5], 0
	v_lshlrev_b32_e32 v4, 2, v4
	v_lshlrev_b32_e32 v5, 2, v5
	;; [unrolled: 1-line block ×3, first 2 shown]
	v_add3_u32 v7, v3, v7, 0
	v_addc_co_u32_e64 v1, s[0:1], v2, v1, s[0:1]
                                        ; implicit-def: $vgpr2_vgpr3
	s_branch .LBB123_14
.LBB123_13:                             ;   in Loop: Header=BB123_14 Depth=1
	s_or_b64 exec, exec, s[0:1]
	v_add_u32_e32 v8, 8, v8
	v_cmp_lt_u32_e64 s[0:1], 55, v8
	s_or_b64 s[4:5], s[0:1], s[4:5]
	v_add_co_u32_e64 v0, s[0:1], 64, v0
	v_add_u32_e32 v7, 64, v7
	v_addc_co_u32_e64 v1, s[0:1], 0, v1, s[0:1]
	s_andn2_b64 exec, exec, s[4:5]
	s_cbranch_execz .LBB123_18
.LBB123_14:                             ; =>This Inner Loop Header: Depth=1
	s_and_saveexec_b64 s[0:1], vcc
	s_cbranch_execz .LBB123_16
; %bb.15:                               ;   in Loop: Header=BB123_14 Depth=1
	ds_read_b64 v[2:3], v7
.LBB123_16:                             ;   in Loop: Header=BB123_14 Depth=1
	s_or_b64 exec, exec, s[0:1]
	s_waitcnt lgkmcnt(0)
	ds_bpermute_b32 v10, v4, v2
	ds_bpermute_b32 v11, v4, v3
	s_waitcnt lgkmcnt(0)
	v_add_f64 v[2:3], v[2:3], v[10:11]
	ds_bpermute_b32 v10, v5, v2
	ds_bpermute_b32 v11, v5, v3
	s_waitcnt lgkmcnt(0)
	v_add_f64 v[2:3], v[2:3], v[10:11]
	;; [unrolled: 4-line block ×3, first 2 shown]
	s_and_saveexec_b64 s[0:1], s[8:9]
	s_cbranch_execz .LBB123_13
; %bb.17:                               ;   in Loop: Header=BB123_14 Depth=1
	global_store_dwordx2 v[0:1], v[2:3], off
	s_branch .LBB123_13
.LBB123_18:
	s_endpgm
	.section	.rodata,"a",@progbits
	.p2align	6, 0x0
	.amdhsa_kernel _ZN2at6native12_GLOBAL__N_135GammaBetaBackwardCUDAKernelTemplateIddLj64ELj8ELj64ELb0ELb1ELb1EEEvllPKT_S5_PKT0_S8_PS3_S9_
		.amdhsa_group_segment_fixed_size 0
		.amdhsa_private_segment_fixed_size 0
		.amdhsa_kernarg_size 320
		.amdhsa_user_sgpr_count 6
		.amdhsa_user_sgpr_private_segment_buffer 1
		.amdhsa_user_sgpr_dispatch_ptr 0
		.amdhsa_user_sgpr_queue_ptr 0
		.amdhsa_user_sgpr_kernarg_segment_ptr 1
		.amdhsa_user_sgpr_dispatch_id 0
		.amdhsa_user_sgpr_flat_scratch_init 0
		.amdhsa_user_sgpr_kernarg_preload_length 0
		.amdhsa_user_sgpr_kernarg_preload_offset 0
		.amdhsa_user_sgpr_private_segment_size 0
		.amdhsa_uses_dynamic_stack 0
		.amdhsa_system_sgpr_private_segment_wavefront_offset 0
		.amdhsa_system_sgpr_workgroup_id_x 1
		.amdhsa_system_sgpr_workgroup_id_y 1
		.amdhsa_system_sgpr_workgroup_id_z 0
		.amdhsa_system_sgpr_workgroup_info 0
		.amdhsa_system_vgpr_workitem_id 1
		.amdhsa_next_free_vgpr 64
		.amdhsa_next_free_sgpr 26
		.amdhsa_accum_offset 64
		.amdhsa_reserve_vcc 1
		.amdhsa_reserve_flat_scratch 0
		.amdhsa_float_round_mode_32 0
		.amdhsa_float_round_mode_16_64 0
		.amdhsa_float_denorm_mode_32 3
		.amdhsa_float_denorm_mode_16_64 3
		.amdhsa_dx10_clamp 1
		.amdhsa_ieee_mode 1
		.amdhsa_fp16_overflow 0
		.amdhsa_tg_split 0
		.amdhsa_exception_fp_ieee_invalid_op 0
		.amdhsa_exception_fp_denorm_src 0
		.amdhsa_exception_fp_ieee_div_zero 0
		.amdhsa_exception_fp_ieee_overflow 0
		.amdhsa_exception_fp_ieee_underflow 0
		.amdhsa_exception_fp_ieee_inexact 0
		.amdhsa_exception_int_div_zero 0
	.end_amdhsa_kernel
	.section	.text._ZN2at6native12_GLOBAL__N_135GammaBetaBackwardCUDAKernelTemplateIddLj64ELj8ELj64ELb0ELb1ELb1EEEvllPKT_S5_PKT0_S8_PS3_S9_,"axG",@progbits,_ZN2at6native12_GLOBAL__N_135GammaBetaBackwardCUDAKernelTemplateIddLj64ELj8ELj64ELb0ELb1ELb1EEEvllPKT_S5_PKT0_S8_PS3_S9_,comdat
.Lfunc_end123:
	.size	_ZN2at6native12_GLOBAL__N_135GammaBetaBackwardCUDAKernelTemplateIddLj64ELj8ELj64ELb0ELb1ELb1EEEvllPKT_S5_PKT0_S8_PS3_S9_, .Lfunc_end123-_ZN2at6native12_GLOBAL__N_135GammaBetaBackwardCUDAKernelTemplateIddLj64ELj8ELj64ELb0ELb1ELb1EEEvllPKT_S5_PKT0_S8_PS3_S9_
                                        ; -- End function
	.section	.AMDGPU.csdata,"",@progbits
; Kernel info:
; codeLenInByte = 1528
; NumSgprs: 30
; NumVgprs: 64
; NumAgprs: 0
; TotalNumVgprs: 64
; ScratchSize: 0
; MemoryBound: 0
; FloatMode: 240
; IeeeMode: 1
; LDSByteSize: 0 bytes/workgroup (compile time only)
; SGPRBlocks: 3
; VGPRBlocks: 7
; NumSGPRsForWavesPerEU: 30
; NumVGPRsForWavesPerEU: 64
; AccumOffset: 64
; Occupancy: 8
; WaveLimiterHint : 0
; COMPUTE_PGM_RSRC2:SCRATCH_EN: 0
; COMPUTE_PGM_RSRC2:USER_SGPR: 6
; COMPUTE_PGM_RSRC2:TRAP_HANDLER: 0
; COMPUTE_PGM_RSRC2:TGID_X_EN: 1
; COMPUTE_PGM_RSRC2:TGID_Y_EN: 1
; COMPUTE_PGM_RSRC2:TGID_Z_EN: 0
; COMPUTE_PGM_RSRC2:TIDIG_COMP_CNT: 1
; COMPUTE_PGM_RSRC3_GFX90A:ACCUM_OFFSET: 15
; COMPUTE_PGM_RSRC3_GFX90A:TG_SPLIT: 0
	.section	.text._ZN2at6native12_GLOBAL__N_135GammaBetaBackwardCUDAKernelTemplateIddLj64ELj8ELj64ELb0ELb0ELb1EEEvllPKT_S5_PKT0_S8_PS3_S9_,"axG",@progbits,_ZN2at6native12_GLOBAL__N_135GammaBetaBackwardCUDAKernelTemplateIddLj64ELj8ELj64ELb0ELb0ELb1EEEvllPKT_S5_PKT0_S8_PS3_S9_,comdat
	.globl	_ZN2at6native12_GLOBAL__N_135GammaBetaBackwardCUDAKernelTemplateIddLj64ELj8ELj64ELb0ELb0ELb1EEEvllPKT_S5_PKT0_S8_PS3_S9_ ; -- Begin function _ZN2at6native12_GLOBAL__N_135GammaBetaBackwardCUDAKernelTemplateIddLj64ELj8ELj64ELb0ELb0ELb1EEEvllPKT_S5_PKT0_S8_PS3_S9_
	.p2align	8
	.type	_ZN2at6native12_GLOBAL__N_135GammaBetaBackwardCUDAKernelTemplateIddLj64ELj8ELj64ELb0ELb0ELb1EEEvllPKT_S5_PKT0_S8_PS3_S9_,@function
_ZN2at6native12_GLOBAL__N_135GammaBetaBackwardCUDAKernelTemplateIddLj64ELj8ELj64ELb0ELb0ELb1EEEvllPKT_S5_PKT0_S8_PS3_S9_: ; @_ZN2at6native12_GLOBAL__N_135GammaBetaBackwardCUDAKernelTemplateIddLj64ELj8ELj64ELb0ELb0ELb1EEEvllPKT_S5_PKT0_S8_PS3_S9_
; %bb.0:
	s_load_dwordx8 s[36:43], s[4:5], 0x0
	s_load_dwordx2 s[28:29], s[4:5], 0x28
	s_lshl_b32 s33, s6, 6
	s_or_b32 s30, s33, 63
	s_mov_b32 s31, 0
	s_waitcnt lgkmcnt(0)
	v_pk_mov_b32 v[2:3], s[38:39], s[38:39] op_sel:[0,1]
	v_cmp_ge_i64_e32 vcc, s[30:31], v[2:3]
	s_lshl_b32 s30, s7, 6
	v_pk_mov_b32 v[2:3], s[36:37], s[36:37] op_sel:[0,1]
	v_cmp_lt_i64_e64 s[0:1], s[30:31], v[2:3]
	v_cndmask_b32_e64 v1, 0, 1, s[0:1]
	v_cmp_ne_u32_e64 s[0:1], 1, v1
	s_cbranch_vccz .LBB124_49
; %bb.1:
	s_and_b64 vcc, exec, s[0:1]
	v_pk_mov_b32 v[2:3], 0, 0
	s_cbranch_vccnz .LBB124_50
; %bb.2:
	v_bfe_u32 v85, v0, 10, 10
	v_lshlrev_b32_e32 v50, 3, v85
	v_mov_b32_e32 v1, s31
	v_add_co_u32_e32 v5, vcc, s30, v50
	v_and_b32_e32 v83, 0x3ff, v0
	v_mov_b32_e32 v4, 0
	v_addc_co_u32_e32 v6, vcc, 0, v1, vcc
	v_add_u32_e32 v2, s33, v83
	v_mov_b32_e32 v3, v4
	v_add_co_u32_e32 v1, vcc, 7, v5
	v_cmp_gt_i64_e64 s[2:3], s[38:39], v[2:3]
	v_lshlrev_b64 v[52:53], 3, v[2:3]
	v_addc_co_u32_e32 v2, vcc, 0, v6, vcc
	v_mul_lo_u32 v7, s39, v1
	v_mul_lo_u32 v8, s38, v2
	v_mad_u64_u32 v[2:3], s[8:9], s38, v1, 0
	s_load_dword s7, s[4:5], 0x44
	v_add3_u32 v3, v3, v8, v7
	v_lshlrev_b64 v[2:3], 3, v[2:3]
	v_mov_b32_e32 v7, s41
	v_add_co_u32_e32 v54, vcc, s40, v2
	v_addc_co_u32_e32 v1, vcc, v7, v3, vcc
	s_add_u32 s10, s4, 64
	v_mov_b32_e32 v8, s43
	v_add_co_u32_e32 v56, vcc, s42, v2
	s_addc_u32 s11, s5, 0
	s_waitcnt lgkmcnt(0)
	s_lshl_b32 s7, s7, 6
	v_addc_co_u32_e32 v51, vcc, v8, v3, vcc
	s_mul_i32 s8, s39, s7
	s_mul_hi_u32 s9, s38, s7
	v_add_co_u32_e32 v2, vcc, 6, v5
	s_add_i32 s9, s9, s8
	s_mul_i32 s8, s38, s7
	v_addc_co_u32_e32 v3, vcc, 0, v6, vcc
	s_lshl_b64 s[34:35], s[8:9], 3
	v_mul_lo_u32 v9, s39, v2
	v_mul_lo_u32 v10, s38, v3
	v_mad_u64_u32 v[2:3], s[8:9], s38, v2, 0
	v_add3_u32 v3, v3, v10, v9
	v_lshlrev_b64 v[2:3], 3, v[2:3]
	v_add_co_u32_e32 v58, vcc, s40, v2
	v_addc_co_u32_e32 v55, vcc, v7, v3, vcc
	v_add_co_u32_e32 v60, vcc, s42, v2
	v_addc_co_u32_e32 v57, vcc, v8, v3, vcc
	v_add_co_u32_e32 v2, vcc, 5, v5
	v_addc_co_u32_e32 v3, vcc, 0, v6, vcc
	v_mul_lo_u32 v9, s39, v2
	v_mul_lo_u32 v10, s38, v3
	v_mad_u64_u32 v[2:3], s[8:9], s38, v2, 0
	v_add3_u32 v3, v3, v10, v9
	v_lshlrev_b64 v[2:3], 3, v[2:3]
	v_add_co_u32_e32 v62, vcc, s40, v2
	v_addc_co_u32_e32 v59, vcc, v7, v3, vcc
	v_add_co_u32_e32 v64, vcc, s42, v2
	v_addc_co_u32_e32 v61, vcc, v8, v3, vcc
	v_add_co_u32_e32 v2, vcc, 4, v5
	v_addc_co_u32_e32 v3, vcc, 0, v6, vcc
	;; [unrolled: 11-line block ×4, first 2 shown]
	v_mul_lo_u32 v9, s39, v2
	v_mul_lo_u32 v10, s38, v3
	v_mad_u64_u32 v[2:3], s[8:9], s38, v2, 0
	v_add3_u32 v3, v3, v10, v9
	v_lshlrev_b64 v[2:3], 3, v[2:3]
	v_add_co_u32_e32 v74, vcc, s40, v2
	v_addc_co_u32_e32 v71, vcc, v7, v3, vcc
	v_add_co_u32_e32 v76, vcc, s42, v2
	v_addc_co_u32_e32 v73, vcc, v8, v3, vcc
	v_pk_mov_b32 v[2:3], s[38:39], s[38:39] op_sel:[0,1]
	v_mad_u64_u32 v[2:3], s[8:9], s38, v5, v[2:3]
	v_mul_lo_u32 v6, s38, v6
	v_mul_lo_u32 v9, s39, v5
	v_add3_u32 v3, v9, v3, v6
	v_lshlrev_b64 v[2:3], 3, v[2:3]
	v_add_co_u32_e32 v78, vcc, s40, v2
	v_addc_co_u32_e32 v75, vcc, v7, v3, vcc
	v_add_co_u32_e32 v80, vcc, s42, v2
	v_addc_co_u32_e32 v77, vcc, v8, v3, vcc
	v_mad_u64_u32 v[2:3], s[8:9], s38, v5, 0
	v_add3_u32 v3, v3, v6, v9
	v_lshlrev_b64 v[2:3], 3, v[2:3]
	v_add_co_u32_e32 v82, vcc, s40, v2
	v_addc_co_u32_e32 v79, vcc, v7, v3, vcc
	v_add_co_u32_e32 v84, vcc, s42, v2
	v_mbcnt_lo_u32_b32 v2, -1, 0
	v_mbcnt_hi_u32_b32 v2, -1, v2
	s_add_u32 s44, s30, 63
	v_lshlrev_b32_e32 v2, 2, v2
	s_mov_b32 s12, 0
	s_addc_u32 s45, 0, 0
	v_addc_co_u32_e32 v81, vcc, v8, v3, vcc
	v_pk_mov_b32 v[86:87], 0, 0
	v_and_b32_e32 v90, 0x100, v2
	s_mov_b64 s[46:47], s[30:31]
.LBB124_3:                              ; =>This Inner Loop Header: Depth=1
	v_pk_mov_b32 v[2:3], s[36:37], s[36:37] op_sel:[0,1]
	v_cmp_ge_i64_e32 vcc, s[44:45], v[2:3]
	v_mov_b32_e32 v2, s45
	v_add_co_u32_e64 v91, s[8:9], s44, v50
	v_addc_co_u32_e64 v92, s[8:9], 0, v2, s[8:9]
	s_cbranch_vccz .LBB124_25
; %bb.4:                                ;   in Loop: Header=BB124_3 Depth=1
	s_load_dword s8, s[10:11], 0xc
	v_pk_mov_b32 v[88:89], 0, 0
	s_waitcnt lgkmcnt(0)
	s_and_b32 s8, s8, 0xffff
	v_mad_u32_u24 v2, v85, s8, v83
	v_and_b32_e32 v2, 63, v2
	v_cmp_gt_u32_e32 vcc, 8, v2
	s_and_saveexec_b64 s[8:9], vcc
	s_cbranch_execz .LBB124_8
; %bb.5:                                ;   in Loop: Header=BB124_3 Depth=1
	v_add_co_u32_e32 v2, vcc, v91, v2
	v_addc_co_u32_e32 v3, vcc, 0, v92, vcc
	v_add_co_u32_e32 v2, vcc, 0xffffffc1, v2
	v_addc_co_u32_e32 v3, vcc, -1, v3, vcc
	v_cmp_gt_i64_e32 vcc, s[36:37], v[2:3]
	v_pk_mov_b32 v[88:89], 0, 0
	s_and_saveexec_b64 s[14:15], vcc
	s_cbranch_execz .LBB124_7
; %bb.6:                                ;   in Loop: Header=BB124_3 Depth=1
	v_lshlrev_b64 v[2:3], 3, v[2:3]
	v_mov_b32_e32 v5, s29
	v_add_co_u32_e32 v2, vcc, s28, v2
	v_addc_co_u32_e32 v3, vcc, v5, v3, vcc
	global_load_dwordx2 v[88:89], v[2:3], off
.LBB124_7:                              ;   in Loop: Header=BB124_3 Depth=1
	s_or_b64 exec, exec, s[14:15]
.LBB124_8:                              ;   in Loop: Header=BB124_3 Depth=1
	s_or_b64 exec, exec, s[8:9]
	v_add_co_u32_e32 v2, vcc, 0xffffffc1, v91
	s_mov_b32 s26, s12
	s_mov_b32 s27, s12
	v_addc_co_u32_e32 v3, vcc, -1, v92, vcc
	s_mov_b32 s13, s12
	s_mov_b32 s14, s12
	;; [unrolled: 1-line block ×13, first 2 shown]
	v_pk_mov_b32 v[32:33], s[26:27], s[26:27] op_sel:[0,1]
	v_cmp_gt_i64_e32 vcc, s[36:37], v[2:3]
	v_pk_mov_b32 v[30:31], s[24:25], s[24:25] op_sel:[0,1]
	v_pk_mov_b32 v[28:29], s[22:23], s[22:23] op_sel:[0,1]
	;; [unrolled: 1-line block ×8, first 2 shown]
	s_and_b64 s[48:49], s[2:3], vcc
	v_pk_mov_b32 v[46:47], v[30:31], v[30:31] op_sel:[0,1]
	v_pk_mov_b32 v[44:45], v[28:29], v[28:29] op_sel:[0,1]
	;; [unrolled: 1-line block ×7, first 2 shown]
	s_and_saveexec_b64 s[8:9], s[48:49]
	s_cbranch_execz .LBB124_10
; %bb.9:                                ;   in Loop: Header=BB124_3 Depth=1
	v_add_co_u32_e32 v2, vcc, v82, v52
	v_addc_co_u32_e32 v3, vcc, v79, v53, vcc
	v_add_co_u32_e32 v6, vcc, v84, v52
	global_load_dwordx2 v[2:3], v[2:3], off
	v_addc_co_u32_e32 v7, vcc, v81, v53, vcc
	global_load_dwordx2 v[18:19], v[6:7], off
	v_mov_b32_e32 v16, v4
	v_mov_b32_e32 v17, v4
	;; [unrolled: 1-line block ×13, first 2 shown]
	s_waitcnt vmcnt(1)
	v_pk_mov_b32 v[48:49], v[16:17], v[16:17] op_sel:[0,1]
	v_mov_b32_e32 v20, v4
	v_mov_b32_e32 v21, v4
	;; [unrolled: 1-line block ×14, first 2 shown]
	v_pk_mov_b32 v[46:47], v[14:15], v[14:15] op_sel:[0,1]
	v_pk_mov_b32 v[44:45], v[12:13], v[12:13] op_sel:[0,1]
	v_pk_mov_b32 v[42:43], v[10:11], v[10:11] op_sel:[0,1]
	v_pk_mov_b32 v[40:41], v[8:9], v[8:9] op_sel:[0,1]
	v_pk_mov_b32 v[38:39], v[6:7], v[6:7] op_sel:[0,1]
	v_pk_mov_b32 v[36:37], v[4:5], v[4:5] op_sel:[0,1]
	v_pk_mov_b32 v[34:35], v[2:3], v[2:3] op_sel:[0,1]
.LBB124_10:                             ;   in Loop: Header=BB124_3 Depth=1
	s_or_b64 exec, exec, s[8:9]
	v_add_co_u32_e32 v2, vcc, 0xffffffc2, v91
	v_addc_co_u32_e32 v3, vcc, -1, v92, vcc
	v_cmp_gt_i64_e32 vcc, s[36:37], v[2:3]
	s_and_b64 s[14:15], s[2:3], vcc
	s_and_saveexec_b64 s[8:9], s[14:15]
	s_cbranch_execz .LBB124_12
; %bb.11:                               ;   in Loop: Header=BB124_3 Depth=1
	v_add_co_u32_e32 v2, vcc, v78, v52
	v_addc_co_u32_e32 v3, vcc, v75, v53, vcc
	global_load_dwordx2 v[36:37], v[2:3], off
	v_add_co_u32_e32 v2, vcc, v80, v52
	v_addc_co_u32_e32 v3, vcc, v77, v53, vcc
	global_load_dwordx2 v[20:21], v[2:3], off
.LBB124_12:                             ;   in Loop: Header=BB124_3 Depth=1
	s_or_b64 exec, exec, s[8:9]
	v_add_co_u32_e32 v2, vcc, 0xffffffc3, v91
	v_addc_co_u32_e32 v3, vcc, -1, v92, vcc
	v_cmp_gt_i64_e32 vcc, s[36:37], v[2:3]
	s_and_b64 s[14:15], s[2:3], vcc
	s_and_saveexec_b64 s[8:9], s[14:15]
	s_cbranch_execz .LBB124_14
; %bb.13:                               ;   in Loop: Header=BB124_3 Depth=1
	v_add_co_u32_e32 v2, vcc, v74, v52
	v_addc_co_u32_e32 v3, vcc, v71, v53, vcc
	global_load_dwordx2 v[38:39], v[2:3], off
	v_add_co_u32_e32 v2, vcc, v76, v52
	v_addc_co_u32_e32 v3, vcc, v73, v53, vcc
	global_load_dwordx2 v[22:23], v[2:3], off
.LBB124_14:                             ;   in Loop: Header=BB124_3 Depth=1
	;; [unrolled: 15-line block ×7, first 2 shown]
	s_or_b64 exec, exec, s[8:9]
	s_waitcnt vmcnt(0)
	ds_bpermute_b32 v2, v90, v88
	ds_bpermute_b32 v3, v90, v89
	ds_bpermute_b32 v6, v90, v88 offset:4
	ds_bpermute_b32 v7, v90, v89 offset:4
	v_mul_f64 v[8:9], v[18:19], v[34:35]
	ds_bpermute_b32 v10, v90, v88 offset:12
	s_waitcnt lgkmcnt(3)
	v_fma_f64 v[2:3], v[8:9], v[2:3], v[86:87]
	v_mul_f64 v[8:9], v[20:21], v[36:37]
	s_waitcnt lgkmcnt(1)
	v_fmac_f64_e32 v[2:3], v[8:9], v[6:7]
	ds_bpermute_b32 v6, v90, v88 offset:8
	ds_bpermute_b32 v7, v90, v89 offset:8
	ds_bpermute_b32 v11, v90, v89 offset:12
	ds_bpermute_b32 v12, v90, v88 offset:16
	ds_bpermute_b32 v13, v90, v89 offset:16
	v_mul_f64 v[8:9], v[22:23], v[38:39]
	s_waitcnt lgkmcnt(3)
	v_fmac_f64_e32 v[2:3], v[8:9], v[6:7]
	v_mul_f64 v[6:7], v[24:25], v[40:41]
	s_waitcnt lgkmcnt(2)
	v_fmac_f64_e32 v[2:3], v[6:7], v[10:11]
	v_mul_f64 v[6:7], v[26:27], v[42:43]
	ds_bpermute_b32 v8, v90, v88 offset:20
	ds_bpermute_b32 v9, v90, v89 offset:20
	s_waitcnt lgkmcnt(2)
	v_fmac_f64_e32 v[2:3], v[6:7], v[12:13]
	ds_bpermute_b32 v12, v90, v88 offset:24
	ds_bpermute_b32 v13, v90, v89 offset:24
	;; [unrolled: 1-line block ×4, first 2 shown]
	v_mul_f64 v[10:11], v[28:29], v[44:45]
	s_waitcnt lgkmcnt(4)
	v_fmac_f64_e32 v[2:3], v[10:11], v[8:9]
	v_mul_f64 v[8:9], v[30:31], v[46:47]
	s_waitcnt lgkmcnt(2)
	v_fmac_f64_e32 v[2:3], v[8:9], v[12:13]
	s_branch .LBB124_40
.LBB124_25:                             ;   in Loop: Header=BB124_3 Depth=1
                                        ; implicit-def: $vgpr2_vgpr3
                                        ; implicit-def: $vgpr18_vgpr19_vgpr20_vgpr21_vgpr22_vgpr23_vgpr24_vgpr25_vgpr26_vgpr27_vgpr28_vgpr29_vgpr30_vgpr31_vgpr32_vgpr33
                                        ; implicit-def: $vgpr34_vgpr35_vgpr36_vgpr37_vgpr38_vgpr39_vgpr40_vgpr41_vgpr42_vgpr43_vgpr44_vgpr45_vgpr46_vgpr47_vgpr48_vgpr49
                                        ; implicit-def: $vgpr6
	s_cbranch_execz .LBB124_40
; %bb.26:                               ;   in Loop: Header=BB124_3 Depth=1
	s_load_dword s8, s[10:11], 0x0
	v_pk_mov_b32 v[88:89], 0, 0
	s_waitcnt lgkmcnt(0)
	s_cmp_lt_u32 s6, s8
	s_cselect_b32 s8, 12, 18
	s_add_u32 s8, s10, s8
	s_addc_u32 s9, s11, 0
	global_load_ushort v2, v4, s[8:9]
	s_waitcnt vmcnt(0)
	v_mad_u32_u24 v2, v85, v2, v83
	v_and_b32_e32 v2, 63, v2
	v_cmp_gt_u32_e32 vcc, 8, v2
	s_and_saveexec_b64 s[8:9], vcc
	s_cbranch_execz .LBB124_30
; %bb.27:                               ;   in Loop: Header=BB124_3 Depth=1
	v_add_co_u32_e32 v2, vcc, v91, v2
	v_addc_co_u32_e32 v3, vcc, 0, v92, vcc
	v_add_co_u32_e32 v2, vcc, 0xffffffc1, v2
	v_addc_co_u32_e32 v3, vcc, -1, v3, vcc
	v_cmp_gt_i64_e32 vcc, s[36:37], v[2:3]
	v_pk_mov_b32 v[88:89], 0, 0
	s_and_saveexec_b64 s[14:15], vcc
	s_cbranch_execz .LBB124_29
; %bb.28:                               ;   in Loop: Header=BB124_3 Depth=1
	v_lshlrev_b64 v[2:3], 3, v[2:3]
	v_mov_b32_e32 v5, s29
	v_add_co_u32_e32 v2, vcc, s28, v2
	v_addc_co_u32_e32 v3, vcc, v5, v3, vcc
	global_load_dwordx2 v[88:89], v[2:3], off
.LBB124_29:                             ;   in Loop: Header=BB124_3 Depth=1
	s_or_b64 exec, exec, s[14:15]
.LBB124_30:                             ;   in Loop: Header=BB124_3 Depth=1
	s_or_b64 exec, exec, s[8:9]
	s_mov_b32 s26, s12
	s_mov_b32 s27, s12
	;; [unrolled: 1-line block ×15, first 2 shown]
	v_pk_mov_b32 v[32:33], s[26:27], s[26:27] op_sel:[0,1]
	v_pk_mov_b32 v[30:31], s[24:25], s[24:25] op_sel:[0,1]
	;; [unrolled: 1-line block ×16, first 2 shown]
	s_and_saveexec_b64 s[8:9], s[2:3]
	s_cbranch_execnz .LBB124_42
; %bb.31:                               ;   in Loop: Header=BB124_3 Depth=1
	s_or_b64 exec, exec, s[8:9]
	s_and_saveexec_b64 s[8:9], s[2:3]
	s_cbranch_execnz .LBB124_43
.LBB124_32:                             ;   in Loop: Header=BB124_3 Depth=1
	s_or_b64 exec, exec, s[8:9]
	s_and_saveexec_b64 s[8:9], s[2:3]
	s_cbranch_execnz .LBB124_44
.LBB124_33:                             ;   in Loop: Header=BB124_3 Depth=1
	s_or_b64 exec, exec, s[8:9]
	s_and_saveexec_b64 s[8:9], s[2:3]
	s_cbranch_execnz .LBB124_45
.LBB124_34:                             ;   in Loop: Header=BB124_3 Depth=1
	s_or_b64 exec, exec, s[8:9]
	s_and_saveexec_b64 s[8:9], s[2:3]
	s_cbranch_execnz .LBB124_46
.LBB124_35:                             ;   in Loop: Header=BB124_3 Depth=1
	s_or_b64 exec, exec, s[8:9]
	s_and_saveexec_b64 s[8:9], s[2:3]
	s_cbranch_execnz .LBB124_47
.LBB124_36:                             ;   in Loop: Header=BB124_3 Depth=1
	s_or_b64 exec, exec, s[8:9]
	s_and_saveexec_b64 s[8:9], s[2:3]
	s_cbranch_execnz .LBB124_48
.LBB124_37:                             ;   in Loop: Header=BB124_3 Depth=1
	s_or_b64 exec, exec, s[8:9]
	s_and_saveexec_b64 s[8:9], s[2:3]
	s_cbranch_execz .LBB124_39
.LBB124_38:                             ;   in Loop: Header=BB124_3 Depth=1
	v_add_co_u32_e32 v2, vcc, v54, v52
	v_addc_co_u32_e32 v3, vcc, v1, v53, vcc
	global_load_dwordx2 v[48:49], v[2:3], off
	v_add_co_u32_e32 v2, vcc, v56, v52
	v_addc_co_u32_e32 v3, vcc, v51, v53, vcc
	global_load_dwordx2 v[32:33], v[2:3], off
.LBB124_39:                             ;   in Loop: Header=BB124_3 Depth=1
	s_or_b64 exec, exec, s[8:9]
	s_waitcnt vmcnt(0)
	ds_bpermute_b32 v2, v90, v88
	ds_bpermute_b32 v3, v90, v89
	ds_bpermute_b32 v6, v90, v88 offset:4
	ds_bpermute_b32 v7, v90, v89 offset:4
	v_mul_f64 v[8:9], v[18:19], v[34:35]
	ds_bpermute_b32 v10, v90, v88 offset:16
	s_waitcnt lgkmcnt(3)
	v_fmac_f64_e32 v[86:87], v[8:9], v[2:3]
	v_mul_f64 v[2:3], v[20:21], v[36:37]
	s_waitcnt lgkmcnt(1)
	v_fmac_f64_e32 v[86:87], v[2:3], v[6:7]
	ds_bpermute_b32 v2, v90, v88 offset:8
	ds_bpermute_b32 v3, v90, v89 offset:8
	;; [unrolled: 1-line block ×5, first 2 shown]
	v_mul_f64 v[6:7], v[22:23], v[38:39]
	s_waitcnt lgkmcnt(3)
	v_fmac_f64_e32 v[86:87], v[6:7], v[2:3]
	v_mul_f64 v[2:3], v[24:25], v[40:41]
	s_waitcnt lgkmcnt(1)
	v_fmac_f64_e32 v[86:87], v[2:3], v[8:9]
	;; [unrolled: 3-line block ×3, first 2 shown]
	ds_bpermute_b32 v2, v90, v88 offset:20
	ds_bpermute_b32 v3, v90, v89 offset:20
	ds_bpermute_b32 v10, v90, v88 offset:24
	ds_bpermute_b32 v11, v90, v89 offset:24
	v_mul_f64 v[8:9], v[28:29], v[44:45]
	ds_bpermute_b32 v6, v90, v88 offset:28
	s_waitcnt lgkmcnt(3)
	v_fmac_f64_e32 v[86:87], v[8:9], v[2:3]
	v_mul_f64 v[2:3], v[30:31], v[46:47]
	s_waitcnt lgkmcnt(1)
	v_fmac_f64_e32 v[86:87], v[2:3], v[10:11]
	ds_bpermute_b32 v7, v90, v89 offset:28
	v_pk_mov_b32 v[2:3], v[86:87], v[86:87] op_sel:[0,1]
.LBB124_40:                             ;   in Loop: Header=BB124_3 Depth=1
	v_mov_b32_e32 v5, s35
	v_add_co_u32_e32 v54, vcc, s34, v54
	v_addc_co_u32_e32 v1, vcc, v1, v5, vcc
	v_add_co_u32_e32 v56, vcc, s34, v56
	v_addc_co_u32_e32 v51, vcc, v51, v5, vcc
	;; [unrolled: 2-line block ×15, first 2 shown]
	v_mul_f64 v[8:9], v[48:49], v[32:33]
	s_add_u32 s46, s46, s7
	v_add_co_u32_e32 v84, vcc, s34, v84
	s_waitcnt lgkmcnt(0)
	v_fmac_f64_e32 v[2:3], v[8:9], v[6:7]
	s_addc_u32 s47, s47, 0
	v_addc_co_u32_e32 v81, vcc, v81, v5, vcc
	v_pk_mov_b32 v[6:7], s[36:37], s[36:37] op_sel:[0,1]
	s_add_u32 s44, s44, s7
	v_cmp_lt_i64_e32 vcc, s[46:47], v[6:7]
	s_addc_u32 s45, s45, 0
	s_cbranch_vccz .LBB124_50
; %bb.41:                               ;   in Loop: Header=BB124_3 Depth=1
	v_pk_mov_b32 v[86:87], v[2:3], v[2:3] op_sel:[0,1]
	s_branch .LBB124_3
.LBB124_42:                             ;   in Loop: Header=BB124_3 Depth=1
	v_add_co_u32_e32 v2, vcc, v82, v52
	v_addc_co_u32_e32 v3, vcc, v79, v53, vcc
	v_add_co_u32_e32 v6, vcc, v84, v52
	global_load_dwordx2 v[2:3], v[2:3], off
	v_addc_co_u32_e32 v7, vcc, v81, v53, vcc
	global_load_dwordx2 v[18:19], v[6:7], off
	v_mov_b32_e32 v16, v4
	v_mov_b32_e32 v17, v4
	;; [unrolled: 1-line block ×13, first 2 shown]
	s_waitcnt vmcnt(1)
	v_pk_mov_b32 v[48:49], v[16:17], v[16:17] op_sel:[0,1]
	v_mov_b32_e32 v20, v4
	v_mov_b32_e32 v21, v4
	;; [unrolled: 1-line block ×14, first 2 shown]
	v_pk_mov_b32 v[46:47], v[14:15], v[14:15] op_sel:[0,1]
	v_pk_mov_b32 v[44:45], v[12:13], v[12:13] op_sel:[0,1]
	;; [unrolled: 1-line block ×7, first 2 shown]
	s_or_b64 exec, exec, s[8:9]
	s_and_saveexec_b64 s[8:9], s[2:3]
	s_cbranch_execz .LBB124_32
.LBB124_43:                             ;   in Loop: Header=BB124_3 Depth=1
	v_add_co_u32_e32 v2, vcc, v78, v52
	v_addc_co_u32_e32 v3, vcc, v75, v53, vcc
	global_load_dwordx2 v[36:37], v[2:3], off
	v_add_co_u32_e32 v2, vcc, v80, v52
	v_addc_co_u32_e32 v3, vcc, v77, v53, vcc
	global_load_dwordx2 v[20:21], v[2:3], off
	s_or_b64 exec, exec, s[8:9]
	s_and_saveexec_b64 s[8:9], s[2:3]
	s_cbranch_execz .LBB124_33
.LBB124_44:                             ;   in Loop: Header=BB124_3 Depth=1
	v_add_co_u32_e32 v2, vcc, v74, v52
	v_addc_co_u32_e32 v3, vcc, v71, v53, vcc
	global_load_dwordx2 v[38:39], v[2:3], off
	v_add_co_u32_e32 v2, vcc, v76, v52
	v_addc_co_u32_e32 v3, vcc, v73, v53, vcc
	global_load_dwordx2 v[22:23], v[2:3], off
	s_or_b64 exec, exec, s[8:9]
	s_and_saveexec_b64 s[8:9], s[2:3]
	s_cbranch_execz .LBB124_34
.LBB124_45:                             ;   in Loop: Header=BB124_3 Depth=1
	v_add_co_u32_e32 v2, vcc, v70, v52
	v_addc_co_u32_e32 v3, vcc, v67, v53, vcc
	global_load_dwordx2 v[40:41], v[2:3], off
	v_add_co_u32_e32 v2, vcc, v72, v52
	v_addc_co_u32_e32 v3, vcc, v69, v53, vcc
	global_load_dwordx2 v[24:25], v[2:3], off
	s_or_b64 exec, exec, s[8:9]
	s_and_saveexec_b64 s[8:9], s[2:3]
	s_cbranch_execz .LBB124_35
.LBB124_46:                             ;   in Loop: Header=BB124_3 Depth=1
	v_add_co_u32_e32 v2, vcc, v66, v52
	v_addc_co_u32_e32 v3, vcc, v63, v53, vcc
	global_load_dwordx2 v[42:43], v[2:3], off
	v_add_co_u32_e32 v2, vcc, v68, v52
	v_addc_co_u32_e32 v3, vcc, v65, v53, vcc
	global_load_dwordx2 v[26:27], v[2:3], off
	s_or_b64 exec, exec, s[8:9]
	s_and_saveexec_b64 s[8:9], s[2:3]
	s_cbranch_execz .LBB124_36
.LBB124_47:                             ;   in Loop: Header=BB124_3 Depth=1
	v_add_co_u32_e32 v2, vcc, v62, v52
	v_addc_co_u32_e32 v3, vcc, v59, v53, vcc
	global_load_dwordx2 v[44:45], v[2:3], off
	v_add_co_u32_e32 v2, vcc, v64, v52
	v_addc_co_u32_e32 v3, vcc, v61, v53, vcc
	global_load_dwordx2 v[28:29], v[2:3], off
	s_or_b64 exec, exec, s[8:9]
	s_and_saveexec_b64 s[8:9], s[2:3]
	s_cbranch_execz .LBB124_37
.LBB124_48:                             ;   in Loop: Header=BB124_3 Depth=1
	v_add_co_u32_e32 v2, vcc, v58, v52
	v_addc_co_u32_e32 v3, vcc, v55, v53, vcc
	global_load_dwordx2 v[46:47], v[2:3], off
	v_add_co_u32_e32 v2, vcc, v60, v52
	v_addc_co_u32_e32 v3, vcc, v57, v53, vcc
	global_load_dwordx2 v[30:31], v[2:3], off
	s_or_b64 exec, exec, s[8:9]
	s_and_saveexec_b64 s[8:9], s[2:3]
	s_cbranch_execnz .LBB124_38
	s_branch .LBB124_39
.LBB124_49:
                                        ; implicit-def: $vgpr2_vgpr3
	s_branch .LBB124_51
.LBB124_50:
	s_cbranch_execnz .LBB124_83
.LBB124_51:
	s_and_b64 vcc, exec, s[0:1]
	v_pk_mov_b32 v[2:3], 0, 0
	s_cbranch_vccnz .LBB124_83
; %bb.52:
	s_load_dword s0, s[4:5], 0x44
	s_add_u32 s2, s4, 64
	s_addc_u32 s3, s5, 0
	v_bfe_u32 v109, v0, 10, 10
	v_lshlrev_b32_e32 v1, 6, v109
	s_waitcnt lgkmcnt(0)
	s_lshl_b32 s7, s0, 6
	s_add_u32 s24, s30, 63
	s_addc_u32 s25, 0, 0
	s_lshl_b64 s[0:1], s[30:31], 3
	v_mov_b32_e32 v2, s1
	v_add_co_u32_e32 v1, vcc, s0, v1
	v_addc_co_u32_e32 v4, vcc, 0, v2, vcc
	v_add_co_u32_e32 v6, vcc, 8, v1
	v_addc_co_u32_e32 v5, vcc, 0, v4, vcc
	v_add_co_u32_e32 v9, vcc, 16, v1
	v_mul_lo_u32 v7, s38, v5
	v_addc_co_u32_e32 v5, vcc, 0, v4, vcc
	v_add_co_u32_e32 v12, vcc, 24, v1
	v_mul_lo_u32 v10, s38, v5
	;; [unrolled: 3-line block ×5, first 2 shown]
	v_addc_co_u32_e32 v5, vcc, 0, v4, vcc
	v_add_co_u32_e32 v24, vcc, 56, v1
	v_lshlrev_b32_e32 v50, 3, v109
	v_addc_co_u32_e32 v1, vcc, 0, v4, vcc
	v_mul_lo_u32 v25, s38, v1
	v_mov_b32_e32 v1, s31
	v_add_co_u32_e32 v27, vcc, s30, v50
	v_pk_mov_b32 v[2:3], s[40:41], s[40:41] op_sel:[0,1]
	v_addc_co_u32_e32 v28, vcc, 0, v1, vcc
	v_mad_u64_u32 v[52:53], s[0:1], s38, v6, v[2:3]
	v_mad_u64_u32 v[54:55], s[0:1], s38, v9, v[2:3]
	;; [unrolled: 1-line block ×7, first 2 shown]
	v_mul_lo_u32 v29, s39, v27
	v_mul_lo_u32 v30, s38, v28
	v_mad_u64_u32 v[2:3], s[0:1], s38, v27, 0
	v_add3_u32 v3, v3, v30, v29
	v_lshlrev_b64 v[2:3], 3, v[2:3]
	v_mul_lo_u32 v22, s38, v5
	v_mov_b32_e32 v31, s41
	v_add_co_u32_e32 v66, vcc, s40, v2
	v_pk_mov_b32 v[4:5], s[42:43], s[42:43] op_sel:[0,1]
	v_mul_lo_u32 v17, s39, v15
	v_addc_co_u32_e32 v1, vcc, v31, v3, vcc
	v_mad_u64_u32 v[74:75], s[0:1], s38, v15, v[4:5]
	v_add3_u32 v59, v17, v59, v16
	v_add3_u32 v75, v17, v75, v16
	v_mov_b32_e32 v16, s43
	v_add_co_u32_e32 v82, vcc, s42, v2
	v_addc_co_u32_e32 v51, vcc, v16, v3, vcc
	v_add_co_u32_e32 v2, vcc, 7, v27
	v_addc_co_u32_e32 v3, vcc, 0, v28, vcc
	v_mad_u64_u32 v[68:69], s[0:1], s38, v6, v[4:5]
	v_mad_u64_u32 v[70:71], s[0:1], s38, v9, v[4:5]
	;; [unrolled: 1-line block ×6, first 2 shown]
	v_mul_lo_u32 v4, s39, v2
	v_mul_lo_u32 v5, s38, v3
	v_mad_u64_u32 v[2:3], s[0:1], s38, v2, 0
	v_add3_u32 v3, v3, v5, v4
	v_add_co_u32_e32 v4, vcc, 6, v27
	v_mul_lo_u32 v8, s39, v6
	v_addc_co_u32_e32 v5, vcc, 0, v28, vcc
	v_add3_u32 v53, v8, v53, v7
	v_add3_u32 v69, v8, v69, v7
	v_mul_lo_u32 v6, s39, v4
	v_mul_lo_u32 v7, s38, v5
	v_mad_u64_u32 v[4:5], s[0:1], s38, v4, 0
	v_add3_u32 v5, v5, v7, v6
	v_add_co_u32_e32 v6, vcc, 5, v27
	v_addc_co_u32_e32 v7, vcc, 0, v28, vcc
	v_mul_lo_u32 v11, s39, v9
	v_mul_lo_u32 v8, s39, v6
	;; [unrolled: 1-line block ×3, first 2 shown]
	v_mad_u64_u32 v[6:7], s[0:1], s38, v6, 0
	v_add3_u32 v7, v7, v9, v8
	v_add_co_u32_e32 v8, vcc, 4, v27
	v_addc_co_u32_e32 v9, vcc, 0, v28, vcc
	v_add3_u32 v55, v11, v55, v10
	v_add3_u32 v71, v11, v71, v10
	v_mul_lo_u32 v10, s39, v8
	v_mul_lo_u32 v11, s38, v9
	v_mad_u64_u32 v[8:9], s[0:1], s38, v8, 0
	v_add3_u32 v9, v9, v11, v10
	v_add_co_u32_e32 v10, vcc, 3, v27
	v_mul_lo_u32 v14, s39, v12
	v_addc_co_u32_e32 v11, vcc, 0, v28, vcc
	v_add3_u32 v57, v14, v57, v13
	v_add3_u32 v73, v14, v73, v13
	v_mul_lo_u32 v12, s39, v10
	v_mul_lo_u32 v13, s38, v11
	v_mad_u64_u32 v[10:11], s[0:1], s38, v10, 0
	v_add3_u32 v11, v11, v13, v12
	v_add_co_u32_e32 v12, vcc, 2, v27
	v_lshlrev_b64 v[2:3], 3, v[2:3]
	v_addc_co_u32_e32 v13, vcc, 0, v28, vcc
	v_add_co_u32_e32 v84, vcc, s40, v2
	v_addc_co_u32_e32 v67, vcc, v31, v3, vcc
	v_add_co_u32_e32 v86, vcc, s42, v2
	v_addc_co_u32_e32 v83, vcc, v16, v3, vcc
	v_lshlrev_b64 v[2:3], 3, v[4:5]
	v_add_co_u32_e32 v88, vcc, s40, v2
	v_addc_co_u32_e32 v85, vcc, v31, v3, vcc
	v_add_co_u32_e32 v90, vcc, s42, v2
	v_addc_co_u32_e32 v87, vcc, v16, v3, vcc
	v_lshlrev_b64 v[2:3], 3, v[6:7]
	;; [unrolled: 5-line block ×4, first 2 shown]
	v_add_co_u32_e32 v100, vcc, s40, v2
	v_mul_lo_u32 v14, s39, v12
	v_mul_lo_u32 v15, s38, v13
	v_mad_u64_u32 v[12:13], s[0:1], s38, v12, 0
	v_addc_co_u32_e32 v97, vcc, v31, v3, vcc
	v_add3_u32 v13, v13, v15, v14
	v_add_co_u32_e32 v102, vcc, s42, v2
	v_addc_co_u32_e32 v99, vcc, v16, v3, vcc
	v_lshlrev_b64 v[2:3], 3, v[12:13]
	v_pk_mov_b32 v[14:15], s[38:39], s[38:39] op_sel:[0,1]
	v_add_co_u32_e32 v104, vcc, s40, v2
	v_mad_u64_u32 v[14:15], s[0:1], s38, v27, v[14:15]
	v_addc_co_u32_e32 v101, vcc, v31, v3, vcc
	v_add3_u32 v15, v29, v15, v30
	v_add_co_u32_e32 v106, vcc, s42, v2
	v_addc_co_u32_e32 v103, vcc, v16, v3, vcc
	v_lshlrev_b64 v[2:3], 3, v[14:15]
	v_add_co_u32_e32 v108, vcc, s40, v2
	v_addc_co_u32_e32 v105, vcc, v31, v3, vcc
	v_add_co_u32_e32 v110, vcc, s42, v2
	v_and_b32_e32 v111, 0x3ff, v0
	v_mov_b32_e32 v4, 0
	v_addc_co_u32_e32 v107, vcc, v16, v3, vcc
	v_add_u32_e32 v2, s33, v111
	v_mov_b32_e32 v3, v4
	v_lshlrev_b64 v[112:113], 3, v[2:3]
	v_mbcnt_lo_u32_b32 v2, -1, 0
	s_mul_i32 s0, s39, s7
	s_mul_hi_u32 s1, s38, s7
	v_mbcnt_hi_u32_b32 v2, -1, v2
	v_mul_lo_u32 v20, s39, v18
	v_mul_lo_u32 v23, s39, v21
	;; [unrolled: 1-line block ×3, first 2 shown]
	s_add_i32 s1, s1, s0
	s_mul_i32 s0, s38, s7
	v_lshlrev_b32_e32 v2, 2, v2
	v_add3_u32 v61, v20, v61, v19
	v_add3_u32 v63, v23, v63, v22
	;; [unrolled: 1-line block ×6, first 2 shown]
	s_mov_b32 s8, 0
	s_lshl_b64 s[26:27], s[0:1], 3
	v_and_b32_e32 v118, 0x100, v2
	v_pk_mov_b32 v[114:115], 0, 0
.LBB124_53:                             ; =>This Inner Loop Header: Depth=1
	v_pk_mov_b32 v[2:3], s[36:37], s[36:37] op_sel:[0,1]
	v_cmp_ge_i64_e32 vcc, s[24:25], v[2:3]
	v_mov_b32_e32 v2, s25
	v_add_co_u32_e64 v119, s[0:1], s24, v50
	v_addc_co_u32_e64 v120, s[0:1], 0, v2, s[0:1]
	s_cbranch_vccz .LBB124_75
; %bb.54:                               ;   in Loop: Header=BB124_53 Depth=1
	s_load_dword s0, s[2:3], 0xc
	v_pk_mov_b32 v[116:117], 0, 0
	s_waitcnt lgkmcnt(0)
	s_and_b32 s0, s0, 0xffff
	v_mad_u32_u24 v2, v109, s0, v111
	v_and_b32_e32 v2, 63, v2
	v_cmp_gt_u32_e32 vcc, 8, v2
	s_and_saveexec_b64 s[0:1], vcc
	s_cbranch_execz .LBB124_58
; %bb.55:                               ;   in Loop: Header=BB124_53 Depth=1
	v_add_co_u32_e32 v2, vcc, v119, v2
	v_addc_co_u32_e32 v3, vcc, 0, v120, vcc
	v_add_co_u32_e32 v2, vcc, 0xffffffc1, v2
	v_addc_co_u32_e32 v3, vcc, -1, v3, vcc
	v_cmp_gt_i64_e32 vcc, s[36:37], v[2:3]
	v_pk_mov_b32 v[116:117], 0, 0
	s_and_saveexec_b64 s[10:11], vcc
	s_cbranch_execz .LBB124_57
; %bb.56:                               ;   in Loop: Header=BB124_53 Depth=1
	v_lshlrev_b64 v[2:3], 3, v[2:3]
	v_mov_b32_e32 v5, s29
	v_add_co_u32_e32 v2, vcc, s28, v2
	v_addc_co_u32_e32 v3, vcc, v5, v3, vcc
	global_load_dwordx2 v[116:117], v[2:3], off
.LBB124_57:                             ;   in Loop: Header=BB124_53 Depth=1
	s_or_b64 exec, exec, s[10:11]
.LBB124_58:                             ;   in Loop: Header=BB124_53 Depth=1
	s_or_b64 exec, exec, s[0:1]
	s_mov_b32 s22, s8
	s_mov_b32 s23, s8
	v_add_co_u32_e32 v2, vcc, 0xffffffc1, v119
	s_mov_b32 s9, s8
	s_mov_b32 s10, s8
	;; [unrolled: 1-line block ×13, first 2 shown]
	v_pk_mov_b32 v[32:33], s[22:23], s[22:23] op_sel:[0,1]
	v_addc_co_u32_e32 v3, vcc, -1, v120, vcc
	v_pk_mov_b32 v[30:31], s[20:21], s[20:21] op_sel:[0,1]
	v_pk_mov_b32 v[28:29], s[18:19], s[18:19] op_sel:[0,1]
	;; [unrolled: 1-line block ×8, first 2 shown]
	v_cmp_gt_i64_e32 vcc, s[36:37], v[2:3]
	v_pk_mov_b32 v[46:47], v[30:31], v[30:31] op_sel:[0,1]
	v_pk_mov_b32 v[44:45], v[28:29], v[28:29] op_sel:[0,1]
	;; [unrolled: 1-line block ×7, first 2 shown]
	s_and_saveexec_b64 s[0:1], vcc
	s_cbranch_execz .LBB124_60
; %bb.59:                               ;   in Loop: Header=BB124_53 Depth=1
	v_add_co_u32_e32 v2, vcc, v66, v112
	v_addc_co_u32_e32 v3, vcc, v1, v113, vcc
	v_add_co_u32_e32 v6, vcc, v82, v112
	global_load_dwordx2 v[2:3], v[2:3], off
	v_addc_co_u32_e32 v7, vcc, v51, v113, vcc
	global_load_dwordx2 v[18:19], v[6:7], off
	v_mov_b32_e32 v16, v4
	v_mov_b32_e32 v17, v4
	;; [unrolled: 1-line block ×13, first 2 shown]
	s_waitcnt vmcnt(1)
	v_pk_mov_b32 v[48:49], v[16:17], v[16:17] op_sel:[0,1]
	v_mov_b32_e32 v20, v4
	v_mov_b32_e32 v21, v4
	;; [unrolled: 1-line block ×14, first 2 shown]
	v_pk_mov_b32 v[46:47], v[14:15], v[14:15] op_sel:[0,1]
	v_pk_mov_b32 v[44:45], v[12:13], v[12:13] op_sel:[0,1]
	;; [unrolled: 1-line block ×7, first 2 shown]
.LBB124_60:                             ;   in Loop: Header=BB124_53 Depth=1
	s_or_b64 exec, exec, s[0:1]
	v_add_co_u32_e32 v2, vcc, 0xffffffc2, v119
	v_addc_co_u32_e32 v3, vcc, -1, v120, vcc
	v_cmp_gt_i64_e32 vcc, s[36:37], v[2:3]
	s_and_saveexec_b64 s[0:1], vcc
	s_cbranch_execz .LBB124_62
; %bb.61:                               ;   in Loop: Header=BB124_53 Depth=1
	v_add_co_u32_e32 v2, vcc, v108, v112
	v_addc_co_u32_e32 v3, vcc, v105, v113, vcc
	global_load_dwordx2 v[36:37], v[2:3], off
	v_add_co_u32_e32 v2, vcc, v110, v112
	v_addc_co_u32_e32 v3, vcc, v107, v113, vcc
	global_load_dwordx2 v[20:21], v[2:3], off
.LBB124_62:                             ;   in Loop: Header=BB124_53 Depth=1
	s_or_b64 exec, exec, s[0:1]
	v_add_co_u32_e32 v2, vcc, 0xffffffc3, v119
	v_addc_co_u32_e32 v3, vcc, -1, v120, vcc
	v_cmp_gt_i64_e32 vcc, s[36:37], v[2:3]
	s_and_saveexec_b64 s[0:1], vcc
	s_cbranch_execz .LBB124_64
; %bb.63:                               ;   in Loop: Header=BB124_53 Depth=1
	v_add_co_u32_e32 v2, vcc, v104, v112
	v_addc_co_u32_e32 v3, vcc, v101, v113, vcc
	global_load_dwordx2 v[38:39], v[2:3], off
	v_add_co_u32_e32 v2, vcc, v106, v112
	v_addc_co_u32_e32 v3, vcc, v103, v113, vcc
	global_load_dwordx2 v[22:23], v[2:3], off
.LBB124_64:                             ;   in Loop: Header=BB124_53 Depth=1
	;; [unrolled: 14-line block ×7, first 2 shown]
	s_or_b64 exec, exec, s[0:1]
	s_waitcnt vmcnt(0)
	ds_bpermute_b32 v2, v118, v116
	ds_bpermute_b32 v3, v118, v117
	ds_bpermute_b32 v6, v118, v116 offset:4
	ds_bpermute_b32 v7, v118, v117 offset:4
	v_mul_f64 v[8:9], v[18:19], v[34:35]
	ds_bpermute_b32 v10, v118, v116 offset:12
	s_waitcnt lgkmcnt(3)
	v_fma_f64 v[2:3], v[8:9], v[2:3], v[114:115]
	v_mul_f64 v[8:9], v[20:21], v[36:37]
	s_waitcnt lgkmcnt(1)
	v_fmac_f64_e32 v[2:3], v[8:9], v[6:7]
	ds_bpermute_b32 v6, v118, v116 offset:8
	ds_bpermute_b32 v7, v118, v117 offset:8
	;; [unrolled: 1-line block ×5, first 2 shown]
	v_mul_f64 v[8:9], v[22:23], v[38:39]
	s_waitcnt lgkmcnt(3)
	v_fmac_f64_e32 v[2:3], v[8:9], v[6:7]
	v_mul_f64 v[6:7], v[24:25], v[40:41]
	s_waitcnt lgkmcnt(2)
	v_fmac_f64_e32 v[2:3], v[6:7], v[10:11]
	;; [unrolled: 3-line block ×3, first 2 shown]
	ds_bpermute_b32 v6, v118, v116 offset:20
	ds_bpermute_b32 v7, v118, v117 offset:20
	ds_bpermute_b32 v10, v118, v116 offset:24
	ds_bpermute_b32 v11, v118, v117 offset:24
	ds_bpermute_b32 v12, v118, v116 offset:28
	ds_bpermute_b32 v13, v118, v117 offset:28
	v_mul_f64 v[8:9], v[28:29], v[44:45]
	s_waitcnt lgkmcnt(4)
	v_fmac_f64_e32 v[2:3], v[8:9], v[6:7]
	v_mul_f64 v[6:7], v[30:31], v[46:47]
	s_waitcnt lgkmcnt(2)
	v_fmac_f64_e32 v[2:3], v[6:7], v[10:11]
	v_mul_f64 v[6:7], v[32:33], v[48:49]
	s_waitcnt lgkmcnt(0)
	v_fmac_f64_e32 v[2:3], v[6:7], v[12:13]
	s_branch .LBB124_81
.LBB124_75:                             ;   in Loop: Header=BB124_53 Depth=1
                                        ; implicit-def: $vgpr2_vgpr3
	s_cbranch_execz .LBB124_81
; %bb.76:                               ;   in Loop: Header=BB124_53 Depth=1
	s_load_dword s0, s[2:3], 0x0
	s_waitcnt lgkmcnt(0)
	s_cmp_lt_u32 s6, s0
	s_cselect_b32 s0, 12, 18
	s_add_u32 s0, s2, s0
	s_addc_u32 s1, s3, 0
	global_load_ushort v2, v4, s[0:1]
	s_waitcnt vmcnt(0)
	v_mad_u32_u24 v2, v109, v2, v111
	v_and_b32_e32 v5, 63, v2
	v_cmp_gt_u32_e32 vcc, 8, v5
	v_pk_mov_b32 v[2:3], 0, 0
	s_and_saveexec_b64 s[0:1], vcc
	s_cbranch_execz .LBB124_80
; %bb.77:                               ;   in Loop: Header=BB124_53 Depth=1
	v_add_co_u32_e32 v2, vcc, v119, v5
	v_addc_co_u32_e32 v3, vcc, 0, v120, vcc
	v_add_co_u32_e32 v6, vcc, 0xffffffc1, v2
	v_addc_co_u32_e32 v7, vcc, -1, v3, vcc
	v_cmp_gt_i64_e32 vcc, s[36:37], v[6:7]
	v_pk_mov_b32 v[2:3], 0, 0
	s_and_saveexec_b64 s[10:11], vcc
	s_cbranch_execz .LBB124_79
; %bb.78:                               ;   in Loop: Header=BB124_53 Depth=1
	v_lshlrev_b64 v[2:3], 3, v[6:7]
	v_mov_b32_e32 v5, s29
	v_add_co_u32_e32 v2, vcc, s28, v2
	v_addc_co_u32_e32 v3, vcc, v5, v3, vcc
	global_load_dwordx2 v[2:3], v[2:3], off
.LBB124_79:                             ;   in Loop: Header=BB124_53 Depth=1
	s_or_b64 exec, exec, s[10:11]
.LBB124_80:                             ;   in Loop: Header=BB124_53 Depth=1
	s_or_b64 exec, exec, s[0:1]
	v_add_co_u32_e32 v6, vcc, v66, v112
	v_addc_co_u32_e32 v7, vcc, v1, v113, vcc
	v_add_co_u32_e32 v8, vcc, v82, v112
	v_addc_co_u32_e32 v9, vcc, v51, v113, vcc
	;; [unrolled: 2-line block ×8, first 2 shown]
	v_add_co_u32_e32 v22, vcc, v58, v112
	global_load_dwordx2 v[6:7], v[6:7], off
	v_addc_co_u32_e32 v23, vcc, v59, v113, vcc
	global_load_dwordx2 v[8:9], v[8:9], off
	v_add_co_u32_e32 v24, vcc, v74, v112
	global_load_dwordx2 v[10:11], v[10:11], off
	v_addc_co_u32_e32 v25, vcc, v75, v113, vcc
	global_load_dwordx2 v[12:13], v[12:13], off
	v_add_co_u32_e32 v26, vcc, v60, v112
	v_addc_co_u32_e32 v27, vcc, v61, v113, vcc
	v_add_co_u32_e32 v28, vcc, v76, v112
	global_load_dwordx2 v[14:15], v[14:15], off
	v_addc_co_u32_e32 v29, vcc, v77, v113, vcc
	global_load_dwordx2 v[16:17], v[16:17], off
	v_add_co_u32_e32 v30, vcc, v62, v112
	global_load_dwordx2 v[18:19], v[18:19], off
	v_addc_co_u32_e32 v31, vcc, v63, v113, vcc
	global_load_dwordx2 v[20:21], v[20:21], off
	;; [unrolled: 4-line block ×3, first 2 shown]
	v_add_co_u32_e32 v34, vcc, v64, v112
	v_addc_co_u32_e32 v35, vcc, v65, v113, vcc
	global_load_dwordx2 v[26:27], v[26:27], off
	v_add_co_u32_e32 v36, vcc, v80, v112
	global_load_dwordx2 v[28:29], v[28:29], off
	v_addc_co_u32_e32 v37, vcc, v81, v113, vcc
	global_load_dwordx2 v[30:31], v[30:31], off
	s_waitcnt vmcnt(13)
	ds_bpermute_b32 v38, v118, v2
	global_load_dwordx2 v[32:33], v[32:33], off
	ds_bpermute_b32 v39, v118, v3
	global_load_dwordx2 v[34:35], v[34:35], off
	ds_bpermute_b32 v40, v118, v2 offset:4
	global_load_dwordx2 v[36:37], v[36:37], off
	ds_bpermute_b32 v41, v118, v3 offset:4
	s_waitcnt vmcnt(14)
	v_mul_f64 v[6:7], v[6:7], v[8:9]
	s_waitcnt lgkmcnt(2)
	v_fmac_f64_e32 v[114:115], v[6:7], v[38:39]
	s_waitcnt vmcnt(12)
	v_mul_f64 v[6:7], v[10:11], v[12:13]
	s_waitcnt lgkmcnt(0)
	v_fmac_f64_e32 v[114:115], v[6:7], v[40:41]
	ds_bpermute_b32 v6, v118, v2 offset:8
	ds_bpermute_b32 v7, v118, v3 offset:8
	;; [unrolled: 1-line block ×6, first 2 shown]
	s_waitcnt vmcnt(10)
	v_mul_f64 v[8:9], v[14:15], v[16:17]
	s_waitcnt lgkmcnt(4)
	v_fmac_f64_e32 v[114:115], v[8:9], v[6:7]
	s_waitcnt vmcnt(8)
	v_mul_f64 v[6:7], v[18:19], v[20:21]
	s_waitcnt lgkmcnt(2)
	v_fmac_f64_e32 v[114:115], v[6:7], v[10:11]
	ds_bpermute_b32 v10, v118, v2 offset:24
	ds_bpermute_b32 v11, v118, v3 offset:24
	s_waitcnt vmcnt(6)
	v_mul_f64 v[6:7], v[22:23], v[24:25]
	s_waitcnt lgkmcnt(2)
	v_fmac_f64_e32 v[114:115], v[6:7], v[12:13]
	ds_bpermute_b32 v6, v118, v2 offset:20
	ds_bpermute_b32 v7, v118, v3 offset:20
	;; [unrolled: 1-line block ×4, first 2 shown]
	s_waitcnt vmcnt(4)
	v_mul_f64 v[8:9], v[26:27], v[28:29]
	s_waitcnt lgkmcnt(2)
	v_fmac_f64_e32 v[114:115], v[8:9], v[6:7]
	s_waitcnt vmcnt(2)
	v_mul_f64 v[6:7], v[30:31], v[32:33]
	v_fmac_f64_e32 v[114:115], v[6:7], v[10:11]
	s_waitcnt vmcnt(0)
	v_mul_f64 v[6:7], v[34:35], v[36:37]
	s_waitcnt lgkmcnt(0)
	v_fmac_f64_e32 v[114:115], v[6:7], v[2:3]
	v_pk_mov_b32 v[2:3], v[114:115], v[114:115] op_sel:[0,1]
.LBB124_81:                             ;   in Loop: Header=BB124_53 Depth=1
	v_mov_b32_e32 v5, s27
	v_add_co_u32_e32 v52, vcc, s26, v52
	v_addc_co_u32_e32 v53, vcc, v53, v5, vcc
	v_add_co_u32_e32 v54, vcc, s26, v54
	v_addc_co_u32_e32 v55, vcc, v55, v5, vcc
	;; [unrolled: 2-line block ×29, first 2 shown]
	s_add_u32 s30, s30, s7
	v_add_co_u32_e32 v110, vcc, s26, v110
	s_addc_u32 s31, s31, 0
	v_addc_co_u32_e32 v107, vcc, v107, v5, vcc
	v_pk_mov_b32 v[6:7], s[36:37], s[36:37] op_sel:[0,1]
	s_add_u32 s24, s24, s7
	v_cmp_ge_i64_e32 vcc, s[30:31], v[6:7]
	s_addc_u32 s25, s25, 0
	s_cbranch_vccnz .LBB124_83
; %bb.82:                               ;   in Loop: Header=BB124_53 Depth=1
	v_pk_mov_b32 v[114:115], v[2:3], v[2:3] op_sel:[0,1]
	s_branch .LBB124_53
.LBB124_83:
	v_bfe_u32 v1, v0, 10, 10
	v_and_b32_e32 v4, 0x3ff, v0
	s_movk_i32 s0, 0x41
	v_mad_u32_u24 v0, v1, s0, v4
	v_lshl_add_u32 v0, v0, 3, 0
	ds_write_b64 v0, v[2:3]
	v_mov_b32_e32 v2, 0
	v_mov_b32_e32 v3, v2
	ds_write_b64 v0, v[2:3] offset:4160
	v_lshrrev_b32_e32 v0, 6, v4
	v_add_u32_e32 v2, v0, v1
	s_mov_b32 s7, 0
	v_cmp_gt_u32_e32 vcc, 64, v2
	s_waitcnt lgkmcnt(0)
	s_barrier
	s_and_saveexec_b64 s[0:1], vcc
	s_cbranch_execz .LBB124_90
; %bb.84:
	v_mbcnt_lo_u32_b32 v5, -1, 0
	v_mbcnt_hi_u32_b32 v5, -1, v5
	v_and_b32_e32 v6, 64, v5
	v_and_b32_e32 v3, 63, v4
	v_add_u32_e32 v8, 64, v6
	v_cmp_ne_u32_e64 s[0:1], 0, v4
	v_xor_b32_e32 v4, 4, v5
	v_cmp_lt_i32_e64 s[2:3], v4, v8
	v_cndmask_b32_e64 v4, v5, v4, s[2:3]
	v_lshlrev_b32_e32 v6, 2, v4
	v_xor_b32_e32 v4, 2, v5
	v_cmp_lt_i32_e64 s[2:3], v4, v8
	v_cndmask_b32_e64 v4, v5, v4, s[2:3]
	v_lshlrev_b32_e32 v7, 2, v4
	v_xor_b32_e32 v4, 1, v5
	v_cmp_lt_i32_e64 s[2:3], v4, v8
	s_load_dwordx2 s[10:11], s[4:5], 0x30
	v_cndmask_b32_e64 v4, v5, v4, s[2:3]
	v_add_co_u32_e64 v0, s[2:3], v0, v1
	v_cmp_gt_u32_e32 vcc, 8, v3
	s_lshl_b64 s[4:5], s[6:7], 6
	v_mul_u32_u24_e32 v3, 0x208, v3
	v_lshlrev_b32_e32 v2, 3, v2
	v_addc_co_u32_e64 v1, s[2:3], 0, 0, s[2:3]
	v_add3_u32 v9, v3, v2, 0
	v_mov_b32_e32 v3, s5
	v_add_co_u32_e64 v2, s[2:3], s4, v0
	v_addc_co_u32_e64 v3, s[2:3], v1, v3, s[2:3]
	v_lshlrev_b64 v[2:3], 3, v[2:3]
	s_waitcnt lgkmcnt(0)
	s_cmp_eq_u64 s[10:11], 0
	v_lshlrev_b32_e32 v8, 2, v4
	v_mov_b32_e32 v4, s11
	v_add_co_u32_e64 v2, s[2:3], s10, v2
	s_mov_b64 s[6:7], 0
	s_cselect_b64 s[8:9], -1, 0
	v_addc_co_u32_e64 v3, s[2:3], v4, v3, s[2:3]
	v_mov_b32_e32 v10, s5
                                        ; implicit-def: $vgpr4_vgpr5
	s_branch .LBB124_86
.LBB124_85:                             ;   in Loop: Header=BB124_86 Depth=1
	s_or_b64 exec, exec, s[2:3]
	v_add_co_u32_e64 v0, s[2:3], 8, v0
	v_addc_co_u32_e64 v1, s[2:3], 0, v1, s[2:3]
	v_add_u32_e32 v11, -8, v0
	v_cmp_lt_u32_e64 s[2:3], 55, v11
	s_or_b64 s[6:7], s[2:3], s[6:7]
	v_add_co_u32_e64 v2, s[2:3], 64, v2
	v_add_u32_e32 v9, 64, v9
	v_addc_co_u32_e64 v3, s[2:3], 0, v3, s[2:3]
	s_andn2_b64 exec, exec, s[6:7]
	s_cbranch_execz .LBB124_90
.LBB124_86:                             ; =>This Inner Loop Header: Depth=1
	s_and_saveexec_b64 s[2:3], vcc
	s_cbranch_execz .LBB124_88
; %bb.87:                               ;   in Loop: Header=BB124_86 Depth=1
	ds_read_b64 v[4:5], v9
.LBB124_88:                             ;   in Loop: Header=BB124_86 Depth=1
	s_or_b64 exec, exec, s[2:3]
	s_waitcnt lgkmcnt(0)
	ds_bpermute_b32 v12, v6, v4
	ds_bpermute_b32 v13, v6, v5
	v_add_co_u32_e64 v14, s[2:3], s4, v0
	v_addc_co_u32_e64 v15, s[2:3], v10, v1, s[2:3]
	s_waitcnt lgkmcnt(0)
	v_add_f64 v[4:5], v[4:5], v[12:13]
	ds_bpermute_b32 v12, v7, v4
	ds_bpermute_b32 v13, v7, v5
	v_cmp_le_i64_e64 s[2:3], s[38:39], v[14:15]
	s_or_b64 s[2:3], s[0:1], s[2:3]
	s_or_b64 s[2:3], s[8:9], s[2:3]
	s_xor_b64 s[10:11], s[2:3], -1
	s_waitcnt lgkmcnt(0)
	v_add_f64 v[4:5], v[4:5], v[12:13]
	ds_bpermute_b32 v12, v8, v4
	ds_bpermute_b32 v13, v8, v5
	s_waitcnt lgkmcnt(0)
	v_add_f64 v[4:5], v[4:5], v[12:13]
	s_and_saveexec_b64 s[2:3], s[10:11]
	s_cbranch_execz .LBB124_85
; %bb.89:                               ;   in Loop: Header=BB124_86 Depth=1
	global_store_dwordx2 v[2:3], v[4:5], off
	s_branch .LBB124_85
.LBB124_90:
	s_endpgm
	.section	.rodata,"a",@progbits
	.p2align	6, 0x0
	.amdhsa_kernel _ZN2at6native12_GLOBAL__N_135GammaBetaBackwardCUDAKernelTemplateIddLj64ELj8ELj64ELb0ELb0ELb1EEEvllPKT_S5_PKT0_S8_PS3_S9_
		.amdhsa_group_segment_fixed_size 0
		.amdhsa_private_segment_fixed_size 0
		.amdhsa_kernarg_size 320
		.amdhsa_user_sgpr_count 6
		.amdhsa_user_sgpr_private_segment_buffer 1
		.amdhsa_user_sgpr_dispatch_ptr 0
		.amdhsa_user_sgpr_queue_ptr 0
		.amdhsa_user_sgpr_kernarg_segment_ptr 1
		.amdhsa_user_sgpr_dispatch_id 0
		.amdhsa_user_sgpr_flat_scratch_init 0
		.amdhsa_user_sgpr_kernarg_preload_length 0
		.amdhsa_user_sgpr_kernarg_preload_offset 0
		.amdhsa_user_sgpr_private_segment_size 0
		.amdhsa_uses_dynamic_stack 0
		.amdhsa_system_sgpr_private_segment_wavefront_offset 0
		.amdhsa_system_sgpr_workgroup_id_x 1
		.amdhsa_system_sgpr_workgroup_id_y 1
		.amdhsa_system_sgpr_workgroup_id_z 0
		.amdhsa_system_sgpr_workgroup_info 0
		.amdhsa_system_vgpr_workitem_id 1
		.amdhsa_next_free_vgpr 121
		.amdhsa_next_free_sgpr 50
		.amdhsa_accum_offset 124
		.amdhsa_reserve_vcc 1
		.amdhsa_reserve_flat_scratch 0
		.amdhsa_float_round_mode_32 0
		.amdhsa_float_round_mode_16_64 0
		.amdhsa_float_denorm_mode_32 3
		.amdhsa_float_denorm_mode_16_64 3
		.amdhsa_dx10_clamp 1
		.amdhsa_ieee_mode 1
		.amdhsa_fp16_overflow 0
		.amdhsa_tg_split 0
		.amdhsa_exception_fp_ieee_invalid_op 0
		.amdhsa_exception_fp_denorm_src 0
		.amdhsa_exception_fp_ieee_div_zero 0
		.amdhsa_exception_fp_ieee_overflow 0
		.amdhsa_exception_fp_ieee_underflow 0
		.amdhsa_exception_fp_ieee_inexact 0
		.amdhsa_exception_int_div_zero 0
	.end_amdhsa_kernel
	.section	.text._ZN2at6native12_GLOBAL__N_135GammaBetaBackwardCUDAKernelTemplateIddLj64ELj8ELj64ELb0ELb0ELb1EEEvllPKT_S5_PKT0_S8_PS3_S9_,"axG",@progbits,_ZN2at6native12_GLOBAL__N_135GammaBetaBackwardCUDAKernelTemplateIddLj64ELj8ELj64ELb0ELb0ELb1EEEvllPKT_S5_PKT0_S8_PS3_S9_,comdat
.Lfunc_end124:
	.size	_ZN2at6native12_GLOBAL__N_135GammaBetaBackwardCUDAKernelTemplateIddLj64ELj8ELj64ELb0ELb0ELb1EEEvllPKT_S5_PKT0_S8_PS3_S9_, .Lfunc_end124-_ZN2at6native12_GLOBAL__N_135GammaBetaBackwardCUDAKernelTemplateIddLj64ELj8ELj64ELb0ELb0ELb1EEEvllPKT_S5_PKT0_S8_PS3_S9_
                                        ; -- End function
	.section	.AMDGPU.csdata,"",@progbits
; Kernel info:
; codeLenInByte = 7360
; NumSgprs: 54
; NumVgprs: 121
; NumAgprs: 0
; TotalNumVgprs: 121
; ScratchSize: 0
; MemoryBound: 1
; FloatMode: 240
; IeeeMode: 1
; LDSByteSize: 0 bytes/workgroup (compile time only)
; SGPRBlocks: 6
; VGPRBlocks: 15
; NumSGPRsForWavesPerEU: 54
; NumVGPRsForWavesPerEU: 121
; AccumOffset: 124
; Occupancy: 4
; WaveLimiterHint : 0
; COMPUTE_PGM_RSRC2:SCRATCH_EN: 0
; COMPUTE_PGM_RSRC2:USER_SGPR: 6
; COMPUTE_PGM_RSRC2:TRAP_HANDLER: 0
; COMPUTE_PGM_RSRC2:TGID_X_EN: 1
; COMPUTE_PGM_RSRC2:TGID_Y_EN: 1
; COMPUTE_PGM_RSRC2:TGID_Z_EN: 0
; COMPUTE_PGM_RSRC2:TIDIG_COMP_CNT: 1
; COMPUTE_PGM_RSRC3_GFX90A:ACCUM_OFFSET: 30
; COMPUTE_PGM_RSRC3_GFX90A:TG_SPLIT: 0
	.section	.text._ZN2at6native12_GLOBAL__N_135GammaBetaBackwardCUDAKernelTemplateIddLj64ELj16ELj128ELb0ELb1ELb1EEEvllPKT_S5_PKT0_S8_PS3_S9_,"axG",@progbits,_ZN2at6native12_GLOBAL__N_135GammaBetaBackwardCUDAKernelTemplateIddLj64ELj16ELj128ELb0ELb1ELb1EEEvllPKT_S5_PKT0_S8_PS3_S9_,comdat
	.globl	_ZN2at6native12_GLOBAL__N_135GammaBetaBackwardCUDAKernelTemplateIddLj64ELj16ELj128ELb0ELb1ELb1EEEvllPKT_S5_PKT0_S8_PS3_S9_ ; -- Begin function _ZN2at6native12_GLOBAL__N_135GammaBetaBackwardCUDAKernelTemplateIddLj64ELj16ELj128ELb0ELb1ELb1EEEvllPKT_S5_PKT0_S8_PS3_S9_
	.p2align	8
	.type	_ZN2at6native12_GLOBAL__N_135GammaBetaBackwardCUDAKernelTemplateIddLj64ELj16ELj128ELb0ELb1ELb1EEEvllPKT_S5_PKT0_S8_PS3_S9_,@function
_ZN2at6native12_GLOBAL__N_135GammaBetaBackwardCUDAKernelTemplateIddLj64ELj16ELj128ELb0ELb1ELb1EEEvllPKT_S5_PKT0_S8_PS3_S9_: ; @_ZN2at6native12_GLOBAL__N_135GammaBetaBackwardCUDAKernelTemplateIddLj64ELj16ELj128ELb0ELb1ELb1EEEvllPKT_S5_PKT0_S8_PS3_S9_
; %bb.0:
	s_load_dwordx4 s[8:11], s[4:5], 0x0
	s_lshl_b32 s16, s7, 7
	s_mov_b32 s17, 0
	v_bfe_u32 v44, v0, 10, 10
	s_waitcnt lgkmcnt(0)
	v_pk_mov_b32 v[2:3], s[8:9], s[8:9] op_sel:[0,1]
	v_cmp_lt_i64_e32 vcc, s[16:17], v[2:3]
	s_cbranch_vccnz .LBB125_2
; %bb.1:
	s_mov_b64 s[0:1], 0
	s_mov_b64 s[12:13], 0
	v_bfe_u32 v1, v0, 10, 10
	s_branch .LBB125_3
.LBB125_2:
	s_mov_b64 s[0:1], -1
                                        ; implicit-def: $sgpr12_sgpr13
                                        ; implicit-def: $vgpr1
.LBB125_3:
	s_load_dwordx2 s[2:3], s[4:5], 0x30
	v_and_b32_e32 v42, 0x3ff, v0
	s_andn2_b64 vcc, exec, s[0:1]
	v_pk_mov_b32 v[6:7], s[12:13], s[12:13] op_sel:[0,1]
	v_mbcnt_lo_u32_b32 v43, -1, 0
	s_cbranch_vccnz .LBB125_11
; %bb.4:
	s_load_dword s0, s[4:5], 0x4c
	s_load_dword s7, s[4:5], 0x44
	s_load_dwordx4 s[12:15], s[4:5], 0x10
	s_load_dwordx2 s[18:19], s[4:5], 0x28
	v_mbcnt_hi_u32_b32 v2, -1, v43
	v_lshlrev_b32_e32 v0, 3, v44
	s_waitcnt lgkmcnt(0)
	s_and_b32 s0, s0, 0xffff
	v_lshlrev_b32_e32 v2, 2, v2
	v_mad_u32_u24 v1, v44, s0, v42
	v_and_b32_e32 v45, 0x100, v2
	v_mov_b32_e32 v2, s17
	v_add_co_u32_e32 v6, vcc, s16, v0
	v_and_b32_e32 v1, 63, v1
	v_addc_co_u32_e32 v7, vcc, 0, v2, vcc
	v_add_co_u32_e32 v0, vcc, v6, v1
	v_cmp_gt_u32_e64 s[0:1], 8, v1
	v_addc_co_u32_e32 v1, vcc, 0, v7, vcc
	v_lshlrev_b64 v[2:3], 3, v[0:1]
	v_mov_b32_e32 v8, s19
	v_add_co_u32_e32 v2, vcc, s18, v2
	s_lshl_b32 s4, s7, 7
	v_addc_co_u32_e32 v3, vcc, v8, v3, vcc
	v_mul_lo_u32 v8, s11, v6
	v_mul_lo_u32 v9, s10, v7
	v_mad_u64_u32 v[6:7], s[20:21], s10, v6, 0
	v_mov_b32_e32 v5, 0
	v_lshl_add_u32 v4, s6, 6, v42
	v_add3_u32 v7, v7, v9, v8
	s_mul_i32 s7, s11, s4
	s_mul_hi_u32 s20, s10, s4
	s_mov_b32 s5, 0
	v_lshlrev_b64 v[6:7], 3, v[6:7]
	v_lshlrev_b64 v[4:5], 3, v[4:5]
	s_add_i32 s21, s20, s7
	s_mul_i32 s20, s10, s4
	s_lshl_b64 s[18:19], s[4:5], 3
	v_add_co_u32_e32 v4, vcc, v6, v4
	s_lshl_b64 s[20:21], s[20:21], 3
	s_lshl_b64 s[10:11], s[10:11], 3
	v_pk_mov_b32 v[8:9], 0, 0
	v_or_b32_e32 v46, 4, v45
	v_or_b32_e32 v47, 8, v45
	;; [unrolled: 1-line block ×7, first 2 shown]
	v_addc_co_u32_e32 v5, vcc, v7, v5, vcc
	v_mov_b32_e32 v53, s13
	v_mov_b32_e32 v54, s15
	;; [unrolled: 1-line block ×6, first 2 shown]
	v_pk_mov_b32 v[10:11], s[8:9], s[8:9] op_sel:[0,1]
	v_pk_mov_b32 v[6:7], v[8:9], v[8:9] op_sel:[0,1]
	s_branch .LBB125_7
.LBB125_5:                              ;   in Loop: Header=BB125_7 Depth=1
	s_or_b64 exec, exec, s[24:25]
.LBB125_6:                              ;   in Loop: Header=BB125_7 Depth=1
	s_or_b64 exec, exec, s[22:23]
	v_add_co_u32_e32 v14, vcc, s12, v4
	v_addc_co_u32_e32 v15, vcc, v53, v5, vcc
	v_add_co_u32_e32 v16, vcc, s14, v4
	v_addc_co_u32_e32 v17, vcc, v54, v5, vcc
	global_load_dwordx2 v[60:61], v[14:15], off
	v_add_co_u32_e32 v14, vcc, s10, v14
	v_addc_co_u32_e32 v15, vcc, v15, v55, vcc
	global_load_dwordx2 v[62:63], v[16:17], off
	;; [unrolled: 3-line block ×10, first 2 shown]
	v_add_co_u32_e32 v16, vcc, s10, v16
	v_addc_co_u32_e32 v17, vcc, v17, v55, vcc
	v_add_co_u32_e32 v18, vcc, s10, v14
	v_addc_co_u32_e32 v19, vcc, v15, v55, vcc
	global_load_dwordx2 v[30:31], v[16:17], off
	v_add_co_u32_e32 v16, vcc, s10, v16
	v_addc_co_u32_e32 v17, vcc, v17, v55, vcc
	global_load_dwordx2 v[22:23], v[14:15], off
	s_add_u32 s16, s16, s4
	global_load_dwordx2 v[14:15], v[18:19], off
	v_add_co_u32_e32 v18, vcc, s10, v18
	v_addc_co_u32_e32 v19, vcc, v19, v55, vcc
	v_add_co_u32_e32 v64, vcc, s10, v16
	v_addc_co_u32_e32 v65, vcc, v17, v55, vcc
	global_load_dwordx2 v[24:25], v[16:17], off
	s_nop 0
	global_load_dwordx2 v[16:17], v[18:19], off
	s_nop 0
	global_load_dwordx2 v[18:19], v[64:65], off
	v_add_co_u32_e32 v2, vcc, s18, v2
	v_addc_co_u32_e32 v3, vcc, v3, v56, vcc
	v_add_co_u32_e32 v0, vcc, s4, v0
	v_addc_co_u32_e32 v1, vcc, v1, v57, vcc
	v_add_co_u32_e32 v4, vcc, s20, v4
	s_addc_u32 s17, s17, 0
	v_addc_co_u32_e32 v5, vcc, v5, v58, vcc
	v_cmp_lt_i64_e32 vcc, s[16:17], v[10:11]
	s_waitcnt vmcnt(14)
	v_mul_f64 v[60:61], v[60:61], v[62:63]
	ds_bpermute_b32 v62, v45, v12
	ds_bpermute_b32 v63, v45, v13
	s_and_b64 vcc, exec, vcc
	s_waitcnt lgkmcnt(0)
	v_fmac_f64_e32 v[6:7], v[60:61], v[62:63]
	ds_bpermute_b32 v60, v46, v12
	ds_bpermute_b32 v61, v46, v13
	s_waitcnt vmcnt(12)
	v_mul_f64 v[38:39], v[38:39], v[40:41]
	ds_bpermute_b32 v40, v49, v12
	ds_bpermute_b32 v41, v49, v13
	s_waitcnt lgkmcnt(2)
	v_fmac_f64_e32 v[6:7], v[38:39], v[60:61]
	ds_bpermute_b32 v38, v47, v12
	ds_bpermute_b32 v39, v47, v13
	s_waitcnt vmcnt(10)
	v_mul_f64 v[34:35], v[34:35], v[36:37]
	ds_bpermute_b32 v36, v48, v12
	ds_bpermute_b32 v37, v48, v13
	s_waitcnt lgkmcnt(2)
	v_fmac_f64_e32 v[6:7], v[34:35], v[38:39]
	s_waitcnt vmcnt(8)
	v_mul_f64 v[20:21], v[20:21], v[28:29]
	s_waitcnt lgkmcnt(0)
	v_fmac_f64_e32 v[6:7], v[20:21], v[36:37]
	s_waitcnt vmcnt(6)
	v_mul_f64 v[20:21], v[26:27], v[32:33]
	v_fmac_f64_e32 v[6:7], v[20:21], v[40:41]
	ds_bpermute_b32 v20, v50, v12
	ds_bpermute_b32 v21, v50, v13
	;; [unrolled: 1-line block ×6, first 2 shown]
	s_waitcnt vmcnt(4)
	v_mul_f64 v[22:23], v[22:23], v[30:31]
	s_waitcnt lgkmcnt(4)
	v_fmac_f64_e32 v[6:7], v[22:23], v[20:21]
	s_waitcnt vmcnt(2)
	v_mul_f64 v[14:15], v[14:15], v[24:25]
	s_waitcnt lgkmcnt(2)
	v_fmac_f64_e32 v[6:7], v[14:15], v[26:27]
	;; [unrolled: 4-line block ×3, first 2 shown]
	s_cbranch_vccz .LBB125_10
.LBB125_7:                              ; =>This Inner Loop Header: Depth=1
	v_pk_mov_b32 v[12:13], v[8:9], v[8:9] op_sel:[0,1]
	s_and_saveexec_b64 s[22:23], s[0:1]
	s_cbranch_execz .LBB125_6
; %bb.8:                                ;   in Loop: Header=BB125_7 Depth=1
	v_cmp_gt_i64_e32 vcc, s[8:9], v[0:1]
	v_pk_mov_b32 v[12:13], 0, 0
	s_and_saveexec_b64 s[24:25], vcc
	s_cbranch_execz .LBB125_5
; %bb.9:                                ;   in Loop: Header=BB125_7 Depth=1
	global_load_dwordx2 v[12:13], v[2:3], off
	s_branch .LBB125_5
.LBB125_10:
	v_mov_b32_e32 v1, v44
.LBB125_11:
	s_movk_i32 s0, 0x41
	v_mad_u32_u24 v0, v1, s0, v42
	v_mov_b32_e32 v2, 0
	v_lshl_add_u32 v0, v0, 3, 0
	v_mov_b32_e32 v3, v2
	ds_write_b64 v0, v[6:7]
	ds_write_b64 v0, v[2:3] offset:8320
	v_lshrrev_b32_e32 v0, 6, v42
	v_add_u32_e32 v2, v0, v1
	s_mov_b32 s7, 0
	v_cmp_gt_u32_e32 vcc, 64, v2
	s_waitcnt lgkmcnt(0)
	s_barrier
	s_and_saveexec_b64 s[0:1], vcc
	s_cbranch_execz .LBB125_18
; %bb.12:
	v_mbcnt_hi_u32_b32 v7, -1, v43
	v_and_b32_e32 v4, 64, v7
	s_cmp_lg_u64 s[2:3], 0
	v_add_u32_e32 v8, 64, v4
	v_cmp_eq_u32_e32 vcc, 0, v42
	s_cselect_b64 s[8:9], -1, 0
	v_xor_b32_e32 v4, 8, v7
	s_and_b64 s[8:9], vcc, s[8:9]
	v_cmp_lt_i32_e32 vcc, v4, v8
	v_xor_b32_e32 v5, 4, v7
	v_cndmask_b32_e32 v4, v7, v4, vcc
	v_cmp_lt_i32_e32 vcc, v5, v8
	v_xor_b32_e32 v6, 2, v7
	v_cndmask_b32_e32 v5, v7, v5, vcc
	;; [unrolled: 3-line block ×3, first 2 shown]
	v_cmp_lt_i32_e32 vcc, v9, v8
	v_cndmask_b32_e32 v7, v7, v9, vcc
	s_lshl_b64 s[6:7], s[6:7], 9
	v_add_co_u32_e32 v0, vcc, v0, v1
	v_addc_co_u32_e64 v1, s[10:11], 0, 0, vcc
	s_add_u32 s2, s2, s6
	v_and_b32_e32 v3, 63, v42
	v_lshlrev_b64 v[0:1], 3, v[0:1]
	s_addc_u32 s3, s3, s7
	v_cmp_gt_u32_e64 s[0:1], 16, v3
	v_mul_u32_u24_e32 v3, 0x208, v3
	v_lshlrev_b32_e32 v8, 3, v2
	v_add_u32_e32 v9, -16, v2
	v_mov_b32_e32 v2, s3
	v_add_co_u32_e32 v0, vcc, s2, v0
	s_mov_b64 s[4:5], 0
	v_lshlrev_b32_e32 v4, 2, v4
	v_lshlrev_b32_e32 v5, 2, v5
	;; [unrolled: 1-line block ×4, first 2 shown]
	v_add3_u32 v8, v3, v8, 0
	v_addc_co_u32_e32 v1, vcc, v2, v1, vcc
                                        ; implicit-def: $vgpr2_vgpr3
	s_branch .LBB125_14
.LBB125_13:                             ;   in Loop: Header=BB125_14 Depth=1
	s_or_b64 exec, exec, s[2:3]
	v_add_u32_e32 v9, 16, v9
	v_add_co_u32_e32 v0, vcc, 0x80, v0
	v_cmp_lt_u32_e64 s[2:3], 47, v9
	v_add_u32_e32 v8, 0x80, v8
	s_or_b64 s[4:5], s[2:3], s[4:5]
	v_addc_co_u32_e32 v1, vcc, 0, v1, vcc
	s_andn2_b64 exec, exec, s[4:5]
	s_cbranch_execz .LBB125_18
.LBB125_14:                             ; =>This Inner Loop Header: Depth=1
	s_and_saveexec_b64 s[2:3], s[0:1]
	s_cbranch_execz .LBB125_16
; %bb.15:                               ;   in Loop: Header=BB125_14 Depth=1
	ds_read_b64 v[2:3], v8
.LBB125_16:                             ;   in Loop: Header=BB125_14 Depth=1
	s_or_b64 exec, exec, s[2:3]
	s_waitcnt lgkmcnt(0)
	ds_bpermute_b32 v10, v4, v2
	ds_bpermute_b32 v11, v4, v3
	s_waitcnt lgkmcnt(0)
	v_add_f64 v[2:3], v[2:3], v[10:11]
	ds_bpermute_b32 v10, v5, v2
	ds_bpermute_b32 v11, v5, v3
	s_waitcnt lgkmcnt(0)
	v_add_f64 v[2:3], v[2:3], v[10:11]
	;; [unrolled: 4-line block ×4, first 2 shown]
	s_and_saveexec_b64 s[2:3], s[8:9]
	s_cbranch_execz .LBB125_13
; %bb.17:                               ;   in Loop: Header=BB125_14 Depth=1
	global_store_dwordx2 v[0:1], v[2:3], off
	s_branch .LBB125_13
.LBB125_18:
	s_endpgm
	.section	.rodata,"a",@progbits
	.p2align	6, 0x0
	.amdhsa_kernel _ZN2at6native12_GLOBAL__N_135GammaBetaBackwardCUDAKernelTemplateIddLj64ELj16ELj128ELb0ELb1ELb1EEEvllPKT_S5_PKT0_S8_PS3_S9_
		.amdhsa_group_segment_fixed_size 0
		.amdhsa_private_segment_fixed_size 0
		.amdhsa_kernarg_size 320
		.amdhsa_user_sgpr_count 6
		.amdhsa_user_sgpr_private_segment_buffer 1
		.amdhsa_user_sgpr_dispatch_ptr 0
		.amdhsa_user_sgpr_queue_ptr 0
		.amdhsa_user_sgpr_kernarg_segment_ptr 1
		.amdhsa_user_sgpr_dispatch_id 0
		.amdhsa_user_sgpr_flat_scratch_init 0
		.amdhsa_user_sgpr_kernarg_preload_length 0
		.amdhsa_user_sgpr_kernarg_preload_offset 0
		.amdhsa_user_sgpr_private_segment_size 0
		.amdhsa_uses_dynamic_stack 0
		.amdhsa_system_sgpr_private_segment_wavefront_offset 0
		.amdhsa_system_sgpr_workgroup_id_x 1
		.amdhsa_system_sgpr_workgroup_id_y 1
		.amdhsa_system_sgpr_workgroup_id_z 0
		.amdhsa_system_sgpr_workgroup_info 0
		.amdhsa_system_vgpr_workitem_id 1
		.amdhsa_next_free_vgpr 66
		.amdhsa_next_free_sgpr 26
		.amdhsa_accum_offset 68
		.amdhsa_reserve_vcc 1
		.amdhsa_reserve_flat_scratch 0
		.amdhsa_float_round_mode_32 0
		.amdhsa_float_round_mode_16_64 0
		.amdhsa_float_denorm_mode_32 3
		.amdhsa_float_denorm_mode_16_64 3
		.amdhsa_dx10_clamp 1
		.amdhsa_ieee_mode 1
		.amdhsa_fp16_overflow 0
		.amdhsa_tg_split 0
		.amdhsa_exception_fp_ieee_invalid_op 0
		.amdhsa_exception_fp_denorm_src 0
		.amdhsa_exception_fp_ieee_div_zero 0
		.amdhsa_exception_fp_ieee_overflow 0
		.amdhsa_exception_fp_ieee_underflow 0
		.amdhsa_exception_fp_ieee_inexact 0
		.amdhsa_exception_int_div_zero 0
	.end_amdhsa_kernel
	.section	.text._ZN2at6native12_GLOBAL__N_135GammaBetaBackwardCUDAKernelTemplateIddLj64ELj16ELj128ELb0ELb1ELb1EEEvllPKT_S5_PKT0_S8_PS3_S9_,"axG",@progbits,_ZN2at6native12_GLOBAL__N_135GammaBetaBackwardCUDAKernelTemplateIddLj64ELj16ELj128ELb0ELb1ELb1EEEvllPKT_S5_PKT0_S8_PS3_S9_,comdat
.Lfunc_end125:
	.size	_ZN2at6native12_GLOBAL__N_135GammaBetaBackwardCUDAKernelTemplateIddLj64ELj16ELj128ELb0ELb1ELb1EEEvllPKT_S5_PKT0_S8_PS3_S9_, .Lfunc_end125-_ZN2at6native12_GLOBAL__N_135GammaBetaBackwardCUDAKernelTemplateIddLj64ELj16ELj128ELb0ELb1ELb1EEEvllPKT_S5_PKT0_S8_PS3_S9_
                                        ; -- End function
	.section	.AMDGPU.csdata,"",@progbits
; Kernel info:
; codeLenInByte = 1540
; NumSgprs: 30
; NumVgprs: 66
; NumAgprs: 0
; TotalNumVgprs: 66
; ScratchSize: 0
; MemoryBound: 0
; FloatMode: 240
; IeeeMode: 1
; LDSByteSize: 0 bytes/workgroup (compile time only)
; SGPRBlocks: 3
; VGPRBlocks: 8
; NumSGPRsForWavesPerEU: 30
; NumVGPRsForWavesPerEU: 66
; AccumOffset: 68
; Occupancy: 7
; WaveLimiterHint : 0
; COMPUTE_PGM_RSRC2:SCRATCH_EN: 0
; COMPUTE_PGM_RSRC2:USER_SGPR: 6
; COMPUTE_PGM_RSRC2:TRAP_HANDLER: 0
; COMPUTE_PGM_RSRC2:TGID_X_EN: 1
; COMPUTE_PGM_RSRC2:TGID_Y_EN: 1
; COMPUTE_PGM_RSRC2:TGID_Z_EN: 0
; COMPUTE_PGM_RSRC2:TIDIG_COMP_CNT: 1
; COMPUTE_PGM_RSRC3_GFX90A:ACCUM_OFFSET: 16
; COMPUTE_PGM_RSRC3_GFX90A:TG_SPLIT: 0
	.section	.text._ZN2at6native12_GLOBAL__N_135GammaBetaBackwardCUDAKernelTemplateIddLj64ELj16ELj128ELb0ELb0ELb1EEEvllPKT_S5_PKT0_S8_PS3_S9_,"axG",@progbits,_ZN2at6native12_GLOBAL__N_135GammaBetaBackwardCUDAKernelTemplateIddLj64ELj16ELj128ELb0ELb0ELb1EEEvllPKT_S5_PKT0_S8_PS3_S9_,comdat
	.globl	_ZN2at6native12_GLOBAL__N_135GammaBetaBackwardCUDAKernelTemplateIddLj64ELj16ELj128ELb0ELb0ELb1EEEvllPKT_S5_PKT0_S8_PS3_S9_ ; -- Begin function _ZN2at6native12_GLOBAL__N_135GammaBetaBackwardCUDAKernelTemplateIddLj64ELj16ELj128ELb0ELb0ELb1EEEvllPKT_S5_PKT0_S8_PS3_S9_
	.p2align	8
	.type	_ZN2at6native12_GLOBAL__N_135GammaBetaBackwardCUDAKernelTemplateIddLj64ELj16ELj128ELb0ELb0ELb1EEEvllPKT_S5_PKT0_S8_PS3_S9_,@function
_ZN2at6native12_GLOBAL__N_135GammaBetaBackwardCUDAKernelTemplateIddLj64ELj16ELj128ELb0ELb0ELb1EEEvllPKT_S5_PKT0_S8_PS3_S9_: ; @_ZN2at6native12_GLOBAL__N_135GammaBetaBackwardCUDAKernelTemplateIddLj64ELj16ELj128ELb0ELb0ELb1EEEvllPKT_S5_PKT0_S8_PS3_S9_
; %bb.0:
	s_load_dwordx8 s[36:43], s[4:5], 0x0
	s_load_dwordx2 s[28:29], s[4:5], 0x28
	s_lshl_b32 s33, s6, 6
	s_or_b32 s30, s33, 63
	s_mov_b32 s31, 0
	s_waitcnt lgkmcnt(0)
	v_pk_mov_b32 v[2:3], s[38:39], s[38:39] op_sel:[0,1]
	v_cmp_ge_i64_e32 vcc, s[30:31], v[2:3]
	s_lshl_b32 s30, s7, 7
	v_pk_mov_b32 v[2:3], s[36:37], s[36:37] op_sel:[0,1]
	v_cmp_lt_i64_e64 s[0:1], s[30:31], v[2:3]
	v_cndmask_b32_e64 v1, 0, 1, s[0:1]
	v_cmp_ne_u32_e64 s[0:1], 1, v1
	s_cbranch_vccz .LBB126_49
; %bb.1:
	s_and_b64 vcc, exec, s[0:1]
	v_pk_mov_b32 v[2:3], 0, 0
	s_cbranch_vccnz .LBB126_50
; %bb.2:
	v_bfe_u32 v85, v0, 10, 10
	v_lshlrev_b32_e32 v50, 3, v85
	v_mov_b32_e32 v1, s31
	v_add_co_u32_e32 v5, vcc, s30, v50
	v_and_b32_e32 v83, 0x3ff, v0
	v_mov_b32_e32 v4, 0
	v_addc_co_u32_e32 v6, vcc, 0, v1, vcc
	v_add_u32_e32 v2, s33, v83
	v_mov_b32_e32 v3, v4
	v_add_co_u32_e32 v1, vcc, 7, v5
	v_cmp_gt_i64_e64 s[2:3], s[38:39], v[2:3]
	v_lshlrev_b64 v[52:53], 3, v[2:3]
	v_addc_co_u32_e32 v2, vcc, 0, v6, vcc
	v_mul_lo_u32 v7, s39, v1
	v_mul_lo_u32 v8, s38, v2
	v_mad_u64_u32 v[2:3], s[8:9], s38, v1, 0
	s_load_dword s7, s[4:5], 0x44
	v_add3_u32 v3, v3, v8, v7
	v_lshlrev_b64 v[2:3], 3, v[2:3]
	v_mov_b32_e32 v7, s41
	v_add_co_u32_e32 v54, vcc, s40, v2
	v_addc_co_u32_e32 v1, vcc, v7, v3, vcc
	s_add_u32 s10, s4, 64
	v_mov_b32_e32 v8, s43
	v_add_co_u32_e32 v56, vcc, s42, v2
	s_addc_u32 s11, s5, 0
	s_waitcnt lgkmcnt(0)
	s_lshl_b32 s7, s7, 7
	v_addc_co_u32_e32 v51, vcc, v8, v3, vcc
	s_mul_i32 s8, s39, s7
	s_mul_hi_u32 s9, s38, s7
	v_add_co_u32_e32 v2, vcc, 6, v5
	s_add_i32 s9, s9, s8
	s_mul_i32 s8, s38, s7
	v_addc_co_u32_e32 v3, vcc, 0, v6, vcc
	s_lshl_b64 s[34:35], s[8:9], 3
	v_mul_lo_u32 v9, s39, v2
	v_mul_lo_u32 v10, s38, v3
	v_mad_u64_u32 v[2:3], s[8:9], s38, v2, 0
	v_add3_u32 v3, v3, v10, v9
	v_lshlrev_b64 v[2:3], 3, v[2:3]
	v_add_co_u32_e32 v58, vcc, s40, v2
	v_addc_co_u32_e32 v55, vcc, v7, v3, vcc
	v_add_co_u32_e32 v60, vcc, s42, v2
	v_addc_co_u32_e32 v57, vcc, v8, v3, vcc
	v_add_co_u32_e32 v2, vcc, 5, v5
	v_addc_co_u32_e32 v3, vcc, 0, v6, vcc
	v_mul_lo_u32 v9, s39, v2
	v_mul_lo_u32 v10, s38, v3
	v_mad_u64_u32 v[2:3], s[8:9], s38, v2, 0
	v_add3_u32 v3, v3, v10, v9
	v_lshlrev_b64 v[2:3], 3, v[2:3]
	v_add_co_u32_e32 v62, vcc, s40, v2
	v_addc_co_u32_e32 v59, vcc, v7, v3, vcc
	v_add_co_u32_e32 v64, vcc, s42, v2
	v_addc_co_u32_e32 v61, vcc, v8, v3, vcc
	v_add_co_u32_e32 v2, vcc, 4, v5
	v_addc_co_u32_e32 v3, vcc, 0, v6, vcc
	;; [unrolled: 11-line block ×4, first 2 shown]
	v_mul_lo_u32 v9, s39, v2
	v_mul_lo_u32 v10, s38, v3
	v_mad_u64_u32 v[2:3], s[8:9], s38, v2, 0
	v_add3_u32 v3, v3, v10, v9
	v_lshlrev_b64 v[2:3], 3, v[2:3]
	v_add_co_u32_e32 v74, vcc, s40, v2
	v_addc_co_u32_e32 v71, vcc, v7, v3, vcc
	v_add_co_u32_e32 v76, vcc, s42, v2
	v_addc_co_u32_e32 v73, vcc, v8, v3, vcc
	v_pk_mov_b32 v[2:3], s[38:39], s[38:39] op_sel:[0,1]
	v_mad_u64_u32 v[2:3], s[8:9], s38, v5, v[2:3]
	v_mul_lo_u32 v6, s38, v6
	v_mul_lo_u32 v9, s39, v5
	v_add3_u32 v3, v9, v3, v6
	v_lshlrev_b64 v[2:3], 3, v[2:3]
	v_add_co_u32_e32 v78, vcc, s40, v2
	v_addc_co_u32_e32 v75, vcc, v7, v3, vcc
	v_add_co_u32_e32 v80, vcc, s42, v2
	v_addc_co_u32_e32 v77, vcc, v8, v3, vcc
	v_mad_u64_u32 v[2:3], s[8:9], s38, v5, 0
	v_add3_u32 v3, v3, v6, v9
	v_lshlrev_b64 v[2:3], 3, v[2:3]
	v_add_co_u32_e32 v82, vcc, s40, v2
	v_addc_co_u32_e32 v79, vcc, v7, v3, vcc
	v_add_co_u32_e32 v84, vcc, s42, v2
	v_mbcnt_lo_u32_b32 v2, -1, 0
	v_mbcnt_hi_u32_b32 v2, -1, v2
	s_add_u32 s44, s30, 0x7f
	v_lshlrev_b32_e32 v2, 2, v2
	s_mov_b32 s12, 0
	s_addc_u32 s45, 0, 0
	v_addc_co_u32_e32 v81, vcc, v8, v3, vcc
	v_pk_mov_b32 v[86:87], 0, 0
	v_and_b32_e32 v90, 0x100, v2
	s_mov_b64 s[46:47], s[30:31]
.LBB126_3:                              ; =>This Inner Loop Header: Depth=1
	v_pk_mov_b32 v[2:3], s[36:37], s[36:37] op_sel:[0,1]
	v_cmp_ge_i64_e32 vcc, s[44:45], v[2:3]
	v_mov_b32_e32 v2, s45
	v_add_co_u32_e64 v91, s[8:9], s44, v50
	v_addc_co_u32_e64 v92, s[8:9], 0, v2, s[8:9]
	s_cbranch_vccz .LBB126_25
; %bb.4:                                ;   in Loop: Header=BB126_3 Depth=1
	s_load_dword s8, s[10:11], 0xc
	v_pk_mov_b32 v[88:89], 0, 0
	s_waitcnt lgkmcnt(0)
	s_and_b32 s8, s8, 0xffff
	v_mad_u32_u24 v2, v85, s8, v83
	v_and_b32_e32 v2, 63, v2
	v_cmp_gt_u32_e32 vcc, 8, v2
	s_and_saveexec_b64 s[8:9], vcc
	s_cbranch_execz .LBB126_8
; %bb.5:                                ;   in Loop: Header=BB126_3 Depth=1
	v_add_co_u32_e32 v2, vcc, v91, v2
	v_addc_co_u32_e32 v3, vcc, 0, v92, vcc
	v_add_co_u32_e32 v2, vcc, 0xffffff81, v2
	v_addc_co_u32_e32 v3, vcc, -1, v3, vcc
	v_cmp_gt_i64_e32 vcc, s[36:37], v[2:3]
	v_pk_mov_b32 v[88:89], 0, 0
	s_and_saveexec_b64 s[14:15], vcc
	s_cbranch_execz .LBB126_7
; %bb.6:                                ;   in Loop: Header=BB126_3 Depth=1
	v_lshlrev_b64 v[2:3], 3, v[2:3]
	v_mov_b32_e32 v5, s29
	v_add_co_u32_e32 v2, vcc, s28, v2
	v_addc_co_u32_e32 v3, vcc, v5, v3, vcc
	global_load_dwordx2 v[88:89], v[2:3], off
.LBB126_7:                              ;   in Loop: Header=BB126_3 Depth=1
	s_or_b64 exec, exec, s[14:15]
.LBB126_8:                              ;   in Loop: Header=BB126_3 Depth=1
	s_or_b64 exec, exec, s[8:9]
	v_add_co_u32_e32 v2, vcc, 0xffffff81, v91
	s_mov_b32 s26, s12
	s_mov_b32 s27, s12
	v_addc_co_u32_e32 v3, vcc, -1, v92, vcc
	s_mov_b32 s13, s12
	s_mov_b32 s14, s12
	;; [unrolled: 1-line block ×13, first 2 shown]
	v_pk_mov_b32 v[32:33], s[26:27], s[26:27] op_sel:[0,1]
	v_cmp_gt_i64_e32 vcc, s[36:37], v[2:3]
	v_pk_mov_b32 v[30:31], s[24:25], s[24:25] op_sel:[0,1]
	v_pk_mov_b32 v[28:29], s[22:23], s[22:23] op_sel:[0,1]
	;; [unrolled: 1-line block ×8, first 2 shown]
	s_and_b64 s[48:49], s[2:3], vcc
	v_pk_mov_b32 v[46:47], v[30:31], v[30:31] op_sel:[0,1]
	v_pk_mov_b32 v[44:45], v[28:29], v[28:29] op_sel:[0,1]
	;; [unrolled: 1-line block ×7, first 2 shown]
	s_and_saveexec_b64 s[8:9], s[48:49]
	s_cbranch_execz .LBB126_10
; %bb.9:                                ;   in Loop: Header=BB126_3 Depth=1
	v_add_co_u32_e32 v2, vcc, v82, v52
	v_addc_co_u32_e32 v3, vcc, v79, v53, vcc
	v_add_co_u32_e32 v6, vcc, v84, v52
	global_load_dwordx2 v[2:3], v[2:3], off
	v_addc_co_u32_e32 v7, vcc, v81, v53, vcc
	global_load_dwordx2 v[18:19], v[6:7], off
	v_mov_b32_e32 v16, v4
	v_mov_b32_e32 v17, v4
	;; [unrolled: 1-line block ×13, first 2 shown]
	s_waitcnt vmcnt(1)
	v_pk_mov_b32 v[48:49], v[16:17], v[16:17] op_sel:[0,1]
	v_mov_b32_e32 v20, v4
	v_mov_b32_e32 v21, v4
	;; [unrolled: 1-line block ×14, first 2 shown]
	v_pk_mov_b32 v[46:47], v[14:15], v[14:15] op_sel:[0,1]
	v_pk_mov_b32 v[44:45], v[12:13], v[12:13] op_sel:[0,1]
	v_pk_mov_b32 v[42:43], v[10:11], v[10:11] op_sel:[0,1]
	v_pk_mov_b32 v[40:41], v[8:9], v[8:9] op_sel:[0,1]
	v_pk_mov_b32 v[38:39], v[6:7], v[6:7] op_sel:[0,1]
	v_pk_mov_b32 v[36:37], v[4:5], v[4:5] op_sel:[0,1]
	v_pk_mov_b32 v[34:35], v[2:3], v[2:3] op_sel:[0,1]
.LBB126_10:                             ;   in Loop: Header=BB126_3 Depth=1
	s_or_b64 exec, exec, s[8:9]
	v_add_co_u32_e32 v2, vcc, 0xffffff82, v91
	v_addc_co_u32_e32 v3, vcc, -1, v92, vcc
	v_cmp_gt_i64_e32 vcc, s[36:37], v[2:3]
	s_and_b64 s[14:15], s[2:3], vcc
	s_and_saveexec_b64 s[8:9], s[14:15]
	s_cbranch_execz .LBB126_12
; %bb.11:                               ;   in Loop: Header=BB126_3 Depth=1
	v_add_co_u32_e32 v2, vcc, v78, v52
	v_addc_co_u32_e32 v3, vcc, v75, v53, vcc
	global_load_dwordx2 v[36:37], v[2:3], off
	v_add_co_u32_e32 v2, vcc, v80, v52
	v_addc_co_u32_e32 v3, vcc, v77, v53, vcc
	global_load_dwordx2 v[20:21], v[2:3], off
.LBB126_12:                             ;   in Loop: Header=BB126_3 Depth=1
	s_or_b64 exec, exec, s[8:9]
	v_add_co_u32_e32 v2, vcc, 0xffffff83, v91
	v_addc_co_u32_e32 v3, vcc, -1, v92, vcc
	v_cmp_gt_i64_e32 vcc, s[36:37], v[2:3]
	s_and_b64 s[14:15], s[2:3], vcc
	s_and_saveexec_b64 s[8:9], s[14:15]
	s_cbranch_execz .LBB126_14
; %bb.13:                               ;   in Loop: Header=BB126_3 Depth=1
	v_add_co_u32_e32 v2, vcc, v74, v52
	v_addc_co_u32_e32 v3, vcc, v71, v53, vcc
	global_load_dwordx2 v[38:39], v[2:3], off
	v_add_co_u32_e32 v2, vcc, v76, v52
	v_addc_co_u32_e32 v3, vcc, v73, v53, vcc
	global_load_dwordx2 v[22:23], v[2:3], off
.LBB126_14:                             ;   in Loop: Header=BB126_3 Depth=1
	;; [unrolled: 15-line block ×7, first 2 shown]
	s_or_b64 exec, exec, s[8:9]
	s_waitcnt vmcnt(0)
	ds_bpermute_b32 v2, v90, v88
	ds_bpermute_b32 v3, v90, v89
	ds_bpermute_b32 v6, v90, v88 offset:4
	ds_bpermute_b32 v7, v90, v89 offset:4
	v_mul_f64 v[8:9], v[18:19], v[34:35]
	ds_bpermute_b32 v10, v90, v88 offset:12
	s_waitcnt lgkmcnt(3)
	v_fma_f64 v[2:3], v[8:9], v[2:3], v[86:87]
	v_mul_f64 v[8:9], v[20:21], v[36:37]
	s_waitcnt lgkmcnt(1)
	v_fmac_f64_e32 v[2:3], v[8:9], v[6:7]
	ds_bpermute_b32 v6, v90, v88 offset:8
	ds_bpermute_b32 v7, v90, v89 offset:8
	;; [unrolled: 1-line block ×5, first 2 shown]
	v_mul_f64 v[8:9], v[22:23], v[38:39]
	s_waitcnt lgkmcnt(3)
	v_fmac_f64_e32 v[2:3], v[8:9], v[6:7]
	v_mul_f64 v[6:7], v[24:25], v[40:41]
	s_waitcnt lgkmcnt(2)
	v_fmac_f64_e32 v[2:3], v[6:7], v[10:11]
	v_mul_f64 v[6:7], v[26:27], v[42:43]
	ds_bpermute_b32 v8, v90, v88 offset:20
	ds_bpermute_b32 v9, v90, v89 offset:20
	s_waitcnt lgkmcnt(2)
	v_fmac_f64_e32 v[2:3], v[6:7], v[12:13]
	ds_bpermute_b32 v12, v90, v88 offset:24
	ds_bpermute_b32 v13, v90, v89 offset:24
	;; [unrolled: 1-line block ×4, first 2 shown]
	v_mul_f64 v[10:11], v[28:29], v[44:45]
	s_waitcnt lgkmcnt(4)
	v_fmac_f64_e32 v[2:3], v[10:11], v[8:9]
	v_mul_f64 v[8:9], v[30:31], v[46:47]
	s_waitcnt lgkmcnt(2)
	v_fmac_f64_e32 v[2:3], v[8:9], v[12:13]
	s_branch .LBB126_40
.LBB126_25:                             ;   in Loop: Header=BB126_3 Depth=1
                                        ; implicit-def: $vgpr2_vgpr3
                                        ; implicit-def: $vgpr18_vgpr19_vgpr20_vgpr21_vgpr22_vgpr23_vgpr24_vgpr25_vgpr26_vgpr27_vgpr28_vgpr29_vgpr30_vgpr31_vgpr32_vgpr33
                                        ; implicit-def: $vgpr34_vgpr35_vgpr36_vgpr37_vgpr38_vgpr39_vgpr40_vgpr41_vgpr42_vgpr43_vgpr44_vgpr45_vgpr46_vgpr47_vgpr48_vgpr49
                                        ; implicit-def: $vgpr6
	s_cbranch_execz .LBB126_40
; %bb.26:                               ;   in Loop: Header=BB126_3 Depth=1
	s_load_dword s8, s[10:11], 0x0
	v_pk_mov_b32 v[88:89], 0, 0
	s_waitcnt lgkmcnt(0)
	s_cmp_lt_u32 s6, s8
	s_cselect_b32 s8, 12, 18
	s_add_u32 s8, s10, s8
	s_addc_u32 s9, s11, 0
	global_load_ushort v2, v4, s[8:9]
	s_waitcnt vmcnt(0)
	v_mad_u32_u24 v2, v85, v2, v83
	v_and_b32_e32 v2, 63, v2
	v_cmp_gt_u32_e32 vcc, 8, v2
	s_and_saveexec_b64 s[8:9], vcc
	s_cbranch_execz .LBB126_30
; %bb.27:                               ;   in Loop: Header=BB126_3 Depth=1
	v_add_co_u32_e32 v2, vcc, v91, v2
	v_addc_co_u32_e32 v3, vcc, 0, v92, vcc
	v_add_co_u32_e32 v2, vcc, 0xffffff81, v2
	v_addc_co_u32_e32 v3, vcc, -1, v3, vcc
	v_cmp_gt_i64_e32 vcc, s[36:37], v[2:3]
	v_pk_mov_b32 v[88:89], 0, 0
	s_and_saveexec_b64 s[14:15], vcc
	s_cbranch_execz .LBB126_29
; %bb.28:                               ;   in Loop: Header=BB126_3 Depth=1
	v_lshlrev_b64 v[2:3], 3, v[2:3]
	v_mov_b32_e32 v5, s29
	v_add_co_u32_e32 v2, vcc, s28, v2
	v_addc_co_u32_e32 v3, vcc, v5, v3, vcc
	global_load_dwordx2 v[88:89], v[2:3], off
.LBB126_29:                             ;   in Loop: Header=BB126_3 Depth=1
	s_or_b64 exec, exec, s[14:15]
.LBB126_30:                             ;   in Loop: Header=BB126_3 Depth=1
	s_or_b64 exec, exec, s[8:9]
	s_mov_b32 s26, s12
	s_mov_b32 s27, s12
	;; [unrolled: 1-line block ×15, first 2 shown]
	v_pk_mov_b32 v[32:33], s[26:27], s[26:27] op_sel:[0,1]
	v_pk_mov_b32 v[30:31], s[24:25], s[24:25] op_sel:[0,1]
	;; [unrolled: 1-line block ×16, first 2 shown]
	s_and_saveexec_b64 s[8:9], s[2:3]
	s_cbranch_execnz .LBB126_42
; %bb.31:                               ;   in Loop: Header=BB126_3 Depth=1
	s_or_b64 exec, exec, s[8:9]
	s_and_saveexec_b64 s[8:9], s[2:3]
	s_cbranch_execnz .LBB126_43
.LBB126_32:                             ;   in Loop: Header=BB126_3 Depth=1
	s_or_b64 exec, exec, s[8:9]
	s_and_saveexec_b64 s[8:9], s[2:3]
	s_cbranch_execnz .LBB126_44
.LBB126_33:                             ;   in Loop: Header=BB126_3 Depth=1
	s_or_b64 exec, exec, s[8:9]
	s_and_saveexec_b64 s[8:9], s[2:3]
	s_cbranch_execnz .LBB126_45
.LBB126_34:                             ;   in Loop: Header=BB126_3 Depth=1
	s_or_b64 exec, exec, s[8:9]
	s_and_saveexec_b64 s[8:9], s[2:3]
	s_cbranch_execnz .LBB126_46
.LBB126_35:                             ;   in Loop: Header=BB126_3 Depth=1
	s_or_b64 exec, exec, s[8:9]
	s_and_saveexec_b64 s[8:9], s[2:3]
	s_cbranch_execnz .LBB126_47
.LBB126_36:                             ;   in Loop: Header=BB126_3 Depth=1
	s_or_b64 exec, exec, s[8:9]
	s_and_saveexec_b64 s[8:9], s[2:3]
	s_cbranch_execnz .LBB126_48
.LBB126_37:                             ;   in Loop: Header=BB126_3 Depth=1
	s_or_b64 exec, exec, s[8:9]
	s_and_saveexec_b64 s[8:9], s[2:3]
	s_cbranch_execz .LBB126_39
.LBB126_38:                             ;   in Loop: Header=BB126_3 Depth=1
	v_add_co_u32_e32 v2, vcc, v54, v52
	v_addc_co_u32_e32 v3, vcc, v1, v53, vcc
	global_load_dwordx2 v[48:49], v[2:3], off
	v_add_co_u32_e32 v2, vcc, v56, v52
	v_addc_co_u32_e32 v3, vcc, v51, v53, vcc
	global_load_dwordx2 v[32:33], v[2:3], off
.LBB126_39:                             ;   in Loop: Header=BB126_3 Depth=1
	s_or_b64 exec, exec, s[8:9]
	s_waitcnt vmcnt(0)
	ds_bpermute_b32 v2, v90, v88
	ds_bpermute_b32 v3, v90, v89
	ds_bpermute_b32 v6, v90, v88 offset:4
	ds_bpermute_b32 v7, v90, v89 offset:4
	v_mul_f64 v[8:9], v[18:19], v[34:35]
	ds_bpermute_b32 v10, v90, v88 offset:16
	s_waitcnt lgkmcnt(3)
	v_fmac_f64_e32 v[86:87], v[8:9], v[2:3]
	v_mul_f64 v[2:3], v[20:21], v[36:37]
	s_waitcnt lgkmcnt(1)
	v_fmac_f64_e32 v[86:87], v[2:3], v[6:7]
	ds_bpermute_b32 v2, v90, v88 offset:8
	ds_bpermute_b32 v3, v90, v89 offset:8
	;; [unrolled: 1-line block ×5, first 2 shown]
	v_mul_f64 v[6:7], v[22:23], v[38:39]
	s_waitcnt lgkmcnt(3)
	v_fmac_f64_e32 v[86:87], v[6:7], v[2:3]
	v_mul_f64 v[2:3], v[24:25], v[40:41]
	s_waitcnt lgkmcnt(1)
	v_fmac_f64_e32 v[86:87], v[2:3], v[8:9]
	;; [unrolled: 3-line block ×3, first 2 shown]
	ds_bpermute_b32 v2, v90, v88 offset:20
	ds_bpermute_b32 v3, v90, v89 offset:20
	;; [unrolled: 1-line block ×4, first 2 shown]
	v_mul_f64 v[8:9], v[28:29], v[44:45]
	ds_bpermute_b32 v6, v90, v88 offset:28
	s_waitcnt lgkmcnt(3)
	v_fmac_f64_e32 v[86:87], v[8:9], v[2:3]
	v_mul_f64 v[2:3], v[30:31], v[46:47]
	s_waitcnt lgkmcnt(1)
	v_fmac_f64_e32 v[86:87], v[2:3], v[10:11]
	ds_bpermute_b32 v7, v90, v89 offset:28
	v_pk_mov_b32 v[2:3], v[86:87], v[86:87] op_sel:[0,1]
.LBB126_40:                             ;   in Loop: Header=BB126_3 Depth=1
	v_mov_b32_e32 v5, s35
	v_add_co_u32_e32 v54, vcc, s34, v54
	v_addc_co_u32_e32 v1, vcc, v1, v5, vcc
	v_add_co_u32_e32 v56, vcc, s34, v56
	v_addc_co_u32_e32 v51, vcc, v51, v5, vcc
	;; [unrolled: 2-line block ×15, first 2 shown]
	v_mul_f64 v[8:9], v[48:49], v[32:33]
	s_add_u32 s46, s46, s7
	v_add_co_u32_e32 v84, vcc, s34, v84
	s_waitcnt lgkmcnt(0)
	v_fmac_f64_e32 v[2:3], v[8:9], v[6:7]
	s_addc_u32 s47, s47, 0
	v_addc_co_u32_e32 v81, vcc, v81, v5, vcc
	v_pk_mov_b32 v[6:7], s[36:37], s[36:37] op_sel:[0,1]
	s_add_u32 s44, s44, s7
	v_cmp_lt_i64_e32 vcc, s[46:47], v[6:7]
	s_addc_u32 s45, s45, 0
	s_cbranch_vccz .LBB126_50
; %bb.41:                               ;   in Loop: Header=BB126_3 Depth=1
	v_pk_mov_b32 v[86:87], v[2:3], v[2:3] op_sel:[0,1]
	s_branch .LBB126_3
.LBB126_42:                             ;   in Loop: Header=BB126_3 Depth=1
	v_add_co_u32_e32 v2, vcc, v82, v52
	v_addc_co_u32_e32 v3, vcc, v79, v53, vcc
	v_add_co_u32_e32 v6, vcc, v84, v52
	global_load_dwordx2 v[2:3], v[2:3], off
	v_addc_co_u32_e32 v7, vcc, v81, v53, vcc
	global_load_dwordx2 v[18:19], v[6:7], off
	v_mov_b32_e32 v16, v4
	v_mov_b32_e32 v17, v4
	;; [unrolled: 1-line block ×13, first 2 shown]
	s_waitcnt vmcnt(1)
	v_pk_mov_b32 v[48:49], v[16:17], v[16:17] op_sel:[0,1]
	v_mov_b32_e32 v20, v4
	v_mov_b32_e32 v21, v4
	;; [unrolled: 1-line block ×14, first 2 shown]
	v_pk_mov_b32 v[46:47], v[14:15], v[14:15] op_sel:[0,1]
	v_pk_mov_b32 v[44:45], v[12:13], v[12:13] op_sel:[0,1]
	;; [unrolled: 1-line block ×7, first 2 shown]
	s_or_b64 exec, exec, s[8:9]
	s_and_saveexec_b64 s[8:9], s[2:3]
	s_cbranch_execz .LBB126_32
.LBB126_43:                             ;   in Loop: Header=BB126_3 Depth=1
	v_add_co_u32_e32 v2, vcc, v78, v52
	v_addc_co_u32_e32 v3, vcc, v75, v53, vcc
	global_load_dwordx2 v[36:37], v[2:3], off
	v_add_co_u32_e32 v2, vcc, v80, v52
	v_addc_co_u32_e32 v3, vcc, v77, v53, vcc
	global_load_dwordx2 v[20:21], v[2:3], off
	s_or_b64 exec, exec, s[8:9]
	s_and_saveexec_b64 s[8:9], s[2:3]
	s_cbranch_execz .LBB126_33
.LBB126_44:                             ;   in Loop: Header=BB126_3 Depth=1
	v_add_co_u32_e32 v2, vcc, v74, v52
	v_addc_co_u32_e32 v3, vcc, v71, v53, vcc
	global_load_dwordx2 v[38:39], v[2:3], off
	v_add_co_u32_e32 v2, vcc, v76, v52
	v_addc_co_u32_e32 v3, vcc, v73, v53, vcc
	global_load_dwordx2 v[22:23], v[2:3], off
	s_or_b64 exec, exec, s[8:9]
	s_and_saveexec_b64 s[8:9], s[2:3]
	s_cbranch_execz .LBB126_34
.LBB126_45:                             ;   in Loop: Header=BB126_3 Depth=1
	v_add_co_u32_e32 v2, vcc, v70, v52
	v_addc_co_u32_e32 v3, vcc, v67, v53, vcc
	global_load_dwordx2 v[40:41], v[2:3], off
	v_add_co_u32_e32 v2, vcc, v72, v52
	v_addc_co_u32_e32 v3, vcc, v69, v53, vcc
	global_load_dwordx2 v[24:25], v[2:3], off
	s_or_b64 exec, exec, s[8:9]
	s_and_saveexec_b64 s[8:9], s[2:3]
	s_cbranch_execz .LBB126_35
.LBB126_46:                             ;   in Loop: Header=BB126_3 Depth=1
	v_add_co_u32_e32 v2, vcc, v66, v52
	v_addc_co_u32_e32 v3, vcc, v63, v53, vcc
	global_load_dwordx2 v[42:43], v[2:3], off
	v_add_co_u32_e32 v2, vcc, v68, v52
	v_addc_co_u32_e32 v3, vcc, v65, v53, vcc
	global_load_dwordx2 v[26:27], v[2:3], off
	s_or_b64 exec, exec, s[8:9]
	s_and_saveexec_b64 s[8:9], s[2:3]
	s_cbranch_execz .LBB126_36
.LBB126_47:                             ;   in Loop: Header=BB126_3 Depth=1
	v_add_co_u32_e32 v2, vcc, v62, v52
	v_addc_co_u32_e32 v3, vcc, v59, v53, vcc
	global_load_dwordx2 v[44:45], v[2:3], off
	v_add_co_u32_e32 v2, vcc, v64, v52
	v_addc_co_u32_e32 v3, vcc, v61, v53, vcc
	global_load_dwordx2 v[28:29], v[2:3], off
	s_or_b64 exec, exec, s[8:9]
	s_and_saveexec_b64 s[8:9], s[2:3]
	s_cbranch_execz .LBB126_37
.LBB126_48:                             ;   in Loop: Header=BB126_3 Depth=1
	v_add_co_u32_e32 v2, vcc, v58, v52
	v_addc_co_u32_e32 v3, vcc, v55, v53, vcc
	global_load_dwordx2 v[46:47], v[2:3], off
	v_add_co_u32_e32 v2, vcc, v60, v52
	v_addc_co_u32_e32 v3, vcc, v57, v53, vcc
	global_load_dwordx2 v[30:31], v[2:3], off
	s_or_b64 exec, exec, s[8:9]
	s_and_saveexec_b64 s[8:9], s[2:3]
	s_cbranch_execnz .LBB126_38
	s_branch .LBB126_39
.LBB126_49:
                                        ; implicit-def: $vgpr2_vgpr3
	s_branch .LBB126_51
.LBB126_50:
	s_cbranch_execnz .LBB126_83
.LBB126_51:
	s_and_b64 vcc, exec, s[0:1]
	v_pk_mov_b32 v[2:3], 0, 0
	s_cbranch_vccnz .LBB126_83
; %bb.52:
	s_load_dword s0, s[4:5], 0x44
	s_add_u32 s2, s4, 64
	s_addc_u32 s3, s5, 0
	v_bfe_u32 v109, v0, 10, 10
	v_lshlrev_b32_e32 v1, 6, v109
	s_waitcnt lgkmcnt(0)
	s_lshl_b32 s7, s0, 7
	s_add_u32 s24, s30, 0x7f
	s_addc_u32 s25, 0, 0
	s_lshl_b64 s[0:1], s[30:31], 3
	v_mov_b32_e32 v2, s1
	v_add_co_u32_e32 v1, vcc, s0, v1
	v_addc_co_u32_e32 v4, vcc, 0, v2, vcc
	v_add_co_u32_e32 v6, vcc, 8, v1
	v_addc_co_u32_e32 v5, vcc, 0, v4, vcc
	v_add_co_u32_e32 v9, vcc, 16, v1
	v_mul_lo_u32 v7, s38, v5
	v_addc_co_u32_e32 v5, vcc, 0, v4, vcc
	v_add_co_u32_e32 v12, vcc, 24, v1
	v_mul_lo_u32 v10, s38, v5
	;; [unrolled: 3-line block ×5, first 2 shown]
	v_addc_co_u32_e32 v5, vcc, 0, v4, vcc
	v_add_co_u32_e32 v24, vcc, 56, v1
	v_lshlrev_b32_e32 v50, 3, v109
	v_addc_co_u32_e32 v1, vcc, 0, v4, vcc
	v_mul_lo_u32 v25, s38, v1
	v_mov_b32_e32 v1, s31
	v_add_co_u32_e32 v27, vcc, s30, v50
	v_pk_mov_b32 v[2:3], s[40:41], s[40:41] op_sel:[0,1]
	v_addc_co_u32_e32 v28, vcc, 0, v1, vcc
	v_mad_u64_u32 v[52:53], s[0:1], s38, v6, v[2:3]
	v_mad_u64_u32 v[54:55], s[0:1], s38, v9, v[2:3]
	;; [unrolled: 1-line block ×7, first 2 shown]
	v_mul_lo_u32 v29, s39, v27
	v_mul_lo_u32 v30, s38, v28
	v_mad_u64_u32 v[2:3], s[0:1], s38, v27, 0
	v_add3_u32 v3, v3, v30, v29
	v_lshlrev_b64 v[2:3], 3, v[2:3]
	v_mul_lo_u32 v22, s38, v5
	v_mov_b32_e32 v31, s41
	v_add_co_u32_e32 v66, vcc, s40, v2
	v_pk_mov_b32 v[4:5], s[42:43], s[42:43] op_sel:[0,1]
	v_mul_lo_u32 v17, s39, v15
	v_addc_co_u32_e32 v1, vcc, v31, v3, vcc
	v_mad_u64_u32 v[74:75], s[0:1], s38, v15, v[4:5]
	v_add3_u32 v59, v17, v59, v16
	v_add3_u32 v75, v17, v75, v16
	v_mov_b32_e32 v16, s43
	v_add_co_u32_e32 v82, vcc, s42, v2
	v_addc_co_u32_e32 v51, vcc, v16, v3, vcc
	v_add_co_u32_e32 v2, vcc, 7, v27
	v_addc_co_u32_e32 v3, vcc, 0, v28, vcc
	v_mad_u64_u32 v[68:69], s[0:1], s38, v6, v[4:5]
	v_mad_u64_u32 v[70:71], s[0:1], s38, v9, v[4:5]
	;; [unrolled: 1-line block ×6, first 2 shown]
	v_mul_lo_u32 v4, s39, v2
	v_mul_lo_u32 v5, s38, v3
	v_mad_u64_u32 v[2:3], s[0:1], s38, v2, 0
	v_add3_u32 v3, v3, v5, v4
	v_add_co_u32_e32 v4, vcc, 6, v27
	v_mul_lo_u32 v8, s39, v6
	v_addc_co_u32_e32 v5, vcc, 0, v28, vcc
	v_add3_u32 v53, v8, v53, v7
	v_add3_u32 v69, v8, v69, v7
	v_mul_lo_u32 v6, s39, v4
	v_mul_lo_u32 v7, s38, v5
	v_mad_u64_u32 v[4:5], s[0:1], s38, v4, 0
	v_add3_u32 v5, v5, v7, v6
	v_add_co_u32_e32 v6, vcc, 5, v27
	v_addc_co_u32_e32 v7, vcc, 0, v28, vcc
	v_mul_lo_u32 v11, s39, v9
	v_mul_lo_u32 v8, s39, v6
	;; [unrolled: 1-line block ×3, first 2 shown]
	v_mad_u64_u32 v[6:7], s[0:1], s38, v6, 0
	v_add3_u32 v7, v7, v9, v8
	v_add_co_u32_e32 v8, vcc, 4, v27
	v_addc_co_u32_e32 v9, vcc, 0, v28, vcc
	v_add3_u32 v55, v11, v55, v10
	v_add3_u32 v71, v11, v71, v10
	v_mul_lo_u32 v10, s39, v8
	v_mul_lo_u32 v11, s38, v9
	v_mad_u64_u32 v[8:9], s[0:1], s38, v8, 0
	v_add3_u32 v9, v9, v11, v10
	v_add_co_u32_e32 v10, vcc, 3, v27
	v_mul_lo_u32 v14, s39, v12
	v_addc_co_u32_e32 v11, vcc, 0, v28, vcc
	v_add3_u32 v57, v14, v57, v13
	v_add3_u32 v73, v14, v73, v13
	v_mul_lo_u32 v12, s39, v10
	v_mul_lo_u32 v13, s38, v11
	v_mad_u64_u32 v[10:11], s[0:1], s38, v10, 0
	v_add3_u32 v11, v11, v13, v12
	v_add_co_u32_e32 v12, vcc, 2, v27
	v_lshlrev_b64 v[2:3], 3, v[2:3]
	v_addc_co_u32_e32 v13, vcc, 0, v28, vcc
	v_add_co_u32_e32 v84, vcc, s40, v2
	v_addc_co_u32_e32 v67, vcc, v31, v3, vcc
	v_add_co_u32_e32 v86, vcc, s42, v2
	v_addc_co_u32_e32 v83, vcc, v16, v3, vcc
	v_lshlrev_b64 v[2:3], 3, v[4:5]
	v_add_co_u32_e32 v88, vcc, s40, v2
	v_addc_co_u32_e32 v85, vcc, v31, v3, vcc
	v_add_co_u32_e32 v90, vcc, s42, v2
	v_addc_co_u32_e32 v87, vcc, v16, v3, vcc
	v_lshlrev_b64 v[2:3], 3, v[6:7]
	v_add_co_u32_e32 v92, vcc, s40, v2
	v_addc_co_u32_e32 v89, vcc, v31, v3, vcc
	v_add_co_u32_e32 v94, vcc, s42, v2
	v_addc_co_u32_e32 v91, vcc, v16, v3, vcc
	v_lshlrev_b64 v[2:3], 3, v[8:9]
	v_add_co_u32_e32 v96, vcc, s40, v2
	v_addc_co_u32_e32 v93, vcc, v31, v3, vcc
	v_add_co_u32_e32 v98, vcc, s42, v2
	v_addc_co_u32_e32 v95, vcc, v16, v3, vcc
	v_lshlrev_b64 v[2:3], 3, v[10:11]
	v_add_co_u32_e32 v100, vcc, s40, v2
	v_mul_lo_u32 v14, s39, v12
	v_mul_lo_u32 v15, s38, v13
	v_mad_u64_u32 v[12:13], s[0:1], s38, v12, 0
	v_addc_co_u32_e32 v97, vcc, v31, v3, vcc
	v_add3_u32 v13, v13, v15, v14
	v_add_co_u32_e32 v102, vcc, s42, v2
	v_addc_co_u32_e32 v99, vcc, v16, v3, vcc
	v_lshlrev_b64 v[2:3], 3, v[12:13]
	v_pk_mov_b32 v[14:15], s[38:39], s[38:39] op_sel:[0,1]
	v_add_co_u32_e32 v104, vcc, s40, v2
	v_mad_u64_u32 v[14:15], s[0:1], s38, v27, v[14:15]
	v_addc_co_u32_e32 v101, vcc, v31, v3, vcc
	v_add3_u32 v15, v29, v15, v30
	v_add_co_u32_e32 v106, vcc, s42, v2
	v_addc_co_u32_e32 v103, vcc, v16, v3, vcc
	v_lshlrev_b64 v[2:3], 3, v[14:15]
	v_add_co_u32_e32 v108, vcc, s40, v2
	v_addc_co_u32_e32 v105, vcc, v31, v3, vcc
	v_add_co_u32_e32 v110, vcc, s42, v2
	v_and_b32_e32 v111, 0x3ff, v0
	v_mov_b32_e32 v4, 0
	v_addc_co_u32_e32 v107, vcc, v16, v3, vcc
	v_add_u32_e32 v2, s33, v111
	v_mov_b32_e32 v3, v4
	v_lshlrev_b64 v[112:113], 3, v[2:3]
	v_mbcnt_lo_u32_b32 v2, -1, 0
	s_mul_i32 s0, s39, s7
	s_mul_hi_u32 s1, s38, s7
	v_mbcnt_hi_u32_b32 v2, -1, v2
	v_mul_lo_u32 v20, s39, v18
	v_mul_lo_u32 v23, s39, v21
	;; [unrolled: 1-line block ×3, first 2 shown]
	s_add_i32 s1, s1, s0
	s_mul_i32 s0, s38, s7
	v_lshlrev_b32_e32 v2, 2, v2
	v_add3_u32 v61, v20, v61, v19
	v_add3_u32 v63, v23, v63, v22
	;; [unrolled: 1-line block ×6, first 2 shown]
	s_mov_b32 s8, 0
	s_lshl_b64 s[26:27], s[0:1], 3
	v_and_b32_e32 v118, 0x100, v2
	v_pk_mov_b32 v[114:115], 0, 0
.LBB126_53:                             ; =>This Inner Loop Header: Depth=1
	v_pk_mov_b32 v[2:3], s[36:37], s[36:37] op_sel:[0,1]
	v_cmp_ge_i64_e32 vcc, s[24:25], v[2:3]
	v_mov_b32_e32 v2, s25
	v_add_co_u32_e64 v119, s[0:1], s24, v50
	v_addc_co_u32_e64 v120, s[0:1], 0, v2, s[0:1]
	s_cbranch_vccz .LBB126_75
; %bb.54:                               ;   in Loop: Header=BB126_53 Depth=1
	s_load_dword s0, s[2:3], 0xc
	v_pk_mov_b32 v[116:117], 0, 0
	s_waitcnt lgkmcnt(0)
	s_and_b32 s0, s0, 0xffff
	v_mad_u32_u24 v2, v109, s0, v111
	v_and_b32_e32 v2, 63, v2
	v_cmp_gt_u32_e32 vcc, 8, v2
	s_and_saveexec_b64 s[0:1], vcc
	s_cbranch_execz .LBB126_58
; %bb.55:                               ;   in Loop: Header=BB126_53 Depth=1
	v_add_co_u32_e32 v2, vcc, v119, v2
	v_addc_co_u32_e32 v3, vcc, 0, v120, vcc
	v_add_co_u32_e32 v2, vcc, 0xffffff81, v2
	v_addc_co_u32_e32 v3, vcc, -1, v3, vcc
	v_cmp_gt_i64_e32 vcc, s[36:37], v[2:3]
	v_pk_mov_b32 v[116:117], 0, 0
	s_and_saveexec_b64 s[10:11], vcc
	s_cbranch_execz .LBB126_57
; %bb.56:                               ;   in Loop: Header=BB126_53 Depth=1
	v_lshlrev_b64 v[2:3], 3, v[2:3]
	v_mov_b32_e32 v5, s29
	v_add_co_u32_e32 v2, vcc, s28, v2
	v_addc_co_u32_e32 v3, vcc, v5, v3, vcc
	global_load_dwordx2 v[116:117], v[2:3], off
.LBB126_57:                             ;   in Loop: Header=BB126_53 Depth=1
	s_or_b64 exec, exec, s[10:11]
.LBB126_58:                             ;   in Loop: Header=BB126_53 Depth=1
	s_or_b64 exec, exec, s[0:1]
	s_mov_b32 s22, s8
	s_mov_b32 s23, s8
	v_add_co_u32_e32 v2, vcc, 0xffffff81, v119
	s_mov_b32 s9, s8
	s_mov_b32 s10, s8
	;; [unrolled: 1-line block ×13, first 2 shown]
	v_pk_mov_b32 v[32:33], s[22:23], s[22:23] op_sel:[0,1]
	v_addc_co_u32_e32 v3, vcc, -1, v120, vcc
	v_pk_mov_b32 v[30:31], s[20:21], s[20:21] op_sel:[0,1]
	v_pk_mov_b32 v[28:29], s[18:19], s[18:19] op_sel:[0,1]
	;; [unrolled: 1-line block ×8, first 2 shown]
	v_cmp_gt_i64_e32 vcc, s[36:37], v[2:3]
	v_pk_mov_b32 v[46:47], v[30:31], v[30:31] op_sel:[0,1]
	v_pk_mov_b32 v[44:45], v[28:29], v[28:29] op_sel:[0,1]
	v_pk_mov_b32 v[42:43], v[26:27], v[26:27] op_sel:[0,1]
	v_pk_mov_b32 v[40:41], v[24:25], v[24:25] op_sel:[0,1]
	v_pk_mov_b32 v[38:39], v[22:23], v[22:23] op_sel:[0,1]
	v_pk_mov_b32 v[36:37], v[20:21], v[20:21] op_sel:[0,1]
	v_pk_mov_b32 v[34:35], v[18:19], v[18:19] op_sel:[0,1]
	s_and_saveexec_b64 s[0:1], vcc
	s_cbranch_execz .LBB126_60
; %bb.59:                               ;   in Loop: Header=BB126_53 Depth=1
	v_add_co_u32_e32 v2, vcc, v66, v112
	v_addc_co_u32_e32 v3, vcc, v1, v113, vcc
	v_add_co_u32_e32 v6, vcc, v82, v112
	global_load_dwordx2 v[2:3], v[2:3], off
	v_addc_co_u32_e32 v7, vcc, v51, v113, vcc
	global_load_dwordx2 v[18:19], v[6:7], off
	v_mov_b32_e32 v16, v4
	v_mov_b32_e32 v17, v4
	;; [unrolled: 1-line block ×13, first 2 shown]
	s_waitcnt vmcnt(1)
	v_pk_mov_b32 v[48:49], v[16:17], v[16:17] op_sel:[0,1]
	v_mov_b32_e32 v20, v4
	v_mov_b32_e32 v21, v4
	v_mov_b32_e32 v22, v4
	v_mov_b32_e32 v23, v4
	v_mov_b32_e32 v24, v4
	v_mov_b32_e32 v25, v4
	v_mov_b32_e32 v26, v4
	v_mov_b32_e32 v27, v4
	v_mov_b32_e32 v28, v4
	v_mov_b32_e32 v29, v4
	v_mov_b32_e32 v30, v4
	v_mov_b32_e32 v31, v4
	v_mov_b32_e32 v32, v4
	v_mov_b32_e32 v33, v4
	v_pk_mov_b32 v[46:47], v[14:15], v[14:15] op_sel:[0,1]
	v_pk_mov_b32 v[44:45], v[12:13], v[12:13] op_sel:[0,1]
	;; [unrolled: 1-line block ×7, first 2 shown]
.LBB126_60:                             ;   in Loop: Header=BB126_53 Depth=1
	s_or_b64 exec, exec, s[0:1]
	v_add_co_u32_e32 v2, vcc, 0xffffff82, v119
	v_addc_co_u32_e32 v3, vcc, -1, v120, vcc
	v_cmp_gt_i64_e32 vcc, s[36:37], v[2:3]
	s_and_saveexec_b64 s[0:1], vcc
	s_cbranch_execz .LBB126_62
; %bb.61:                               ;   in Loop: Header=BB126_53 Depth=1
	v_add_co_u32_e32 v2, vcc, v108, v112
	v_addc_co_u32_e32 v3, vcc, v105, v113, vcc
	global_load_dwordx2 v[36:37], v[2:3], off
	v_add_co_u32_e32 v2, vcc, v110, v112
	v_addc_co_u32_e32 v3, vcc, v107, v113, vcc
	global_load_dwordx2 v[20:21], v[2:3], off
.LBB126_62:                             ;   in Loop: Header=BB126_53 Depth=1
	s_or_b64 exec, exec, s[0:1]
	v_add_co_u32_e32 v2, vcc, 0xffffff83, v119
	v_addc_co_u32_e32 v3, vcc, -1, v120, vcc
	v_cmp_gt_i64_e32 vcc, s[36:37], v[2:3]
	s_and_saveexec_b64 s[0:1], vcc
	s_cbranch_execz .LBB126_64
; %bb.63:                               ;   in Loop: Header=BB126_53 Depth=1
	v_add_co_u32_e32 v2, vcc, v104, v112
	v_addc_co_u32_e32 v3, vcc, v101, v113, vcc
	global_load_dwordx2 v[38:39], v[2:3], off
	v_add_co_u32_e32 v2, vcc, v106, v112
	v_addc_co_u32_e32 v3, vcc, v103, v113, vcc
	global_load_dwordx2 v[22:23], v[2:3], off
.LBB126_64:                             ;   in Loop: Header=BB126_53 Depth=1
	;; [unrolled: 14-line block ×7, first 2 shown]
	s_or_b64 exec, exec, s[0:1]
	s_waitcnt vmcnt(0)
	ds_bpermute_b32 v2, v118, v116
	ds_bpermute_b32 v3, v118, v117
	ds_bpermute_b32 v6, v118, v116 offset:4
	ds_bpermute_b32 v7, v118, v117 offset:4
	v_mul_f64 v[8:9], v[18:19], v[34:35]
	ds_bpermute_b32 v10, v118, v116 offset:12
	s_waitcnt lgkmcnt(3)
	v_fma_f64 v[2:3], v[8:9], v[2:3], v[114:115]
	v_mul_f64 v[8:9], v[20:21], v[36:37]
	s_waitcnt lgkmcnt(1)
	v_fmac_f64_e32 v[2:3], v[8:9], v[6:7]
	ds_bpermute_b32 v6, v118, v116 offset:8
	ds_bpermute_b32 v7, v118, v117 offset:8
	;; [unrolled: 1-line block ×5, first 2 shown]
	v_mul_f64 v[8:9], v[22:23], v[38:39]
	s_waitcnt lgkmcnt(3)
	v_fmac_f64_e32 v[2:3], v[8:9], v[6:7]
	v_mul_f64 v[6:7], v[24:25], v[40:41]
	s_waitcnt lgkmcnt(2)
	v_fmac_f64_e32 v[2:3], v[6:7], v[10:11]
	;; [unrolled: 3-line block ×3, first 2 shown]
	ds_bpermute_b32 v6, v118, v116 offset:20
	ds_bpermute_b32 v7, v118, v117 offset:20
	;; [unrolled: 1-line block ×6, first 2 shown]
	v_mul_f64 v[8:9], v[28:29], v[44:45]
	s_waitcnt lgkmcnt(4)
	v_fmac_f64_e32 v[2:3], v[8:9], v[6:7]
	v_mul_f64 v[6:7], v[30:31], v[46:47]
	s_waitcnt lgkmcnt(2)
	v_fmac_f64_e32 v[2:3], v[6:7], v[10:11]
	v_mul_f64 v[6:7], v[32:33], v[48:49]
	s_waitcnt lgkmcnt(0)
	v_fmac_f64_e32 v[2:3], v[6:7], v[12:13]
	s_branch .LBB126_81
.LBB126_75:                             ;   in Loop: Header=BB126_53 Depth=1
                                        ; implicit-def: $vgpr2_vgpr3
	s_cbranch_execz .LBB126_81
; %bb.76:                               ;   in Loop: Header=BB126_53 Depth=1
	s_load_dword s0, s[2:3], 0x0
	s_waitcnt lgkmcnt(0)
	s_cmp_lt_u32 s6, s0
	s_cselect_b32 s0, 12, 18
	s_add_u32 s0, s2, s0
	s_addc_u32 s1, s3, 0
	global_load_ushort v2, v4, s[0:1]
	s_waitcnt vmcnt(0)
	v_mad_u32_u24 v2, v109, v2, v111
	v_and_b32_e32 v5, 63, v2
	v_cmp_gt_u32_e32 vcc, 8, v5
	v_pk_mov_b32 v[2:3], 0, 0
	s_and_saveexec_b64 s[0:1], vcc
	s_cbranch_execz .LBB126_80
; %bb.77:                               ;   in Loop: Header=BB126_53 Depth=1
	v_add_co_u32_e32 v2, vcc, v119, v5
	v_addc_co_u32_e32 v3, vcc, 0, v120, vcc
	v_add_co_u32_e32 v6, vcc, 0xffffff81, v2
	v_addc_co_u32_e32 v7, vcc, -1, v3, vcc
	v_cmp_gt_i64_e32 vcc, s[36:37], v[6:7]
	v_pk_mov_b32 v[2:3], 0, 0
	s_and_saveexec_b64 s[10:11], vcc
	s_cbranch_execz .LBB126_79
; %bb.78:                               ;   in Loop: Header=BB126_53 Depth=1
	v_lshlrev_b64 v[2:3], 3, v[6:7]
	v_mov_b32_e32 v5, s29
	v_add_co_u32_e32 v2, vcc, s28, v2
	v_addc_co_u32_e32 v3, vcc, v5, v3, vcc
	global_load_dwordx2 v[2:3], v[2:3], off
.LBB126_79:                             ;   in Loop: Header=BB126_53 Depth=1
	s_or_b64 exec, exec, s[10:11]
.LBB126_80:                             ;   in Loop: Header=BB126_53 Depth=1
	s_or_b64 exec, exec, s[0:1]
	v_add_co_u32_e32 v6, vcc, v66, v112
	v_addc_co_u32_e32 v7, vcc, v1, v113, vcc
	v_add_co_u32_e32 v8, vcc, v82, v112
	v_addc_co_u32_e32 v9, vcc, v51, v113, vcc
	;; [unrolled: 2-line block ×8, first 2 shown]
	v_add_co_u32_e32 v22, vcc, v58, v112
	global_load_dwordx2 v[6:7], v[6:7], off
	v_addc_co_u32_e32 v23, vcc, v59, v113, vcc
	global_load_dwordx2 v[8:9], v[8:9], off
	v_add_co_u32_e32 v24, vcc, v74, v112
	global_load_dwordx2 v[10:11], v[10:11], off
	v_addc_co_u32_e32 v25, vcc, v75, v113, vcc
	global_load_dwordx2 v[12:13], v[12:13], off
	v_add_co_u32_e32 v26, vcc, v60, v112
	v_addc_co_u32_e32 v27, vcc, v61, v113, vcc
	v_add_co_u32_e32 v28, vcc, v76, v112
	global_load_dwordx2 v[14:15], v[14:15], off
	v_addc_co_u32_e32 v29, vcc, v77, v113, vcc
	global_load_dwordx2 v[16:17], v[16:17], off
	v_add_co_u32_e32 v30, vcc, v62, v112
	global_load_dwordx2 v[18:19], v[18:19], off
	v_addc_co_u32_e32 v31, vcc, v63, v113, vcc
	global_load_dwordx2 v[20:21], v[20:21], off
	;; [unrolled: 4-line block ×3, first 2 shown]
	v_add_co_u32_e32 v34, vcc, v64, v112
	v_addc_co_u32_e32 v35, vcc, v65, v113, vcc
	global_load_dwordx2 v[26:27], v[26:27], off
	v_add_co_u32_e32 v36, vcc, v80, v112
	global_load_dwordx2 v[28:29], v[28:29], off
	v_addc_co_u32_e32 v37, vcc, v81, v113, vcc
	global_load_dwordx2 v[30:31], v[30:31], off
	s_waitcnt vmcnt(13)
	ds_bpermute_b32 v38, v118, v2
	global_load_dwordx2 v[32:33], v[32:33], off
	ds_bpermute_b32 v39, v118, v3
	global_load_dwordx2 v[34:35], v[34:35], off
	ds_bpermute_b32 v40, v118, v2 offset:4
	global_load_dwordx2 v[36:37], v[36:37], off
	ds_bpermute_b32 v41, v118, v3 offset:4
	s_waitcnt vmcnt(14)
	v_mul_f64 v[6:7], v[6:7], v[8:9]
	s_waitcnt lgkmcnt(2)
	v_fmac_f64_e32 v[114:115], v[6:7], v[38:39]
	s_waitcnt vmcnt(12)
	v_mul_f64 v[6:7], v[10:11], v[12:13]
	s_waitcnt lgkmcnt(0)
	v_fmac_f64_e32 v[114:115], v[6:7], v[40:41]
	ds_bpermute_b32 v6, v118, v2 offset:8
	ds_bpermute_b32 v7, v118, v3 offset:8
	;; [unrolled: 1-line block ×6, first 2 shown]
	s_waitcnt vmcnt(10)
	v_mul_f64 v[8:9], v[14:15], v[16:17]
	s_waitcnt lgkmcnt(4)
	v_fmac_f64_e32 v[114:115], v[8:9], v[6:7]
	s_waitcnt vmcnt(8)
	v_mul_f64 v[6:7], v[18:19], v[20:21]
	s_waitcnt lgkmcnt(2)
	v_fmac_f64_e32 v[114:115], v[6:7], v[10:11]
	ds_bpermute_b32 v10, v118, v2 offset:24
	ds_bpermute_b32 v11, v118, v3 offset:24
	s_waitcnt vmcnt(6)
	v_mul_f64 v[6:7], v[22:23], v[24:25]
	s_waitcnt lgkmcnt(2)
	v_fmac_f64_e32 v[114:115], v[6:7], v[12:13]
	ds_bpermute_b32 v6, v118, v2 offset:20
	ds_bpermute_b32 v7, v118, v3 offset:20
	;; [unrolled: 1-line block ×4, first 2 shown]
	s_waitcnt vmcnt(4)
	v_mul_f64 v[8:9], v[26:27], v[28:29]
	s_waitcnt lgkmcnt(2)
	v_fmac_f64_e32 v[114:115], v[8:9], v[6:7]
	s_waitcnt vmcnt(2)
	v_mul_f64 v[6:7], v[30:31], v[32:33]
	v_fmac_f64_e32 v[114:115], v[6:7], v[10:11]
	s_waitcnt vmcnt(0)
	v_mul_f64 v[6:7], v[34:35], v[36:37]
	s_waitcnt lgkmcnt(0)
	v_fmac_f64_e32 v[114:115], v[6:7], v[2:3]
	v_pk_mov_b32 v[2:3], v[114:115], v[114:115] op_sel:[0,1]
.LBB126_81:                             ;   in Loop: Header=BB126_53 Depth=1
	v_mov_b32_e32 v5, s27
	v_add_co_u32_e32 v52, vcc, s26, v52
	v_addc_co_u32_e32 v53, vcc, v53, v5, vcc
	v_add_co_u32_e32 v54, vcc, s26, v54
	v_addc_co_u32_e32 v55, vcc, v55, v5, vcc
	;; [unrolled: 2-line block ×29, first 2 shown]
	s_add_u32 s30, s30, s7
	v_add_co_u32_e32 v110, vcc, s26, v110
	s_addc_u32 s31, s31, 0
	v_addc_co_u32_e32 v107, vcc, v107, v5, vcc
	v_pk_mov_b32 v[6:7], s[36:37], s[36:37] op_sel:[0,1]
	s_add_u32 s24, s24, s7
	v_cmp_ge_i64_e32 vcc, s[30:31], v[6:7]
	s_addc_u32 s25, s25, 0
	s_cbranch_vccnz .LBB126_83
; %bb.82:                               ;   in Loop: Header=BB126_53 Depth=1
	v_pk_mov_b32 v[114:115], v[2:3], v[2:3] op_sel:[0,1]
	s_branch .LBB126_53
.LBB126_83:
	v_bfe_u32 v1, v0, 10, 10
	v_and_b32_e32 v4, 0x3ff, v0
	s_movk_i32 s0, 0x41
	v_mad_u32_u24 v0, v1, s0, v4
	v_lshl_add_u32 v0, v0, 3, 0
	ds_write_b64 v0, v[2:3]
	v_mov_b32_e32 v2, 0
	v_mov_b32_e32 v3, v2
	ds_write_b64 v0, v[2:3] offset:8320
	v_lshrrev_b32_e32 v0, 6, v4
	v_add_u32_e32 v2, v0, v1
	s_mov_b32 s7, 0
	v_cmp_gt_u32_e32 vcc, 64, v2
	s_waitcnt lgkmcnt(0)
	s_barrier
	s_and_saveexec_b64 s[0:1], vcc
	s_cbranch_execz .LBB126_90
; %bb.84:
	v_mbcnt_lo_u32_b32 v5, -1, 0
	v_mbcnt_hi_u32_b32 v5, -1, v5
	v_and_b32_e32 v6, 64, v5
	v_and_b32_e32 v3, 63, v4
	v_add_u32_e32 v9, 64, v6
	v_cmp_ne_u32_e64 s[2:3], 0, v4
	v_xor_b32_e32 v4, 8, v5
	v_cmp_lt_i32_e32 vcc, v4, v9
	v_cndmask_b32_e32 v4, v5, v4, vcc
	v_lshlrev_b32_e32 v6, 2, v4
	v_xor_b32_e32 v4, 4, v5
	v_cmp_lt_i32_e32 vcc, v4, v9
	v_cndmask_b32_e32 v4, v5, v4, vcc
	v_lshlrev_b32_e32 v7, 2, v4
	;; [unrolled: 4-line block ×3, first 2 shown]
	v_xor_b32_e32 v4, 1, v5
	s_load_dwordx2 s[4:5], s[4:5], 0x30
	v_cmp_lt_i32_e32 vcc, v4, v9
	v_cmp_gt_u32_e64 s[0:1], 16, v3
	s_lshl_b64 s[6:7], s[6:7], 6
	v_mul_u32_u24_e32 v3, 0x208, v3
	v_cndmask_b32_e32 v4, v5, v4, vcc
	v_lshlrev_b32_e32 v2, 3, v2
	v_add_co_u32_e32 v0, vcc, v0, v1
	v_add3_u32 v10, v3, v2, 0
	v_addc_co_u32_e64 v1, s[12:13], 0, 0, vcc
	v_mov_b32_e32 v3, s7
	v_add_co_u32_e32 v2, vcc, s6, v0
	v_addc_co_u32_e32 v3, vcc, v1, v3, vcc
	v_lshlrev_b64 v[2:3], 3, v[2:3]
	s_waitcnt lgkmcnt(0)
	s_cmp_eq_u64 s[4:5], 0
	v_lshlrev_b32_e32 v9, 2, v4
	v_mov_b32_e32 v4, s5
	v_add_co_u32_e32 v2, vcc, s4, v2
	s_mov_b64 s[8:9], 0
	s_cselect_b64 s[10:11], -1, 0
	v_addc_co_u32_e32 v3, vcc, v4, v3, vcc
	v_mov_b32_e32 v11, s7
                                        ; implicit-def: $vgpr4_vgpr5
	s_branch .LBB126_86
.LBB126_85:                             ;   in Loop: Header=BB126_86 Depth=1
	s_or_b64 exec, exec, s[4:5]
	v_add_co_u32_e32 v0, vcc, 16, v0
	v_addc_co_u32_e32 v1, vcc, 0, v1, vcc
	v_add_u32_e32 v12, -16, v0
	v_add_co_u32_e32 v2, vcc, 0x80, v2
	v_cmp_lt_u32_e64 s[4:5], 47, v12
	v_add_u32_e32 v10, 0x80, v10
	s_or_b64 s[8:9], s[4:5], s[8:9]
	v_addc_co_u32_e32 v3, vcc, 0, v3, vcc
	s_andn2_b64 exec, exec, s[8:9]
	s_cbranch_execz .LBB126_90
.LBB126_86:                             ; =>This Inner Loop Header: Depth=1
	s_and_saveexec_b64 s[4:5], s[0:1]
	s_cbranch_execz .LBB126_88
; %bb.87:                               ;   in Loop: Header=BB126_86 Depth=1
	ds_read_b64 v[4:5], v10
.LBB126_88:                             ;   in Loop: Header=BB126_86 Depth=1
	s_or_b64 exec, exec, s[4:5]
	s_waitcnt lgkmcnt(0)
	ds_bpermute_b32 v12, v6, v4
	ds_bpermute_b32 v13, v6, v5
	v_add_co_u32_e32 v14, vcc, s6, v0
	v_addc_co_u32_e32 v15, vcc, v11, v1, vcc
	s_waitcnt lgkmcnt(0)
	v_add_f64 v[4:5], v[4:5], v[12:13]
	ds_bpermute_b32 v12, v7, v4
	ds_bpermute_b32 v13, v7, v5
	v_cmp_le_i64_e32 vcc, s[38:39], v[14:15]
	s_or_b64 s[4:5], s[2:3], vcc
	s_or_b64 s[4:5], s[10:11], s[4:5]
	s_xor_b64 s[12:13], s[4:5], -1
	s_waitcnt lgkmcnt(0)
	v_add_f64 v[4:5], v[4:5], v[12:13]
	ds_bpermute_b32 v12, v8, v4
	ds_bpermute_b32 v13, v8, v5
	s_waitcnt lgkmcnt(0)
	v_add_f64 v[4:5], v[4:5], v[12:13]
	ds_bpermute_b32 v12, v9, v4
	ds_bpermute_b32 v13, v9, v5
	s_waitcnt lgkmcnt(0)
	v_add_f64 v[4:5], v[4:5], v[12:13]
	s_and_saveexec_b64 s[4:5], s[12:13]
	s_cbranch_execz .LBB126_85
; %bb.89:                               ;   in Loop: Header=BB126_86 Depth=1
	global_store_dwordx2 v[2:3], v[4:5], off
	s_branch .LBB126_85
.LBB126_90:
	s_endpgm
	.section	.rodata,"a",@progbits
	.p2align	6, 0x0
	.amdhsa_kernel _ZN2at6native12_GLOBAL__N_135GammaBetaBackwardCUDAKernelTemplateIddLj64ELj16ELj128ELb0ELb0ELb1EEEvllPKT_S5_PKT0_S8_PS3_S9_
		.amdhsa_group_segment_fixed_size 0
		.amdhsa_private_segment_fixed_size 0
		.amdhsa_kernarg_size 320
		.amdhsa_user_sgpr_count 6
		.amdhsa_user_sgpr_private_segment_buffer 1
		.amdhsa_user_sgpr_dispatch_ptr 0
		.amdhsa_user_sgpr_queue_ptr 0
		.amdhsa_user_sgpr_kernarg_segment_ptr 1
		.amdhsa_user_sgpr_dispatch_id 0
		.amdhsa_user_sgpr_flat_scratch_init 0
		.amdhsa_user_sgpr_kernarg_preload_length 0
		.amdhsa_user_sgpr_kernarg_preload_offset 0
		.amdhsa_user_sgpr_private_segment_size 0
		.amdhsa_uses_dynamic_stack 0
		.amdhsa_system_sgpr_private_segment_wavefront_offset 0
		.amdhsa_system_sgpr_workgroup_id_x 1
		.amdhsa_system_sgpr_workgroup_id_y 1
		.amdhsa_system_sgpr_workgroup_id_z 0
		.amdhsa_system_sgpr_workgroup_info 0
		.amdhsa_system_vgpr_workitem_id 1
		.amdhsa_next_free_vgpr 121
		.amdhsa_next_free_sgpr 50
		.amdhsa_accum_offset 124
		.amdhsa_reserve_vcc 1
		.amdhsa_reserve_flat_scratch 0
		.amdhsa_float_round_mode_32 0
		.amdhsa_float_round_mode_16_64 0
		.amdhsa_float_denorm_mode_32 3
		.amdhsa_float_denorm_mode_16_64 3
		.amdhsa_dx10_clamp 1
		.amdhsa_ieee_mode 1
		.amdhsa_fp16_overflow 0
		.amdhsa_tg_split 0
		.amdhsa_exception_fp_ieee_invalid_op 0
		.amdhsa_exception_fp_denorm_src 0
		.amdhsa_exception_fp_ieee_div_zero 0
		.amdhsa_exception_fp_ieee_overflow 0
		.amdhsa_exception_fp_ieee_underflow 0
		.amdhsa_exception_fp_ieee_inexact 0
		.amdhsa_exception_int_div_zero 0
	.end_amdhsa_kernel
	.section	.text._ZN2at6native12_GLOBAL__N_135GammaBetaBackwardCUDAKernelTemplateIddLj64ELj16ELj128ELb0ELb0ELb1EEEvllPKT_S5_PKT0_S8_PS3_S9_,"axG",@progbits,_ZN2at6native12_GLOBAL__N_135GammaBetaBackwardCUDAKernelTemplateIddLj64ELj16ELj128ELb0ELb0ELb1EEEvllPKT_S5_PKT0_S8_PS3_S9_,comdat
.Lfunc_end126:
	.size	_ZN2at6native12_GLOBAL__N_135GammaBetaBackwardCUDAKernelTemplateIddLj64ELj16ELj128ELb0ELb0ELb1EEEvllPKT_S5_PKT0_S8_PS3_S9_, .Lfunc_end126-_ZN2at6native12_GLOBAL__N_135GammaBetaBackwardCUDAKernelTemplateIddLj64ELj16ELj128ELb0ELb0ELb1EEEvllPKT_S5_PKT0_S8_PS3_S9_
                                        ; -- End function
	.section	.AMDGPU.csdata,"",@progbits
; Kernel info:
; codeLenInByte = 7352
; NumSgprs: 54
; NumVgprs: 121
; NumAgprs: 0
; TotalNumVgprs: 121
; ScratchSize: 0
; MemoryBound: 1
; FloatMode: 240
; IeeeMode: 1
; LDSByteSize: 0 bytes/workgroup (compile time only)
; SGPRBlocks: 6
; VGPRBlocks: 15
; NumSGPRsForWavesPerEU: 54
; NumVGPRsForWavesPerEU: 121
; AccumOffset: 124
; Occupancy: 4
; WaveLimiterHint : 0
; COMPUTE_PGM_RSRC2:SCRATCH_EN: 0
; COMPUTE_PGM_RSRC2:USER_SGPR: 6
; COMPUTE_PGM_RSRC2:TRAP_HANDLER: 0
; COMPUTE_PGM_RSRC2:TGID_X_EN: 1
; COMPUTE_PGM_RSRC2:TGID_Y_EN: 1
; COMPUTE_PGM_RSRC2:TGID_Z_EN: 0
; COMPUTE_PGM_RSRC2:TIDIG_COMP_CNT: 1
; COMPUTE_PGM_RSRC3_GFX90A:ACCUM_OFFSET: 30
; COMPUTE_PGM_RSRC3_GFX90A:TG_SPLIT: 0
	.section	.text._ZN2at6native12_GLOBAL__N_135GammaBetaBackwardCUDAKernelTemplateIddLj64ELj16ELj256ELb0ELb1ELb1EEEvllPKT_S5_PKT0_S8_PS3_S9_,"axG",@progbits,_ZN2at6native12_GLOBAL__N_135GammaBetaBackwardCUDAKernelTemplateIddLj64ELj16ELj256ELb0ELb1ELb1EEEvllPKT_S5_PKT0_S8_PS3_S9_,comdat
	.globl	_ZN2at6native12_GLOBAL__N_135GammaBetaBackwardCUDAKernelTemplateIddLj64ELj16ELj256ELb0ELb1ELb1EEEvllPKT_S5_PKT0_S8_PS3_S9_ ; -- Begin function _ZN2at6native12_GLOBAL__N_135GammaBetaBackwardCUDAKernelTemplateIddLj64ELj16ELj256ELb0ELb1ELb1EEEvllPKT_S5_PKT0_S8_PS3_S9_
	.p2align	8
	.type	_ZN2at6native12_GLOBAL__N_135GammaBetaBackwardCUDAKernelTemplateIddLj64ELj16ELj256ELb0ELb1ELb1EEEvllPKT_S5_PKT0_S8_PS3_S9_,@function
_ZN2at6native12_GLOBAL__N_135GammaBetaBackwardCUDAKernelTemplateIddLj64ELj16ELj256ELb0ELb1ELb1EEEvllPKT_S5_PKT0_S8_PS3_S9_: ; @_ZN2at6native12_GLOBAL__N_135GammaBetaBackwardCUDAKernelTemplateIddLj64ELj16ELj256ELb0ELb1ELb1EEEvllPKT_S5_PKT0_S8_PS3_S9_
; %bb.0:
	s_load_dwordx4 s[8:11], s[4:5], 0x0
	s_lshl_b32 s16, s7, 8
	s_mov_b32 s17, 0
	v_bfe_u32 v30, v0, 10, 10
	s_waitcnt lgkmcnt(0)
	v_pk_mov_b32 v[2:3], s[8:9], s[8:9] op_sel:[0,1]
	v_cmp_lt_i64_e32 vcc, s[16:17], v[2:3]
	s_cbranch_vccnz .LBB127_2
; %bb.1:
	s_mov_b64 s[0:1], 0
	s_mov_b64 s[12:13], 0
	v_bfe_u32 v1, v0, 10, 10
	s_branch .LBB127_3
.LBB127_2:
	s_mov_b64 s[0:1], -1
                                        ; implicit-def: $sgpr12_sgpr13
                                        ; implicit-def: $vgpr1
.LBB127_3:
	s_load_dwordx2 s[2:3], s[4:5], 0x30
	v_and_b32_e32 v28, 0x3ff, v0
	s_andn2_b64 vcc, exec, s[0:1]
	v_pk_mov_b32 v[6:7], s[12:13], s[12:13] op_sel:[0,1]
	v_mbcnt_lo_u32_b32 v29, -1, 0
	s_cbranch_vccnz .LBB127_11
; %bb.4:
	s_load_dword s0, s[4:5], 0x4c
	s_load_dword s7, s[4:5], 0x44
	s_load_dwordx4 s[12:15], s[4:5], 0x10
	s_load_dwordx2 s[18:19], s[4:5], 0x28
	v_mbcnt_hi_u32_b32 v2, -1, v29
	v_lshlrev_b32_e32 v0, 4, v30
	s_waitcnt lgkmcnt(0)
	s_and_b32 s0, s0, 0xffff
	v_lshlrev_b32_e32 v2, 2, v2
	v_mad_u32_u24 v1, v30, s0, v28
	v_and_b32_e32 v31, 0x100, v2
	v_mov_b32_e32 v2, s17
	v_add_co_u32_e32 v6, vcc, s16, v0
	v_and_b32_e32 v1, 63, v1
	v_addc_co_u32_e32 v7, vcc, 0, v2, vcc
	v_add_co_u32_e32 v0, vcc, v6, v1
	v_cmp_gt_u32_e64 s[0:1], 16, v1
	v_addc_co_u32_e32 v1, vcc, 0, v7, vcc
	v_lshlrev_b64 v[2:3], 3, v[0:1]
	v_mov_b32_e32 v8, s19
	v_add_co_u32_e32 v2, vcc, s18, v2
	v_addc_co_u32_e32 v3, vcc, v8, v3, vcc
	v_mul_lo_u32 v8, s11, v6
	v_mul_lo_u32 v9, s10, v7
	v_mad_u64_u32 v[6:7], s[20:21], s10, v6, 0
	v_mov_b32_e32 v5, 0
	v_lshl_add_u32 v4, s6, 6, v28
	s_lshl_b32 s4, s7, 8
	v_add3_u32 v7, v7, v9, v8
	v_lshlrev_b64 v[6:7], 3, v[6:7]
	v_lshlrev_b64 v[4:5], 3, v[4:5]
	s_mul_i32 s7, s11, s4
	s_mul_hi_u32 s20, s10, s4
	s_mov_b32 s5, 0
	v_add_co_u32_e32 v4, vcc, v6, v4
	s_add_i32 s21, s20, s7
	s_mul_i32 s20, s10, s4
	s_lshl_b64 s[10:11], s[10:11], 3
	v_pk_mov_b32 v[8:9], 0, 0
	v_or_b32_e32 v32, 4, v31
	v_or_b32_e32 v33, 8, v31
	;; [unrolled: 1-line block ×15, first 2 shown]
	s_lshl_b64 s[18:19], s[4:5], 3
	v_addc_co_u32_e32 v5, vcc, v7, v5, vcc
	s_lshl_b64 s[20:21], s[20:21], 3
	v_mov_b32_e32 v47, s13
	v_mov_b32_e32 v48, s15
	;; [unrolled: 1-line block ×3, first 2 shown]
	v_pk_mov_b32 v[6:7], v[8:9], v[8:9] op_sel:[0,1]
	s_branch .LBB127_7
.LBB127_5:                              ;   in Loop: Header=BB127_7 Depth=1
	s_or_b64 exec, exec, s[24:25]
.LBB127_6:                              ;   in Loop: Header=BB127_7 Depth=1
	s_or_b64 exec, exec, s[22:23]
	v_add_co_u32_e32 v12, vcc, s12, v4
	v_addc_co_u32_e32 v13, vcc, v47, v5, vcc
	v_add_co_u32_e32 v16, vcc, s14, v4
	v_addc_co_u32_e32 v17, vcc, v48, v5, vcc
	global_load_dwordx2 v[18:19], v[12:13], off
	global_load_dwordx2 v[22:23], v[16:17], off
	v_add_co_u32_e32 v12, vcc, s10, v12
	v_addc_co_u32_e32 v13, vcc, v13, v49, vcc
	v_add_co_u32_e32 v16, vcc, s10, v16
	v_addc_co_u32_e32 v17, vcc, v17, v49, vcc
	global_load_dwordx2 v[14:15], v[12:13], off
	global_load_dwordx2 v[20:21], v[16:17], off
	;; [unrolled: 6-line block ×5, first 2 shown]
	v_add_co_u32_e32 v24, vcc, s10, v24
	s_waitcnt vmcnt(10)
	ds_bpermute_b32 v50, v31, v10
	ds_bpermute_b32 v51, v31, v11
	v_addc_co_u32_e32 v25, vcc, v25, v49, vcc
	v_add_co_u32_e32 v26, vcc, s10, v26
	v_addc_co_u32_e32 v27, vcc, v27, v49, vcc
	ds_bpermute_b32 v60, v32, v10
	ds_bpermute_b32 v61, v32, v11
	s_add_u32 s16, s16, s4
	s_addc_u32 s17, s17, 0
	s_waitcnt vmcnt(8)
	v_mul_f64 v[18:19], v[18:19], v[22:23]
	global_load_dwordx2 v[22:23], v[24:25], off
	v_add_co_u32_e32 v24, vcc, s10, v24
	v_addc_co_u32_e32 v25, vcc, v25, v49, vcc
	s_waitcnt lgkmcnt(2)
	v_fmac_f64_e32 v[6:7], v[18:19], v[50:51]
	global_load_dwordx2 v[18:19], v[26:27], off
	v_add_co_u32_e32 v26, vcc, s10, v26
	v_addc_co_u32_e32 v27, vcc, v27, v49, vcc
	v_add_co_u32_e32 v50, vcc, s10, v24
	v_addc_co_u32_e32 v51, vcc, v25, v49, vcc
	s_waitcnt vmcnt(8)
	v_mul_f64 v[14:15], v[14:15], v[20:21]
	v_add_co_u32_e32 v20, vcc, s10, v26
	global_load_dwordx2 v[24:25], v[24:25], off
	v_addc_co_u32_e32 v21, vcc, v27, v49, vcc
	global_load_dwordx2 v[26:27], v[26:27], off
	s_waitcnt lgkmcnt(0)
	v_fmac_f64_e32 v[6:7], v[14:15], v[60:61]
	ds_bpermute_b32 v14, v33, v10
	ds_bpermute_b32 v15, v33, v11
	v_add_co_u32_e32 v60, vcc, s10, v50
	v_addc_co_u32_e32 v61, vcc, v51, v49, vcc
	s_waitcnt vmcnt(8)
	v_mul_f64 v[12:13], v[12:13], v[16:17]
	global_load_dwordx2 v[50:51], v[50:51], off
	s_waitcnt lgkmcnt(0)
	v_fmac_f64_e32 v[6:7], v[12:13], v[14:15]
	global_load_dwordx2 v[16:17], v[20:21], off
	v_add_co_u32_e32 v14, vcc, s10, v20
	v_addc_co_u32_e32 v15, vcc, v21, v49, vcc
	v_add_co_u32_e32 v20, vcc, s10, v60
	v_addc_co_u32_e32 v21, vcc, v61, v49, vcc
	global_load_dwordx2 v[12:13], v[60:61], off
	v_add_co_u32_e32 v60, vcc, s10, v14
	v_addc_co_u32_e32 v61, vcc, v15, v49, vcc
	global_load_dwordx2 v[14:15], v[14:15], off
	s_waitcnt vmcnt(10)
	v_mul_f64 v[52:53], v[52:53], v[54:55]
	ds_bpermute_b32 v54, v34, v10
	ds_bpermute_b32 v55, v34, v11
	s_waitcnt vmcnt(8)
	v_mul_f64 v[56:57], v[56:57], v[58:59]
	global_load_dwordx2 v[58:59], v[60:61], off
	s_waitcnt lgkmcnt(0)
	v_fmac_f64_e32 v[6:7], v[52:53], v[54:55]
	ds_bpermute_b32 v52, v35, v10
	ds_bpermute_b32 v53, v35, v11
	v_add_co_u32_e32 v54, vcc, s10, v20
	v_addc_co_u32_e32 v55, vcc, v21, v49, vcc
	s_waitcnt lgkmcnt(0)
	v_fmac_f64_e32 v[6:7], v[56:57], v[52:53]
	v_add_co_u32_e32 v56, vcc, s10, v60
	v_addc_co_u32_e32 v57, vcc, v61, v49, vcc
	ds_bpermute_b32 v60, v36, v10
	ds_bpermute_b32 v61, v36, v11
	global_load_dwordx2 v[52:53], v[54:55], off
	v_add_co_u32_e32 v54, vcc, s10, v54
	v_addc_co_u32_e32 v55, vcc, v55, v49, vcc
	global_load_dwordx2 v[20:21], v[20:21], off
	s_waitcnt vmcnt(9)
	v_mul_f64 v[18:19], v[22:23], v[18:19]
	v_add_co_u32_e32 v22, vcc, s10, v56
	v_addc_co_u32_e32 v23, vcc, v57, v49, vcc
	s_waitcnt lgkmcnt(0)
	v_fmac_f64_e32 v[6:7], v[18:19], v[60:61]
	ds_bpermute_b32 v18, v37, v10
	ds_bpermute_b32 v19, v37, v11
	v_add_co_u32_e32 v60, vcc, s10, v54
	v_addc_co_u32_e32 v61, vcc, v55, v49, vcc
	global_load_dwordx2 v[56:57], v[56:57], off
	s_waitcnt vmcnt(8)
	v_mul_f64 v[24:25], v[24:25], v[26:27]
	global_load_dwordx2 v[26:27], v[22:23], off
	v_add_co_u32_e32 v22, vcc, s10, v22
	v_addc_co_u32_e32 v23, vcc, v23, v49, vcc
	s_waitcnt lgkmcnt(0)
	v_fmac_f64_e32 v[6:7], v[24:25], v[18:19]
	v_add_co_u32_e32 v24, vcc, s10, v60
	global_load_dwordx2 v[18:19], v[60:61], off
	v_addc_co_u32_e32 v25, vcc, v61, v49, vcc
	ds_bpermute_b32 v60, v38, v10
	ds_bpermute_b32 v61, v38, v11
	s_waitcnt vmcnt(8)
	v_mul_f64 v[16:17], v[50:51], v[16:17]
	v_add_co_u32_e32 v50, vcc, s10, v22
	v_addc_co_u32_e32 v51, vcc, v23, v49, vcc
	s_waitcnt lgkmcnt(0)
	v_fmac_f64_e32 v[6:7], v[16:17], v[60:61]
	ds_bpermute_b32 v16, v39, v10
	ds_bpermute_b32 v17, v39, v11
	global_load_dwordx2 v[54:55], v[54:55], off
	v_add_co_u32_e32 v60, vcc, s10, v24
	global_load_dwordx2 v[22:23], v[22:23], off
	v_addc_co_u32_e32 v61, vcc, v25, v49, vcc
	s_waitcnt vmcnt(8)
	v_mul_f64 v[12:13], v[12:13], v[14:15]
	s_waitcnt lgkmcnt(0)
	v_fmac_f64_e32 v[6:7], v[12:13], v[16:17]
	v_add_co_u32_e32 v16, vcc, s10, v50
	v_addc_co_u32_e32 v17, vcc, v51, v49, vcc
	global_load_dwordx2 v[14:15], v[50:51], off
	v_add_co_u32_e32 v50, vcc, s10, v60
	v_addc_co_u32_e32 v51, vcc, v61, v49, vcc
	global_load_dwordx2 v[24:25], v[24:25], off
	s_waitcnt vmcnt(7)
	v_mul_f64 v[20:21], v[20:21], v[58:59]
	global_load_dwordx2 v[12:13], v[60:61], off
	v_add_co_u32_e32 v60, vcc, s10, v16
	v_addc_co_u32_e32 v61, vcc, v17, v49, vcc
	global_load_dwordx2 v[16:17], v[16:17], off
	s_nop 0
	global_load_dwordx2 v[50:51], v[50:51], off
	s_nop 0
	global_load_dwordx2 v[60:61], v[60:61], off
	ds_bpermute_b32 v58, v40, v10
	ds_bpermute_b32 v59, v40, v11
	v_add_co_u32_e32 v2, vcc, s18, v2
	s_waitcnt lgkmcnt(0)
	v_fmac_f64_e32 v[6:7], v[20:21], v[58:59]
	ds_bpermute_b32 v20, v41, v10
	ds_bpermute_b32 v21, v41, v11
	;; [unrolled: 1-line block ×4, first 2 shown]
	s_waitcnt vmcnt(10)
	v_mul_f64 v[52:53], v[52:53], v[56:57]
	ds_bpermute_b32 v56, v42, v10
	ds_bpermute_b32 v57, v42, v11
	s_waitcnt lgkmcnt(4)
	v_fmac_f64_e32 v[6:7], v[52:53], v[20:21]
	s_waitcnt vmcnt(7)
	v_mul_f64 v[20:21], v[54:55], v[26:27]
	s_waitcnt lgkmcnt(0)
	v_fmac_f64_e32 v[6:7], v[20:21], v[56:57]
	ds_bpermute_b32 v20, v45, v10
	s_waitcnt vmcnt(6)
	v_mul_f64 v[18:19], v[18:19], v[22:23]
	v_fmac_f64_e32 v[6:7], v[18:19], v[58:59]
	ds_bpermute_b32 v18, v44, v10
	ds_bpermute_b32 v19, v44, v11
	;; [unrolled: 1-line block ×5, first 2 shown]
	s_waitcnt vmcnt(4)
	v_mul_f64 v[14:15], v[24:25], v[14:15]
	s_waitcnt lgkmcnt(3)
	v_fmac_f64_e32 v[6:7], v[14:15], v[18:19]
	s_waitcnt vmcnt(2)
	v_mul_f64 v[12:13], v[12:13], v[16:17]
	s_waitcnt lgkmcnt(2)
	v_fmac_f64_e32 v[6:7], v[12:13], v[20:21]
	s_waitcnt vmcnt(0)
	v_mul_f64 v[12:13], v[50:51], v[60:61]
	s_waitcnt lgkmcnt(0)
	v_fmac_f64_e32 v[6:7], v[12:13], v[10:11]
	v_mov_b32_e32 v10, s19
	v_addc_co_u32_e32 v3, vcc, v3, v10, vcc
	v_mov_b32_e32 v10, s5
	v_add_co_u32_e32 v0, vcc, s4, v0
	v_addc_co_u32_e32 v1, vcc, v1, v10, vcc
	v_mov_b32_e32 v10, s21
	v_add_co_u32_e32 v4, vcc, s20, v4
	v_addc_co_u32_e32 v5, vcc, v5, v10, vcc
	v_pk_mov_b32 v[10:11], s[8:9], s[8:9] op_sel:[0,1]
	v_cmp_lt_i64_e32 vcc, s[16:17], v[10:11]
	s_cbranch_vccz .LBB127_10
.LBB127_7:                              ; =>This Inner Loop Header: Depth=1
	v_pk_mov_b32 v[10:11], v[8:9], v[8:9] op_sel:[0,1]
	s_and_saveexec_b64 s[22:23], s[0:1]
	s_cbranch_execz .LBB127_6
; %bb.8:                                ;   in Loop: Header=BB127_7 Depth=1
	v_cmp_gt_i64_e32 vcc, s[8:9], v[0:1]
	v_pk_mov_b32 v[10:11], 0, 0
	s_and_saveexec_b64 s[24:25], vcc
	s_cbranch_execz .LBB127_5
; %bb.9:                                ;   in Loop: Header=BB127_7 Depth=1
	global_load_dwordx2 v[10:11], v[2:3], off
	s_branch .LBB127_5
.LBB127_10:
	v_mov_b32_e32 v1, v30
.LBB127_11:
	s_movk_i32 s0, 0x41
	v_mad_u32_u24 v0, v1, s0, v28
	v_mov_b32_e32 v2, 0
	v_lshl_add_u32 v0, v0, 3, 0
	v_mov_b32_e32 v3, v2
	ds_write_b64 v0, v[6:7]
	ds_write_b64 v0, v[2:3] offset:8320
	v_lshrrev_b32_e32 v0, 6, v28
	v_add_u32_e32 v2, v0, v1
	s_mov_b32 s7, 0
	v_cmp_gt_u32_e32 vcc, 64, v2
	s_waitcnt lgkmcnt(0)
	s_barrier
	s_and_saveexec_b64 s[0:1], vcc
	s_cbranch_execz .LBB127_18
; %bb.12:
	v_mbcnt_hi_u32_b32 v7, -1, v29
	v_and_b32_e32 v4, 64, v7
	s_cmp_lg_u64 s[2:3], 0
	v_add_u32_e32 v8, 64, v4
	v_cmp_eq_u32_e32 vcc, 0, v28
	s_cselect_b64 s[8:9], -1, 0
	v_xor_b32_e32 v4, 8, v7
	s_and_b64 s[8:9], vcc, s[8:9]
	v_cmp_lt_i32_e32 vcc, v4, v8
	v_xor_b32_e32 v5, 4, v7
	v_cndmask_b32_e32 v4, v7, v4, vcc
	v_cmp_lt_i32_e32 vcc, v5, v8
	v_xor_b32_e32 v6, 2, v7
	v_cndmask_b32_e32 v5, v7, v5, vcc
	;; [unrolled: 3-line block ×3, first 2 shown]
	v_cmp_lt_i32_e32 vcc, v9, v8
	v_cndmask_b32_e32 v7, v7, v9, vcc
	s_lshl_b64 s[6:7], s[6:7], 9
	v_add_co_u32_e32 v0, vcc, v0, v1
	v_addc_co_u32_e64 v1, s[10:11], 0, 0, vcc
	s_add_u32 s2, s2, s6
	v_and_b32_e32 v3, 63, v28
	v_lshlrev_b64 v[0:1], 3, v[0:1]
	s_addc_u32 s3, s3, s7
	v_cmp_gt_u32_e64 s[0:1], 16, v3
	v_mul_u32_u24_e32 v3, 0x208, v3
	v_lshlrev_b32_e32 v8, 3, v2
	v_add_u32_e32 v9, -16, v2
	v_mov_b32_e32 v2, s3
	v_add_co_u32_e32 v0, vcc, s2, v0
	s_mov_b64 s[4:5], 0
	v_lshlrev_b32_e32 v4, 2, v4
	v_lshlrev_b32_e32 v5, 2, v5
	;; [unrolled: 1-line block ×4, first 2 shown]
	v_add3_u32 v8, v3, v8, 0
	v_addc_co_u32_e32 v1, vcc, v2, v1, vcc
                                        ; implicit-def: $vgpr2_vgpr3
	s_branch .LBB127_14
.LBB127_13:                             ;   in Loop: Header=BB127_14 Depth=1
	s_or_b64 exec, exec, s[2:3]
	v_add_u32_e32 v9, 16, v9
	v_add_co_u32_e32 v0, vcc, 0x80, v0
	v_cmp_lt_u32_e64 s[2:3], 47, v9
	v_add_u32_e32 v8, 0x80, v8
	s_or_b64 s[4:5], s[2:3], s[4:5]
	v_addc_co_u32_e32 v1, vcc, 0, v1, vcc
	s_andn2_b64 exec, exec, s[4:5]
	s_cbranch_execz .LBB127_18
.LBB127_14:                             ; =>This Inner Loop Header: Depth=1
	s_and_saveexec_b64 s[2:3], s[0:1]
	s_cbranch_execz .LBB127_16
; %bb.15:                               ;   in Loop: Header=BB127_14 Depth=1
	ds_read_b64 v[2:3], v8
.LBB127_16:                             ;   in Loop: Header=BB127_14 Depth=1
	s_or_b64 exec, exec, s[2:3]
	s_waitcnt lgkmcnt(0)
	ds_bpermute_b32 v10, v4, v2
	ds_bpermute_b32 v11, v4, v3
	s_waitcnt lgkmcnt(0)
	v_add_f64 v[2:3], v[2:3], v[10:11]
	ds_bpermute_b32 v10, v5, v2
	ds_bpermute_b32 v11, v5, v3
	s_waitcnt lgkmcnt(0)
	v_add_f64 v[2:3], v[2:3], v[10:11]
	;; [unrolled: 4-line block ×4, first 2 shown]
	s_and_saveexec_b64 s[2:3], s[8:9]
	s_cbranch_execz .LBB127_13
; %bb.17:                               ;   in Loop: Header=BB127_14 Depth=1
	global_store_dwordx2 v[0:1], v[2:3], off
	s_branch .LBB127_13
.LBB127_18:
	s_endpgm
	.section	.rodata,"a",@progbits
	.p2align	6, 0x0
	.amdhsa_kernel _ZN2at6native12_GLOBAL__N_135GammaBetaBackwardCUDAKernelTemplateIddLj64ELj16ELj256ELb0ELb1ELb1EEEvllPKT_S5_PKT0_S8_PS3_S9_
		.amdhsa_group_segment_fixed_size 0
		.amdhsa_private_segment_fixed_size 0
		.amdhsa_kernarg_size 320
		.amdhsa_user_sgpr_count 6
		.amdhsa_user_sgpr_private_segment_buffer 1
		.amdhsa_user_sgpr_dispatch_ptr 0
		.amdhsa_user_sgpr_queue_ptr 0
		.amdhsa_user_sgpr_kernarg_segment_ptr 1
		.amdhsa_user_sgpr_dispatch_id 0
		.amdhsa_user_sgpr_flat_scratch_init 0
		.amdhsa_user_sgpr_kernarg_preload_length 0
		.amdhsa_user_sgpr_kernarg_preload_offset 0
		.amdhsa_user_sgpr_private_segment_size 0
		.amdhsa_uses_dynamic_stack 0
		.amdhsa_system_sgpr_private_segment_wavefront_offset 0
		.amdhsa_system_sgpr_workgroup_id_x 1
		.amdhsa_system_sgpr_workgroup_id_y 1
		.amdhsa_system_sgpr_workgroup_id_z 0
		.amdhsa_system_sgpr_workgroup_info 0
		.amdhsa_system_vgpr_workitem_id 1
		.amdhsa_next_free_vgpr 62
		.amdhsa_next_free_sgpr 26
		.amdhsa_accum_offset 64
		.amdhsa_reserve_vcc 1
		.amdhsa_reserve_flat_scratch 0
		.amdhsa_float_round_mode_32 0
		.amdhsa_float_round_mode_16_64 0
		.amdhsa_float_denorm_mode_32 3
		.amdhsa_float_denorm_mode_16_64 3
		.amdhsa_dx10_clamp 1
		.amdhsa_ieee_mode 1
		.amdhsa_fp16_overflow 0
		.amdhsa_tg_split 0
		.amdhsa_exception_fp_ieee_invalid_op 0
		.amdhsa_exception_fp_denorm_src 0
		.amdhsa_exception_fp_ieee_div_zero 0
		.amdhsa_exception_fp_ieee_overflow 0
		.amdhsa_exception_fp_ieee_underflow 0
		.amdhsa_exception_fp_ieee_inexact 0
		.amdhsa_exception_int_div_zero 0
	.end_amdhsa_kernel
	.section	.text._ZN2at6native12_GLOBAL__N_135GammaBetaBackwardCUDAKernelTemplateIddLj64ELj16ELj256ELb0ELb1ELb1EEEvllPKT_S5_PKT0_S8_PS3_S9_,"axG",@progbits,_ZN2at6native12_GLOBAL__N_135GammaBetaBackwardCUDAKernelTemplateIddLj64ELj16ELj256ELb0ELb1ELb1EEEvllPKT_S5_PKT0_S8_PS3_S9_,comdat
.Lfunc_end127:
	.size	_ZN2at6native12_GLOBAL__N_135GammaBetaBackwardCUDAKernelTemplateIddLj64ELj16ELj256ELb0ELb1ELb1EEEvllPKT_S5_PKT0_S8_PS3_S9_, .Lfunc_end127-_ZN2at6native12_GLOBAL__N_135GammaBetaBackwardCUDAKernelTemplateIddLj64ELj16ELj256ELb0ELb1ELb1EEEvllPKT_S5_PKT0_S8_PS3_S9_
                                        ; -- End function
	.section	.AMDGPU.csdata,"",@progbits
; Kernel info:
; codeLenInByte = 2116
; NumSgprs: 30
; NumVgprs: 62
; NumAgprs: 0
; TotalNumVgprs: 62
; ScratchSize: 0
; MemoryBound: 0
; FloatMode: 240
; IeeeMode: 1
; LDSByteSize: 0 bytes/workgroup (compile time only)
; SGPRBlocks: 3
; VGPRBlocks: 7
; NumSGPRsForWavesPerEU: 30
; NumVGPRsForWavesPerEU: 62
; AccumOffset: 64
; Occupancy: 8
; WaveLimiterHint : 0
; COMPUTE_PGM_RSRC2:SCRATCH_EN: 0
; COMPUTE_PGM_RSRC2:USER_SGPR: 6
; COMPUTE_PGM_RSRC2:TRAP_HANDLER: 0
; COMPUTE_PGM_RSRC2:TGID_X_EN: 1
; COMPUTE_PGM_RSRC2:TGID_Y_EN: 1
; COMPUTE_PGM_RSRC2:TGID_Z_EN: 0
; COMPUTE_PGM_RSRC2:TIDIG_COMP_CNT: 1
; COMPUTE_PGM_RSRC3_GFX90A:ACCUM_OFFSET: 15
; COMPUTE_PGM_RSRC3_GFX90A:TG_SPLIT: 0
	.section	.text._ZN2at6native12_GLOBAL__N_135GammaBetaBackwardCUDAKernelTemplateIddLj64ELj16ELj256ELb0ELb0ELb1EEEvllPKT_S5_PKT0_S8_PS3_S9_,"axG",@progbits,_ZN2at6native12_GLOBAL__N_135GammaBetaBackwardCUDAKernelTemplateIddLj64ELj16ELj256ELb0ELb0ELb1EEEvllPKT_S5_PKT0_S8_PS3_S9_,comdat
	.globl	_ZN2at6native12_GLOBAL__N_135GammaBetaBackwardCUDAKernelTemplateIddLj64ELj16ELj256ELb0ELb0ELb1EEEvllPKT_S5_PKT0_S8_PS3_S9_ ; -- Begin function _ZN2at6native12_GLOBAL__N_135GammaBetaBackwardCUDAKernelTemplateIddLj64ELj16ELj256ELb0ELb0ELb1EEEvllPKT_S5_PKT0_S8_PS3_S9_
	.p2align	8
	.type	_ZN2at6native12_GLOBAL__N_135GammaBetaBackwardCUDAKernelTemplateIddLj64ELj16ELj256ELb0ELb0ELb1EEEvllPKT_S5_PKT0_S8_PS3_S9_,@function
_ZN2at6native12_GLOBAL__N_135GammaBetaBackwardCUDAKernelTemplateIddLj64ELj16ELj256ELb0ELb0ELb1EEEvllPKT_S5_PKT0_S8_PS3_S9_: ; @_ZN2at6native12_GLOBAL__N_135GammaBetaBackwardCUDAKernelTemplateIddLj64ELj16ELj256ELb0ELb0ELb1EEEvllPKT_S5_PKT0_S8_PS3_S9_
; %bb.0:
	s_mov_b64 s[70:71], s[2:3]
	s_load_dwordx8 s[12:19], s[4:5], 0x0
	s_load_dwordx2 s[10:11], s[4:5], 0x28
	s_mov_b64 s[68:69], s[0:1]
	s_add_u32 s68, s68, s8
	s_addc_u32 s69, s69, 0
	s_lshl_b32 s33, s6, 6
	v_mov_b32_e32 v36, v0
	s_or_b32 s20, s33, 63
	s_mov_b32 s21, 0
	s_waitcnt lgkmcnt(0)
	v_pk_mov_b32 v[0:1], s[14:15], s[14:15] op_sel:[0,1]
	v_cmp_ge_i64_e32 vcc, s[20:21], v[0:1]
	s_lshl_b32 s20, s7, 8
	v_pk_mov_b32 v[0:1], s[12:13], s[12:13] op_sel:[0,1]
	v_cmp_lt_i64_e64 s[0:1], s[20:21], v[0:1]
	v_cndmask_b32_e64 v0, 0, 1, s[0:1]
	v_cmp_ne_u32_e64 s[0:1], 1, v0
	s_cbranch_vccz .LBB128_81
; %bb.1:
	s_and_b64 vcc, exec, s[0:1]
	v_pk_mov_b32 v[2:3], 0, 0
	s_cbranch_vccnz .LBB128_83
; %bb.2:
	v_bfe_u32 v0, v36, 10, 10
	v_lshlrev_b32_e32 v2, 4, v0
	buffer_store_dword v0, off, s[68:71], 0 offset:112 ; 4-byte Folded Spill
	v_mov_b32_e32 v1, s21
	v_mov_b32_e32 v0, v2
	buffer_store_dword v0, off, s[68:71], 0 offset:120 ; 4-byte Folded Spill
	s_nop 0
	buffer_store_dword v1, off, s[68:71], 0 offset:124 ; 4-byte Folded Spill
	v_add_co_u32_e32 v0, vcc, s20, v2
	s_add_u32 s22, s4, 64
	s_addc_u32 s23, s5, 0
	s_mov_b32 s36, 0
	s_mov_b64 s[28:29], s[20:21]
	v_pk_mov_b32 v[106:107], 0, 0
	v_addc_co_u32_e32 v6, vcc, 0, v1, vcc
	v_add_co_u32_e32 v1, vcc, 15, v0
	v_addc_co_u32_e32 v2, vcc, 0, v6, vcc
	v_mul_lo_u32 v4, s15, v1
	v_mul_lo_u32 v5, s14, v2
	v_mad_u64_u32 v[2:3], s[2:3], s14, v1, 0
	v_add3_u32 v3, v3, v5, v4
	v_lshlrev_b64 v[4:5], 3, v[2:3]
	v_add_co_u32_e32 v2, vcc, s16, v4
	buffer_store_dword v2, off, s[68:71], 0 ; 4-byte Folded Spill
	s_nop 0
	buffer_store_dword v3, off, s[68:71], 0 offset:4 ; 4-byte Folded Spill
	v_mov_b32_e32 v1, s17
	v_addc_co_u32_e32 v3, vcc, v1, v5, vcc
	v_add_co_u32_e32 v4, vcc, s18, v4
	buffer_store_dword v2, off, s[68:71], 0 offset:8 ; 4-byte Folded Spill
	s_nop 0
	buffer_store_dword v3, off, s[68:71], 0 offset:12 ; 4-byte Folded Spill
	buffer_store_dword v4, off, s[68:71], 0 offset:16 ; 4-byte Folded Spill
	s_nop 0
	buffer_store_dword v5, off, s[68:71], 0 offset:20 ; 4-byte Folded Spill
	v_mov_b32_e32 v2, s19
	v_addc_co_u32_e32 v3, vcc, v2, v5, vcc
	buffer_store_dword v2, off, s[68:71], 0 offset:24 ; 4-byte Folded Spill
	s_nop 0
	buffer_store_dword v3, off, s[68:71], 0 offset:28 ; 4-byte Folded Spill
	v_add_co_u32_e32 v3, vcc, 14, v0
	v_addc_co_u32_e32 v4, vcc, 0, v6, vcc
	v_mul_lo_u32 v7, s15, v3
	v_mul_lo_u32 v8, s14, v4
	v_mad_u64_u32 v[4:5], s[2:3], s14, v3, 0
	v_add3_u32 v5, v5, v8, v7
	v_lshlrev_b64 v[4:5], 3, v[4:5]
	v_add_co_u32_e32 v8, vcc, s16, v4
	v_addc_co_u32_e32 v103, vcc, v1, v5, vcc
	v_add_co_u32_e32 v4, vcc, s18, v4
	buffer_store_dword v8, off, s[68:71], 0 offset:32 ; 4-byte Folded Spill
	s_nop 0
	buffer_store_dword v9, off, s[68:71], 0 offset:36 ; 4-byte Folded Spill
	buffer_store_dword v4, off, s[68:71], 0 offset:40 ; 4-byte Folded Spill
	s_nop 0
	buffer_store_dword v5, off, s[68:71], 0 offset:44 ; 4-byte Folded Spill
	v_addc_co_u32_e32 v3, vcc, v2, v5, vcc
	buffer_store_dword v2, off, s[68:71], 0 offset:48 ; 4-byte Folded Spill
	s_nop 0
	buffer_store_dword v3, off, s[68:71], 0 offset:52 ; 4-byte Folded Spill
	v_add_co_u32_e32 v3, vcc, 13, v0
	v_addc_co_u32_e32 v4, vcc, 0, v6, vcc
	v_mul_lo_u32 v7, s15, v3
	v_mul_lo_u32 v8, s14, v4
	v_mad_u64_u32 v[4:5], s[2:3], s14, v3, 0
	v_add3_u32 v5, v5, v8, v7
	v_lshlrev_b64 v[4:5], 3, v[4:5]
	v_add_co_u32_e32 v8, vcc, s16, v4
	v_addc_co_u32_e32 v3, vcc, v1, v5, vcc
	buffer_store_dword v8, off, s[68:71], 0 offset:72 ; 4-byte Folded Spill
	s_nop 0
	buffer_store_dword v9, off, s[68:71], 0 offset:76 ; 4-byte Folded Spill
	v_add_co_u32_e32 v50, vcc, s18, v4
	buffer_store_dword v2, off, s[68:71], 0 offset:56 ; 4-byte Folded Spill
	s_nop 0
	buffer_store_dword v3, off, s[68:71], 0 offset:60 ; 4-byte Folded Spill
	v_addc_co_u32_e32 v3, vcc, v2, v5, vcc
	buffer_store_dword v2, off, s[68:71], 0 offset:64 ; 4-byte Folded Spill
	s_nop 0
	buffer_store_dword v3, off, s[68:71], 0 offset:68 ; 4-byte Folded Spill
	v_add_co_u32_e32 v3, vcc, 12, v0
	v_addc_co_u32_e32 v4, vcc, 0, v6, vcc
	v_mul_lo_u32 v7, s15, v3
	v_mul_lo_u32 v8, s14, v4
	v_mad_u64_u32 v[4:5], s[2:3], s14, v3, 0
	v_add3_u32 v5, v5, v8, v7
	v_lshlrev_b64 v[4:5], 3, v[4:5]
	v_add_co_u32_e32 v52, vcc, s16, v4
	v_addc_co_u32_e32 v3, vcc, v1, v5, vcc
	v_add_co_u32_e32 v54, vcc, s18, v4
	buffer_store_dword v2, off, s[68:71], 0 offset:80 ; 4-byte Folded Spill
	s_nop 0
	buffer_store_dword v3, off, s[68:71], 0 offset:84 ; 4-byte Folded Spill
	s_load_dword s7, s[4:5], 0x44
	buffer_store_dword v36, off, s[68:71], 0 offset:568 ; 4-byte Folded Spill
	s_waitcnt lgkmcnt(0)
	s_lshl_b32 s7, s7, 8
	s_mul_i32 s8, s15, s7
	s_mul_hi_u32 s9, s14, s7
	s_add_i32 s9, s9, s8
	s_mul_i32 s8, s14, s7
	s_lshl_b64 s[24:25], s[8:9], 3
	s_add_u32 s26, s20, 0xff
	s_addc_u32 s27, 0, 0
	v_addc_co_u32_e32 v51, vcc, v2, v5, vcc
	v_add_co_u32_e32 v3, vcc, 11, v0
	v_addc_co_u32_e32 v4, vcc, 0, v6, vcc
	v_mul_lo_u32 v7, s15, v3
	v_mul_lo_u32 v8, s14, v4
	v_mad_u64_u32 v[4:5], s[2:3], s14, v3, 0
	v_add3_u32 v5, v5, v8, v7
	v_lshlrev_b64 v[4:5], 3, v[4:5]
	v_add_co_u32_e32 v56, vcc, s16, v4
	v_addc_co_u32_e32 v53, vcc, v1, v5, vcc
	v_add_co_u32_e32 v58, vcc, s18, v4
	v_addc_co_u32_e32 v55, vcc, v2, v5, vcc
	v_add_co_u32_e32 v3, vcc, 10, v0
	v_addc_co_u32_e32 v4, vcc, 0, v6, vcc
	v_mul_lo_u32 v7, s15, v3
	v_mul_lo_u32 v8, s14, v4
	v_mad_u64_u32 v[4:5], s[2:3], s14, v3, 0
	v_add3_u32 v5, v5, v8, v7
	v_lshlrev_b64 v[4:5], 3, v[4:5]
	v_add_co_u32_e32 v60, vcc, s16, v4
	v_addc_co_u32_e32 v57, vcc, v1, v5, vcc
	v_add_co_u32_e32 v62, vcc, s18, v4
	;; [unrolled: 11-line block ×10, first 2 shown]
	v_addc_co_u32_e32 v91, vcc, v2, v5, vcc
	v_pk_mov_b32 v[4:5], s[14:15], s[14:15] op_sel:[0,1]
	v_mad_u64_u32 v[4:5], s[2:3], s14, v0, v[4:5]
	v_mul_lo_u32 v3, s14, v6
	v_mul_lo_u32 v8, s15, v0
	v_add3_u32 v5, v8, v5, v3
	v_lshlrev_b64 v[4:5], 3, v[4:5]
	v_add_co_u32_e32 v96, vcc, s16, v4
	v_mad_u64_u32 v[6:7], s[2:3], s14, v0, 0
	v_addc_co_u32_e32 v93, vcc, v1, v5, vcc
	v_add3_u32 v7, v7, v3, v8
	v_add_co_u32_e32 v98, vcc, s18, v4
	v_addc_co_u32_e32 v95, vcc, v2, v5, vcc
	v_lshlrev_b64 v[4:5], 3, v[6:7]
	v_add_co_u32_e32 v100, vcc, s16, v4
	v_addc_co_u32_e32 v97, vcc, v1, v5, vcc
	v_add_co_u32_e32 v102, vcc, s18, v4
	v_addc_co_u32_e32 v99, vcc, v2, v5, vcc
	v_and_b32_e32 v5, 0x3ff, v36
	v_mov_b32_e32 v4, 0
	v_add_u32_e32 v0, s33, v5
	v_mov_b32_e32 v1, v4
	v_cmp_gt_i64_e64 s[2:3], s[14:15], v[0:1]
	v_lshlrev_b64 v[104:105], 3, v[0:1]
	v_mbcnt_lo_u32_b32 v0, -1, 0
	v_mbcnt_hi_u32_b32 v0, -1, v0
	v_lshlrev_b32_e32 v0, 2, v0
	v_and_b32_e32 v101, 0x100, v0
	buffer_store_dword v5, off, s[68:71], 0 offset:128 ; 4-byte Folded Spill
.LBB128_3:                              ; =>This Inner Loop Header: Depth=1
	buffer_load_dword v2, off, s[68:71], 0 offset:120 ; 4-byte Folded Reload
	buffer_load_dword v3, off, s[68:71], 0 offset:124 ; 4-byte Folded Reload
	v_pk_mov_b32 v[0:1], s[12:13], s[12:13] op_sel:[0,1]
	v_cmp_ge_i64_e32 vcc, s[26:27], v[0:1]
	v_mov_b32_e32 v0, s27
	s_waitcnt vmcnt(1)
	v_add_co_u32_e64 v42, s[8:9], s26, v2
	v_addc_co_u32_e64 v43, s[8:9], 0, v0, s[8:9]
	s_cbranch_vccz .LBB128_41
; %bb.4:                                ;   in Loop: Header=BB128_3 Depth=1
	buffer_load_dword v0, off, s[68:71], 0 offset:112 ; 4-byte Folded Reload
	s_load_dword s8, s[22:23], 0xc
	v_pk_mov_b32 v[108:109], 0, 0
	buffer_store_dword v108, off, s[68:71], 0 offset:96 ; 4-byte Folded Spill
	s_nop 0
	buffer_store_dword v109, off, s[68:71], 0 offset:100 ; 4-byte Folded Spill
	s_waitcnt lgkmcnt(0)
	s_and_b32 s8, s8, 0xffff
	s_waitcnt vmcnt(2)
	v_mad_u32_u24 v0, v0, s8, v5
	v_and_b32_e32 v0, 63, v0
	v_cmp_gt_u32_e32 vcc, 16, v0
	s_and_saveexec_b64 s[8:9], vcc
	s_cbranch_execz .LBB128_8
; %bb.5:                                ;   in Loop: Header=BB128_3 Depth=1
	v_add_co_u32_e32 v0, vcc, v42, v0
	v_addc_co_u32_e32 v1, vcc, 0, v43, vcc
	v_add_co_u32_e32 v0, vcc, 0xffffff01, v0
	v_addc_co_u32_e32 v1, vcc, -1, v1, vcc
	v_cmp_gt_i64_e32 vcc, s[12:13], v[0:1]
	v_pk_mov_b32 v[108:109], 0, 0
	s_and_saveexec_b64 s[30:31], vcc
	s_cbranch_execz .LBB128_7
; %bb.6:                                ;   in Loop: Header=BB128_3 Depth=1
	v_lshlrev_b64 v[0:1], 3, v[0:1]
	v_mov_b32_e32 v2, s11
	v_add_co_u32_e32 v0, vcc, s10, v0
	v_addc_co_u32_e32 v1, vcc, v2, v1, vcc
	global_load_dwordx2 v[108:109], v[0:1], off
.LBB128_7:                              ;   in Loop: Header=BB128_3 Depth=1
	s_or_b64 exec, exec, s[30:31]
.LBB128_8:                              ;   in Loop: Header=BB128_3 Depth=1
	s_or_b64 exec, exec, s[8:9]
	v_add_co_u32_e32 v0, vcc, 0xffffff01, v42
	v_addc_co_u32_e32 v1, vcc, -1, v43, vcc
	s_mov_b32 s37, s36
	v_cmp_gt_i64_e32 vcc, s[12:13], v[0:1]
	s_mov_b32 s38, s36
	s_mov_b32 s39, s36
	s_mov_b32 s40, s36
	s_mov_b32 s41, s36
	s_mov_b32 s42, s36
	s_mov_b32 s43, s36
	s_mov_b32 s44, s36
	s_mov_b32 s45, s36
	s_mov_b32 s46, s36
	s_mov_b32 s47, s36
	s_mov_b32 s48, s36
	s_mov_b32 s49, s36
	s_mov_b32 s50, s36
	s_mov_b32 s51, s36
	s_mov_b32 s52, s36
	s_mov_b32 s53, s36
	s_mov_b32 s54, s36
	s_mov_b32 s55, s36
	s_mov_b32 s56, s36
	s_mov_b32 s57, s36
	s_mov_b32 s58, s36
	s_mov_b32 s59, s36
	s_mov_b32 s60, s36
	s_mov_b32 s61, s36
	s_mov_b32 s62, s36
	s_mov_b32 s63, s36
	s_mov_b32 s64, s36
	s_mov_b32 s65, s36
	s_mov_b32 s66, s36
	s_mov_b32 s67, s36
	v_pk_mov_b32 v[6:7], s[36:37], s[36:37] op_sel:[0,1]
	s_and_b64 s[30:31], s[2:3], vcc
	v_pk_mov_b32 v[8:9], s[38:39], s[38:39] op_sel:[0,1]
	v_pk_mov_b32 v[10:11], s[40:41], s[40:41] op_sel:[0,1]
	;; [unrolled: 1-line block ×15, first 2 shown]
	s_and_saveexec_b64 s[8:9], s[30:31]
	s_cbranch_execz .LBB128_10
; %bb.9:                                ;   in Loop: Header=BB128_3 Depth=1
	v_add_co_u32_e32 v0, vcc, v100, v104
	v_addc_co_u32_e32 v1, vcc, v97, v105, vcc
	global_load_dwordx2 v[2:3], v[0:1], off
	v_add_co_u32_e32 v0, vcc, v102, v104
	v_addc_co_u32_e32 v1, vcc, v99, v105, vcc
	global_load_dwordx2 v[0:1], v[0:1], off
	v_mov_b32_e32 v6, v4
	v_mov_b32_e32 v7, v4
	;; [unrolled: 1-line block ×29, first 2 shown]
	s_waitcnt vmcnt(1)
	v_pk_mov_b32 v[36:37], v[32:33], v[32:33] op_sel:[0,1]
	v_pk_mov_b32 v[34:35], v[30:31], v[30:31] op_sel:[0,1]
	;; [unrolled: 1-line block ×15, first 2 shown]
	s_waitcnt vmcnt(0)
	buffer_store_dword v0, off, s[68:71], 0 offset:96 ; 4-byte Folded Spill
	s_nop 0
	buffer_store_dword v1, off, s[68:71], 0 offset:100 ; 4-byte Folded Spill
	v_pk_mov_b32 v[6:7], v[2:3], v[2:3] op_sel:[0,1]
	buffer_load_dword v5, off, s[68:71], 0 offset:128 ; 4-byte Folded Reload
.LBB128_10:                             ;   in Loop: Header=BB128_3 Depth=1
	s_or_b64 exec, exec, s[8:9]
	v_add_co_u32_e32 v0, vcc, 0xffffff02, v42
	v_addc_co_u32_e32 v1, vcc, -1, v43, vcc
	v_cmp_gt_i64_e32 vcc, s[12:13], v[0:1]
	v_pk_mov_b32 v[112:113], 0, 0
	s_and_b64 s[30:31], s[2:3], vcc
	v_pk_mov_b32 v[44:45], v[112:113], v[112:113] op_sel:[0,1]
	s_and_saveexec_b64 s[8:9], s[30:31]
	s_cbranch_execz .LBB128_12
; %bb.11:                               ;   in Loop: Header=BB128_3 Depth=1
	v_add_co_u32_e32 v0, vcc, v96, v104
	v_addc_co_u32_e32 v1, vcc, v93, v105, vcc
	global_load_dwordx2 v[8:9], v[0:1], off
	v_add_co_u32_e32 v0, vcc, v98, v104
	v_addc_co_u32_e32 v1, vcc, v95, v105, vcc
	global_load_dwordx2 v[44:45], v[0:1], off
.LBB128_12:                             ;   in Loop: Header=BB128_3 Depth=1
	s_or_b64 exec, exec, s[8:9]
	v_add_co_u32_e32 v0, vcc, 0xffffff03, v42
	v_addc_co_u32_e32 v1, vcc, -1, v43, vcc
	v_cmp_gt_i64_e32 vcc, s[12:13], v[0:1]
	s_and_b64 s[30:31], s[2:3], vcc
	s_and_saveexec_b64 s[8:9], s[30:31]
	s_cbranch_execz .LBB128_14
; %bb.13:                               ;   in Loop: Header=BB128_3 Depth=1
	v_add_co_u32_e32 v0, vcc, v92, v104
	v_addc_co_u32_e32 v1, vcc, v89, v105, vcc
	global_load_dwordx2 v[10:11], v[0:1], off
	v_add_co_u32_e32 v0, vcc, v94, v104
	v_addc_co_u32_e32 v1, vcc, v91, v105, vcc
	global_load_dwordx2 v[112:113], v[0:1], off
.LBB128_14:                             ;   in Loop: Header=BB128_3 Depth=1
	s_or_b64 exec, exec, s[8:9]
	v_add_co_u32_e32 v0, vcc, 0xffffff04, v42
	v_addc_co_u32_e32 v1, vcc, -1, v43, vcc
	v_cmp_gt_i64_e32 vcc, s[12:13], v[0:1]
	s_and_b64 s[30:31], s[2:3], vcc
	v_pk_mov_b32 v[116:117], 0, 0
	buffer_store_dword v116, off, s[68:71], 0 offset:88 ; 4-byte Folded Spill
	s_nop 0
	buffer_store_dword v117, off, s[68:71], 0 offset:92 ; 4-byte Folded Spill
	s_and_saveexec_b64 s[8:9], s[30:31]
	s_cbranch_execz .LBB128_16
; %bb.15:                               ;   in Loop: Header=BB128_3 Depth=1
	v_add_co_u32_e32 v0, vcc, v88, v104
	v_addc_co_u32_e32 v1, vcc, v85, v105, vcc
	global_load_dwordx2 v[12:13], v[0:1], off
	v_add_co_u32_e32 v0, vcc, v90, v104
	v_addc_co_u32_e32 v1, vcc, v87, v105, vcc
	global_load_dwordx2 v[0:1], v[0:1], off
	s_waitcnt vmcnt(0)
	buffer_store_dword v0, off, s[68:71], 0 offset:88 ; 4-byte Folded Spill
	s_nop 0
	buffer_store_dword v1, off, s[68:71], 0 offset:92 ; 4-byte Folded Spill
.LBB128_16:                             ;   in Loop: Header=BB128_3 Depth=1
	s_or_b64 exec, exec, s[8:9]
	v_add_co_u32_e32 v0, vcc, 0xffffff05, v42
	v_addc_co_u32_e32 v1, vcc, -1, v43, vcc
	v_cmp_gt_i64_e32 vcc, s[12:13], v[0:1]
	s_and_b64 s[30:31], s[2:3], vcc
	s_and_saveexec_b64 s[8:9], s[30:31]
	s_cbranch_execz .LBB128_18
; %bb.17:                               ;   in Loop: Header=BB128_3 Depth=1
	v_add_co_u32_e32 v0, vcc, v84, v104
	v_addc_co_u32_e32 v1, vcc, v81, v105, vcc
	global_load_dwordx2 v[14:15], v[0:1], off
	v_add_co_u32_e32 v0, vcc, v86, v104
	v_addc_co_u32_e32 v1, vcc, v83, v105, vcc
	global_load_dwordx2 v[116:117], v[0:1], off
.LBB128_18:                             ;   in Loop: Header=BB128_3 Depth=1
	s_or_b64 exec, exec, s[8:9]
	v_add_co_u32_e32 v0, vcc, 0xffffff06, v42
	v_addc_co_u32_e32 v1, vcc, -1, v43, vcc
	v_cmp_gt_i64_e32 vcc, s[12:13], v[0:1]
	s_and_b64 s[30:31], s[2:3], vcc
	v_pk_mov_b32 v[120:121], 0, 0
	buffer_store_dword v120, off, s[68:71], 0 offset:104 ; 4-byte Folded Spill
	s_nop 0
	buffer_store_dword v121, off, s[68:71], 0 offset:108 ; 4-byte Folded Spill
	s_and_saveexec_b64 s[8:9], s[30:31]
	s_cbranch_execz .LBB128_20
; %bb.19:                               ;   in Loop: Header=BB128_3 Depth=1
	v_add_co_u32_e32 v0, vcc, v80, v104
	v_addc_co_u32_e32 v1, vcc, v77, v105, vcc
	global_load_dwordx2 v[16:17], v[0:1], off
	v_add_co_u32_e32 v0, vcc, v82, v104
	v_addc_co_u32_e32 v1, vcc, v79, v105, vcc
	global_load_dwordx2 v[0:1], v[0:1], off
	s_waitcnt vmcnt(0)
	buffer_store_dword v0, off, s[68:71], 0 offset:104 ; 4-byte Folded Spill
	s_nop 0
	buffer_store_dword v1, off, s[68:71], 0 offset:108 ; 4-byte Folded Spill
.LBB128_20:                             ;   in Loop: Header=BB128_3 Depth=1
	s_or_b64 exec, exec, s[8:9]
	v_add_co_u32_e32 v0, vcc, 0xffffff07, v42
	v_addc_co_u32_e32 v1, vcc, -1, v43, vcc
	v_cmp_gt_i64_e32 vcc, s[12:13], v[0:1]
	s_and_b64 s[30:31], s[2:3], vcc
	s_and_saveexec_b64 s[8:9], s[30:31]
	s_cbranch_execz .LBB128_22
; %bb.21:                               ;   in Loop: Header=BB128_3 Depth=1
	v_add_co_u32_e32 v0, vcc, v76, v104
	v_addc_co_u32_e32 v1, vcc, v73, v105, vcc
	global_load_dwordx2 v[18:19], v[0:1], off
	v_add_co_u32_e32 v0, vcc, v78, v104
	v_addc_co_u32_e32 v1, vcc, v75, v105, vcc
	global_load_dwordx2 v[120:121], v[0:1], off
.LBB128_22:                             ;   in Loop: Header=BB128_3 Depth=1
	s_or_b64 exec, exec, s[8:9]
	v_add_co_u32_e32 v0, vcc, 0xffffff08, v42
	v_addc_co_u32_e32 v1, vcc, -1, v43, vcc
	v_cmp_gt_i64_e32 vcc, s[12:13], v[0:1]
	v_pk_mov_b32 v[126:127], 0, 0
	s_and_b64 s[30:31], s[2:3], vcc
	v_pk_mov_b32 v[114:115], v[126:127], v[126:127] op_sel:[0,1]
	s_and_saveexec_b64 s[8:9], s[30:31]
	s_cbranch_execz .LBB128_24
; %bb.23:                               ;   in Loop: Header=BB128_3 Depth=1
	v_add_co_u32_e32 v0, vcc, v72, v104
	v_addc_co_u32_e32 v1, vcc, v69, v105, vcc
	global_load_dwordx2 v[20:21], v[0:1], off
	v_add_co_u32_e32 v0, vcc, v74, v104
	v_addc_co_u32_e32 v1, vcc, v71, v105, vcc
	global_load_dwordx2 v[114:115], v[0:1], off
.LBB128_24:                             ;   in Loop: Header=BB128_3 Depth=1
	s_or_b64 exec, exec, s[8:9]
	v_add_co_u32_e32 v0, vcc, 0xffffff09, v42
	v_addc_co_u32_e32 v1, vcc, -1, v43, vcc
	v_cmp_gt_i64_e32 vcc, s[12:13], v[0:1]
	s_and_b64 s[30:31], s[2:3], vcc
	s_and_saveexec_b64 s[8:9], s[30:31]
	s_cbranch_execz .LBB128_26
; %bb.25:                               ;   in Loop: Header=BB128_3 Depth=1
	v_add_co_u32_e32 v0, vcc, v68, v104
	v_addc_co_u32_e32 v1, vcc, v65, v105, vcc
	global_load_dwordx2 v[22:23], v[0:1], off
	v_add_co_u32_e32 v0, vcc, v70, v104
	v_addc_co_u32_e32 v1, vcc, v67, v105, vcc
	global_load_dwordx2 v[126:127], v[0:1], off
.LBB128_26:                             ;   in Loop: Header=BB128_3 Depth=1
	s_or_b64 exec, exec, s[8:9]
	v_add_co_u32_e32 v0, vcc, 0xffffff0a, v42
	v_addc_co_u32_e32 v1, vcc, -1, v43, vcc
	v_cmp_gt_i64_e32 vcc, s[12:13], v[0:1]
	v_pk_mov_b32 v[118:119], 0, 0
	s_and_b64 s[30:31], s[2:3], vcc
	v_pk_mov_b32 v[110:111], v[118:119], v[118:119] op_sel:[0,1]
	s_and_saveexec_b64 s[8:9], s[30:31]
	s_cbranch_execz .LBB128_28
; %bb.27:                               ;   in Loop: Header=BB128_3 Depth=1
	v_add_co_u32_e32 v0, vcc, v64, v104
	v_addc_co_u32_e32 v1, vcc, v61, v105, vcc
	global_load_dwordx2 v[24:25], v[0:1], off
	v_add_co_u32_e32 v0, vcc, v66, v104
	v_addc_co_u32_e32 v1, vcc, v63, v105, vcc
	global_load_dwordx2 v[110:111], v[0:1], off
.LBB128_28:                             ;   in Loop: Header=BB128_3 Depth=1
	;; [unrolled: 32-line block ×3, first 2 shown]
	s_or_b64 exec, exec, s[8:9]
	v_add_co_u32_e32 v0, vcc, 0xffffff0d, v42
	v_addc_co_u32_e32 v1, vcc, -1, v43, vcc
	v_cmp_gt_i64_e32 vcc, s[12:13], v[0:1]
	s_and_b64 s[30:31], s[2:3], vcc
	s_and_saveexec_b64 s[8:9], s[30:31]
	s_cbranch_execz .LBB128_34
; %bb.33:                               ;   in Loop: Header=BB128_3 Depth=1
	buffer_load_dword v2, off, s[68:71], 0 offset:80 ; 4-byte Folded Reload
	buffer_load_dword v3, off, s[68:71], 0 offset:84 ; 4-byte Folded Reload
	v_add_co_u32_e32 v0, vcc, v52, v104
	s_waitcnt vmcnt(0)
	v_addc_co_u32_e32 v1, vcc, v3, v105, vcc
	global_load_dwordx2 v[30:31], v[0:1], off
	v_add_co_u32_e32 v0, vcc, v54, v104
	v_addc_co_u32_e32 v1, vcc, v51, v105, vcc
	global_load_dwordx2 v[124:125], v[0:1], off
.LBB128_34:                             ;   in Loop: Header=BB128_3 Depth=1
	s_or_b64 exec, exec, s[8:9]
	v_add_co_u32_e32 v0, vcc, 0xffffff0e, v42
	v_addc_co_u32_e32 v1, vcc, -1, v43, vcc
	v_cmp_gt_i64_e32 vcc, s[12:13], v[0:1]
	v_pk_mov_b32 v[40:41], 0, 0
	s_and_b64 s[30:31], s[2:3], vcc
	v_pk_mov_b32 v[0:1], v[40:41], v[40:41] op_sel:[0,1]
	s_and_saveexec_b64 s[8:9], s[30:31]
	s_cbranch_execz .LBB128_36
; %bb.35:                               ;   in Loop: Header=BB128_3 Depth=1
	buffer_load_dword v0, off, s[68:71], 0 offset:72 ; 4-byte Folded Reload
	buffer_load_dword v1, off, s[68:71], 0 offset:76 ; 4-byte Folded Reload
	buffer_load_dword v2, off, s[68:71], 0 offset:56 ; 4-byte Folded Reload
	buffer_load_dword v3, off, s[68:71], 0 offset:60 ; 4-byte Folded Reload
	s_waitcnt vmcnt(3)
	v_add_co_u32_e32 v0, vcc, v0, v104
	s_waitcnt vmcnt(0)
	v_addc_co_u32_e32 v1, vcc, v3, v105, vcc
	global_load_dwordx2 v[32:33], v[0:1], off
	buffer_load_dword v2, off, s[68:71], 0 offset:64 ; 4-byte Folded Reload
	buffer_load_dword v3, off, s[68:71], 0 offset:68 ; 4-byte Folded Reload
	v_add_co_u32_e32 v0, vcc, v50, v104
	s_waitcnt vmcnt(0)
	v_addc_co_u32_e32 v1, vcc, v3, v105, vcc
	global_load_dwordx2 v[0:1], v[0:1], off
.LBB128_36:                             ;   in Loop: Header=BB128_3 Depth=1
	s_or_b64 exec, exec, s[8:9]
	v_add_co_u32_e32 v2, vcc, 0xffffff0f, v42
	v_addc_co_u32_e32 v3, vcc, -1, v43, vcc
	v_cmp_gt_i64_e32 vcc, s[12:13], v[2:3]
	s_and_b64 s[30:31], s[2:3], vcc
	s_and_saveexec_b64 s[8:9], s[30:31]
	s_cbranch_execz .LBB128_38
; %bb.37:                               ;   in Loop: Header=BB128_3 Depth=1
	buffer_load_dword v2, off, s[68:71], 0 offset:32 ; 4-byte Folded Reload
	buffer_load_dword v3, off, s[68:71], 0 offset:36 ; 4-byte Folded Reload
	s_waitcnt vmcnt(1)
	v_add_co_u32_e32 v2, vcc, v2, v104
	s_waitcnt vmcnt(0)
	v_addc_co_u32_e32 v3, vcc, v103, v105, vcc
	global_load_dwordx2 v[34:35], v[2:3], off
	s_nop 0
	buffer_load_dword v2, off, s[68:71], 0 offset:40 ; 4-byte Folded Reload
	buffer_load_dword v3, off, s[68:71], 0 offset:44 ; 4-byte Folded Reload
	;; [unrolled: 1-line block ×4, first 2 shown]
	s_waitcnt vmcnt(3)
	v_add_co_u32_e32 v2, vcc, v2, v104
	s_waitcnt vmcnt(0)
	v_addc_co_u32_e32 v3, vcc, v41, v105, vcc
	global_load_dwordx2 v[40:41], v[2:3], off
.LBB128_38:                             ;   in Loop: Header=BB128_3 Depth=1
	s_or_b64 exec, exec, s[8:9]
	v_add_co_u32_e32 v2, vcc, 0xffffff10, v42
	v_addc_co_u32_e32 v3, vcc, -1, v43, vcc
	v_cmp_gt_i64_e32 vcc, s[12:13], v[2:3]
	s_and_b64 s[30:31], s[2:3], vcc
	v_pk_mov_b32 v[122:123], 0, 0
	s_and_saveexec_b64 s[8:9], s[30:31]
	s_cbranch_execz .LBB128_40
; %bb.39:                               ;   in Loop: Header=BB128_3 Depth=1
	buffer_load_dword v2, off, s[68:71], 0  ; 4-byte Folded Reload
	buffer_load_dword v3, off, s[68:71], 0 offset:4 ; 4-byte Folded Reload
	buffer_load_dword v36, off, s[68:71], 0 offset:8 ; 4-byte Folded Reload
	;; [unrolled: 1-line block ×3, first 2 shown]
	s_waitcnt vmcnt(8)
	v_pk_mov_b32 v[122:123], v[44:45], v[44:45] op_sel:[0,1]
	s_waitcnt vmcnt(3)
	v_add_co_u32_e32 v2, vcc, v2, v104
	s_waitcnt vmcnt(0)
	v_addc_co_u32_e32 v3, vcc, v37, v105, vcc
	global_load_dwordx2 v[36:37], v[2:3], off
	s_nop 0
	buffer_load_dword v2, off, s[68:71], 0 offset:16 ; 4-byte Folded Reload
	buffer_load_dword v3, off, s[68:71], 0 offset:20 ; 4-byte Folded Reload
	;; [unrolled: 1-line block ×4, first 2 shown]
	s_waitcnt vmcnt(3)
	v_add_co_u32_e32 v2, vcc, v2, v104
	s_waitcnt vmcnt(0)
	v_addc_co_u32_e32 v3, vcc, v45, v105, vcc
	v_pk_mov_b32 v[44:45], v[122:123], v[122:123] op_sel:[0,1]
	global_load_dwordx2 v[122:123], v[2:3], off
.LBB128_40:                             ;   in Loop: Header=BB128_3 Depth=1
	s_or_b64 exec, exec, s[8:9]
	buffer_load_dword v46, off, s[68:71], 0 offset:96 ; 4-byte Folded Reload
	buffer_load_dword v47, off, s[68:71], 0 offset:100 ; 4-byte Folded Reload
	s_waitcnt vmcnt(6)
	ds_bpermute_b32 v2, v101, v108
	ds_bpermute_b32 v3, v101, v109
	v_mul_f64 v[8:9], v[44:45], v[8:9]
	s_waitcnt vmcnt(2)
	v_mul_f64 v[0:1], v[0:1], v[32:33]
	s_waitcnt vmcnt(0)
	v_mul_f64 v[6:7], v[46:47], v[6:7]
	s_waitcnt lgkmcnt(0)
	v_fma_f64 v[2:3], v[6:7], v[2:3], v[106:107]
	ds_bpermute_b32 v6, v101, v108 offset:4
	ds_bpermute_b32 v7, v101, v109 offset:4
	s_waitcnt lgkmcnt(0)
	v_fmac_f64_e32 v[2:3], v[8:9], v[6:7]
	ds_bpermute_b32 v6, v101, v108 offset:8
	ds_bpermute_b32 v7, v101, v109 offset:8
	v_mul_f64 v[8:9], v[112:113], v[10:11]
	s_waitcnt lgkmcnt(0)
	v_fmac_f64_e32 v[2:3], v[8:9], v[6:7]
	buffer_load_dword v8, off, s[68:71], 0 offset:88 ; 4-byte Folded Reload
	buffer_load_dword v9, off, s[68:71], 0 offset:92 ; 4-byte Folded Reload
	ds_bpermute_b32 v6, v101, v108 offset:12
	ds_bpermute_b32 v7, v101, v109 offset:12
	s_waitcnt vmcnt(0)
	v_mul_f64 v[8:9], v[8:9], v[12:13]
	s_waitcnt lgkmcnt(0)
	v_fmac_f64_e32 v[2:3], v[8:9], v[6:7]
	ds_bpermute_b32 v6, v101, v108 offset:16
	ds_bpermute_b32 v7, v101, v109 offset:16
	v_mul_f64 v[8:9], v[116:117], v[14:15]
	s_waitcnt lgkmcnt(0)
	v_fmac_f64_e32 v[2:3], v[8:9], v[6:7]
	buffer_load_dword v8, off, s[68:71], 0 offset:104 ; 4-byte Folded Reload
	buffer_load_dword v9, off, s[68:71], 0 offset:108 ; 4-byte Folded Reload
	ds_bpermute_b32 v6, v101, v108 offset:20
	ds_bpermute_b32 v7, v101, v109 offset:20
	s_waitcnt vmcnt(0)
	v_mul_f64 v[8:9], v[8:9], v[16:17]
	s_waitcnt lgkmcnt(0)
	v_fmac_f64_e32 v[2:3], v[8:9], v[6:7]
	ds_bpermute_b32 v6, v101, v108 offset:24
	ds_bpermute_b32 v7, v101, v109 offset:24
	v_mul_f64 v[8:9], v[120:121], v[18:19]
	s_waitcnt lgkmcnt(0)
	v_fmac_f64_e32 v[2:3], v[8:9], v[6:7]
	ds_bpermute_b32 v6, v101, v108 offset:28
	ds_bpermute_b32 v7, v101, v109 offset:28
	v_mul_f64 v[8:9], v[114:115], v[20:21]
	s_waitcnt lgkmcnt(0)
	v_fmac_f64_e32 v[2:3], v[8:9], v[6:7]
	ds_bpermute_b32 v6, v101, v108 offset:32
	ds_bpermute_b32 v7, v101, v109 offset:32
	v_mul_f64 v[8:9], v[126:127], v[22:23]
	s_waitcnt lgkmcnt(0)
	v_fmac_f64_e32 v[2:3], v[8:9], v[6:7]
	ds_bpermute_b32 v6, v101, v108 offset:36
	ds_bpermute_b32 v7, v101, v109 offset:36
	v_mul_f64 v[8:9], v[110:111], v[24:25]
	s_waitcnt lgkmcnt(0)
	v_fmac_f64_e32 v[2:3], v[8:9], v[6:7]
	ds_bpermute_b32 v6, v101, v108 offset:40
	ds_bpermute_b32 v7, v101, v109 offset:40
	v_mul_f64 v[8:9], v[118:119], v[26:27]
	s_waitcnt lgkmcnt(0)
	v_fmac_f64_e32 v[2:3], v[8:9], v[6:7]
	ds_bpermute_b32 v6, v101, v108 offset:44
	ds_bpermute_b32 v7, v101, v109 offset:44
	v_mul_f64 v[8:9], v[38:39], v[28:29]
	s_waitcnt lgkmcnt(0)
	v_fmac_f64_e32 v[2:3], v[8:9], v[6:7]
	ds_bpermute_b32 v6, v101, v108 offset:48
	ds_bpermute_b32 v7, v101, v109 offset:48
	v_mul_f64 v[8:9], v[124:125], v[30:31]
	s_waitcnt lgkmcnt(0)
	v_fmac_f64_e32 v[2:3], v[8:9], v[6:7]
	ds_bpermute_b32 v6, v101, v108 offset:52
	ds_bpermute_b32 v7, v101, v109 offset:52
	s_waitcnt lgkmcnt(0)
	v_fmac_f64_e32 v[2:3], v[0:1], v[6:7]
	ds_bpermute_b32 v0, v101, v108 offset:56
	ds_bpermute_b32 v1, v101, v109 offset:56
	v_mul_f64 v[6:7], v[40:41], v[34:35]
	s_waitcnt lgkmcnt(0)
	v_fmac_f64_e32 v[2:3], v[6:7], v[0:1]
	ds_bpermute_b32 v0, v101, v108 offset:60
	ds_bpermute_b32 v1, v101, v109 offset:60
	s_branch .LBB128_77
.LBB128_41:                             ;   in Loop: Header=BB128_3 Depth=1
                                        ; implicit-def: $vgpr2_vgpr3
                                        ; implicit-def: $vgpr122_vgpr123
                                        ; implicit-def: $vgpr6_vgpr7_vgpr8_vgpr9_vgpr10_vgpr11_vgpr12_vgpr13_vgpr14_vgpr15_vgpr16_vgpr17_vgpr18_vgpr19_vgpr20_vgpr21_vgpr22_vgpr23_vgpr24_vgpr25_vgpr26_vgpr27_vgpr28_vgpr29_vgpr30_vgpr31_vgpr32_vgpr33_vgpr34_vgpr35_vgpr36_vgpr37
                                        ; implicit-def: $vgpr0
	s_cbranch_execz .LBB128_77
; %bb.42:                               ;   in Loop: Header=BB128_3 Depth=1
	s_load_dword s8, s[22:23], 0x0
	s_waitcnt lgkmcnt(0)
	buffer_load_dword v1, off, s[68:71], 0 offset:112 ; 4-byte Folded Reload
	v_pk_mov_b32 v[110:111], 0, 0
	v_pk_mov_b32 v[108:109], v[110:111], v[110:111] op_sel:[0,1]
	s_cmp_lt_u32 s6, s8
	s_cselect_b32 s8, 12, 18
	s_add_u32 s8, s22, s8
	s_addc_u32 s9, s23, 0
	global_load_ushort v0, v4, s[8:9]
	s_waitcnt vmcnt(0)
	v_mad_u32_u24 v0, v1, v0, v5
	v_and_b32_e32 v0, 63, v0
	v_cmp_gt_u32_e32 vcc, 16, v0
	s_and_saveexec_b64 s[8:9], vcc
	s_cbranch_execz .LBB128_46
; %bb.43:                               ;   in Loop: Header=BB128_3 Depth=1
	v_add_co_u32_e32 v0, vcc, v42, v0
	v_addc_co_u32_e32 v1, vcc, 0, v43, vcc
	v_add_co_u32_e32 v0, vcc, 0xffffff01, v0
	v_addc_co_u32_e32 v1, vcc, -1, v1, vcc
	v_cmp_gt_i64_e32 vcc, s[12:13], v[0:1]
	v_pk_mov_b32 v[108:109], 0, 0
	s_and_saveexec_b64 s[30:31], vcc
	s_cbranch_execz .LBB128_45
; %bb.44:                               ;   in Loop: Header=BB128_3 Depth=1
	v_lshlrev_b64 v[0:1], 3, v[0:1]
	v_mov_b32_e32 v2, s11
	v_add_co_u32_e32 v0, vcc, s10, v0
	v_addc_co_u32_e32 v1, vcc, v2, v1, vcc
	global_load_dwordx2 v[108:109], v[0:1], off
.LBB128_45:                             ;   in Loop: Header=BB128_3 Depth=1
	s_or_b64 exec, exec, s[30:31]
.LBB128_46:                             ;   in Loop: Header=BB128_3 Depth=1
	s_or_b64 exec, exec, s[8:9]
	s_mov_b32 s37, s36
	s_mov_b32 s38, s36
	;; [unrolled: 1-line block ×31, first 2 shown]
	v_pk_mov_b32 v[6:7], s[36:37], s[36:37] op_sel:[0,1]
	v_pk_mov_b32 v[8:9], s[38:39], s[38:39] op_sel:[0,1]
	;; [unrolled: 1-line block ×16, first 2 shown]
	s_and_saveexec_b64 s[8:9], s[2:3]
	s_cbranch_execz .LBB128_48
; %bb.47:                               ;   in Loop: Header=BB128_3 Depth=1
	v_add_co_u32_e32 v0, vcc, v100, v104
	v_addc_co_u32_e32 v1, vcc, v97, v105, vcc
	global_load_dwordx2 v[2:3], v[0:1], off
	v_add_co_u32_e32 v0, vcc, v102, v104
	v_mov_b32_e32 v6, v4
	v_mov_b32_e32 v7, v4
	;; [unrolled: 1-line block ×28, first 2 shown]
	v_addc_co_u32_e32 v1, vcc, v99, v105, vcc
	v_mov_b32_e32 v5, v4
	s_waitcnt vmcnt(0)
	v_pk_mov_b32 v[36:37], v[32:33], v[32:33] op_sel:[0,1]
	global_load_dwordx2 v[110:111], v[0:1], off
	v_pk_mov_b32 v[34:35], v[30:31], v[30:31] op_sel:[0,1]
	v_pk_mov_b32 v[32:33], v[28:29], v[28:29] op_sel:[0,1]
	;; [unrolled: 1-line block ×15, first 2 shown]
	buffer_load_dword v5, off, s[68:71], 0 offset:128 ; 4-byte Folded Reload
.LBB128_48:                             ;   in Loop: Header=BB128_3 Depth=1
	s_or_b64 exec, exec, s[8:9]
	v_pk_mov_b32 v[2:3], 0, 0
	v_pk_mov_b32 v[48:49], v[2:3], v[2:3] op_sel:[0,1]
	s_and_saveexec_b64 s[8:9], s[2:3]
	s_cbranch_execz .LBB128_50
; %bb.49:                               ;   in Loop: Header=BB128_3 Depth=1
	v_add_co_u32_e32 v0, vcc, v96, v104
	v_addc_co_u32_e32 v1, vcc, v93, v105, vcc
	global_load_dwordx2 v[8:9], v[0:1], off
	v_add_co_u32_e32 v0, vcc, v98, v104
	v_addc_co_u32_e32 v1, vcc, v95, v105, vcc
	global_load_dwordx2 v[48:49], v[0:1], off
.LBB128_50:                             ;   in Loop: Header=BB128_3 Depth=1
	s_or_b64 exec, exec, s[8:9]
	s_and_saveexec_b64 s[8:9], s[2:3]
	s_cbranch_execz .LBB128_52
; %bb.51:                               ;   in Loop: Header=BB128_3 Depth=1
	v_add_co_u32_e32 v0, vcc, v92, v104
	v_addc_co_u32_e32 v1, vcc, v89, v105, vcc
	global_load_dwordx2 v[10:11], v[0:1], off
	v_add_co_u32_e32 v0, vcc, v94, v104
	v_addc_co_u32_e32 v1, vcc, v91, v105, vcc
	global_load_dwordx2 v[2:3], v[0:1], off
.LBB128_52:                             ;   in Loop: Header=BB128_3 Depth=1
	s_or_b64 exec, exec, s[8:9]
	v_pk_mov_b32 v[114:115], 0, 0
	v_pk_mov_b32 v[116:117], v[114:115], v[114:115] op_sel:[0,1]
	s_and_saveexec_b64 s[8:9], s[2:3]
	s_cbranch_execz .LBB128_54
; %bb.53:                               ;   in Loop: Header=BB128_3 Depth=1
	v_add_co_u32_e32 v0, vcc, v88, v104
	v_addc_co_u32_e32 v1, vcc, v85, v105, vcc
	global_load_dwordx2 v[12:13], v[0:1], off
	v_add_co_u32_e32 v0, vcc, v90, v104
	v_addc_co_u32_e32 v1, vcc, v87, v105, vcc
	global_load_dwordx2 v[116:117], v[0:1], off
.LBB128_54:                             ;   in Loop: Header=BB128_3 Depth=1
	s_or_b64 exec, exec, s[8:9]
	s_and_saveexec_b64 s[8:9], s[2:3]
	s_cbranch_execz .LBB128_56
; %bb.55:                               ;   in Loop: Header=BB128_3 Depth=1
	v_add_co_u32_e32 v0, vcc, v84, v104
	v_addc_co_u32_e32 v1, vcc, v81, v105, vcc
	global_load_dwordx2 v[14:15], v[0:1], off
	v_add_co_u32_e32 v0, vcc, v86, v104
	v_addc_co_u32_e32 v1, vcc, v83, v105, vcc
	global_load_dwordx2 v[114:115], v[0:1], off
.LBB128_56:                             ;   in Loop: Header=BB128_3 Depth=1
	;; [unrolled: 24-line block ×4, first 2 shown]
	s_or_b64 exec, exec, s[8:9]
	v_pk_mov_b32 v[40:41], 0, 0
	v_pk_mov_b32 v[0:1], v[40:41], v[40:41] op_sel:[0,1]
	s_and_saveexec_b64 s[8:9], s[2:3]
	s_cbranch_execz .LBB128_66
; %bb.65:                               ;   in Loop: Header=BB128_3 Depth=1
	v_add_co_u32_e32 v0, vcc, v64, v104
	v_addc_co_u32_e32 v1, vcc, v61, v105, vcc
	global_load_dwordx2 v[24:25], v[0:1], off
	v_add_co_u32_e32 v0, vcc, v66, v104
	v_addc_co_u32_e32 v1, vcc, v63, v105, vcc
	global_load_dwordx2 v[0:1], v[0:1], off
.LBB128_66:                             ;   in Loop: Header=BB128_3 Depth=1
	s_or_b64 exec, exec, s[8:9]
	s_and_saveexec_b64 s[8:9], s[2:3]
	s_cbranch_execz .LBB128_68
; %bb.67:                               ;   in Loop: Header=BB128_3 Depth=1
	v_add_co_u32_e32 v26, vcc, v60, v104
	v_addc_co_u32_e32 v27, vcc, v57, v105, vcc
	v_add_co_u32_e32 v40, vcc, v62, v104
	v_addc_co_u32_e32 v41, vcc, v59, v105, vcc
	global_load_dwordx2 v[26:27], v[26:27], off
	s_nop 0
	global_load_dwordx2 v[40:41], v[40:41], off
.LBB128_68:                             ;   in Loop: Header=BB128_3 Depth=1
	s_or_b64 exec, exec, s[8:9]
	v_pk_mov_b32 v[126:127], 0, 0
	v_pk_mov_b32 v[42:43], v[126:127], v[126:127] op_sel:[0,1]
	s_and_saveexec_b64 s[8:9], s[2:3]
	s_cbranch_execz .LBB128_70
; %bb.69:                               ;   in Loop: Header=BB128_3 Depth=1
	v_add_co_u32_e32 v28, vcc, v56, v104
	v_addc_co_u32_e32 v29, vcc, v53, v105, vcc
	v_add_co_u32_e32 v42, vcc, v58, v104
	v_addc_co_u32_e32 v43, vcc, v55, v105, vcc
	global_load_dwordx2 v[28:29], v[28:29], off
	s_nop 0
	global_load_dwordx2 v[42:43], v[42:43], off
.LBB128_70:                             ;   in Loop: Header=BB128_3 Depth=1
	s_or_b64 exec, exec, s[8:9]
	s_and_saveexec_b64 s[8:9], s[2:3]
	s_cbranch_execz .LBB128_72
; %bb.71:                               ;   in Loop: Header=BB128_3 Depth=1
	buffer_load_dword v44, off, s[68:71], 0 offset:80 ; 4-byte Folded Reload
	buffer_load_dword v45, off, s[68:71], 0 offset:84 ; 4-byte Folded Reload
	v_add_co_u32_e32 v30, vcc, v52, v104
	s_waitcnt vmcnt(0)
	v_addc_co_u32_e32 v31, vcc, v45, v105, vcc
	v_add_co_u32_e32 v44, vcc, v54, v104
	v_addc_co_u32_e32 v45, vcc, v51, v105, vcc
	global_load_dwordx2 v[30:31], v[30:31], off
	s_nop 0
	global_load_dwordx2 v[126:127], v[44:45], off
.LBB128_72:                             ;   in Loop: Header=BB128_3 Depth=1
	s_or_b64 exec, exec, s[8:9]
	v_pk_mov_b32 v[44:45], 0, 0
	v_pk_mov_b32 v[112:113], v[44:45], v[44:45] op_sel:[0,1]
	s_and_saveexec_b64 s[8:9], s[2:3]
	s_cbranch_execnz .LBB128_79
; %bb.73:                               ;   in Loop: Header=BB128_3 Depth=1
	s_or_b64 exec, exec, s[8:9]
	s_and_saveexec_b64 s[8:9], s[2:3]
	s_cbranch_execnz .LBB128_80
.LBB128_74:                             ;   in Loop: Header=BB128_3 Depth=1
	s_or_b64 exec, exec, s[8:9]
	v_pk_mov_b32 v[122:123], 0, 0
	s_and_saveexec_b64 s[8:9], s[2:3]
	s_cbranch_execz .LBB128_76
.LBB128_75:                             ;   in Loop: Header=BB128_3 Depth=1
	buffer_load_dword v36, off, s[68:71], 0 ; 4-byte Folded Reload
	buffer_load_dword v37, off, s[68:71], 0 offset:4 ; 4-byte Folded Reload
	buffer_load_dword v46, off, s[68:71], 0 offset:8 ; 4-byte Folded Reload
	;; [unrolled: 1-line block ×3, first 2 shown]
	s_waitcnt vmcnt(3)
	v_add_co_u32_e32 v36, vcc, v36, v104
	s_waitcnt vmcnt(0)
	v_addc_co_u32_e32 v37, vcc, v47, v105, vcc
	global_load_dwordx2 v[36:37], v[36:37], off
	s_nop 0
	buffer_load_dword v46, off, s[68:71], 0 offset:16 ; 4-byte Folded Reload
	buffer_load_dword v47, off, s[68:71], 0 offset:20 ; 4-byte Folded Reload
	s_waitcnt vmcnt(1)
	v_add_co_u32_e32 v122, vcc, v46, v104
	buffer_load_dword v46, off, s[68:71], 0 offset:24 ; 4-byte Folded Reload
	buffer_load_dword v47, off, s[68:71], 0 offset:28 ; 4-byte Folded Reload
	s_waitcnt vmcnt(0)
	v_addc_co_u32_e32 v123, vcc, v47, v105, vcc
	global_load_dwordx2 v[122:123], v[122:123], off
.LBB128_76:                             ;   in Loop: Header=BB128_3 Depth=1
	s_or_b64 exec, exec, s[8:9]
	s_waitcnt vmcnt(0)
	ds_bpermute_b32 v46, v101, v108
	ds_bpermute_b32 v47, v101, v109
	v_mul_f64 v[6:7], v[110:111], v[6:7]
	ds_bpermute_b32 v110, v101, v108 offset:4
	ds_bpermute_b32 v111, v101, v109 offset:4
	v_mul_f64 v[2:3], v[2:3], v[10:11]
	s_waitcnt lgkmcnt(2)
	v_fmac_f64_e32 v[106:107], v[6:7], v[46:47]
	v_mul_f64 v[6:7], v[48:49], v[8:9]
	ds_bpermute_b32 v8, v101, v108 offset:8
	ds_bpermute_b32 v9, v101, v109 offset:8
	;; [unrolled: 1-line block ×4, first 2 shown]
	s_waitcnt lgkmcnt(4)
	v_fmac_f64_e32 v[106:107], v[6:7], v[110:111]
	ds_bpermute_b32 v10, v101, v108 offset:24
	s_waitcnt lgkmcnt(3)
	v_fmac_f64_e32 v[106:107], v[2:3], v[8:9]
	v_mul_f64 v[2:3], v[116:117], v[12:13]
	s_waitcnt lgkmcnt(1)
	v_fmac_f64_e32 v[106:107], v[2:3], v[46:47]
	ds_bpermute_b32 v2, v101, v108 offset:16
	ds_bpermute_b32 v3, v101, v109 offset:16
	ds_bpermute_b32 v8, v101, v108 offset:20
	ds_bpermute_b32 v9, v101, v109 offset:20
	ds_bpermute_b32 v11, v101, v109 offset:24
	v_mul_f64 v[6:7], v[114:115], v[14:15]
	s_waitcnt lgkmcnt(3)
	v_fmac_f64_e32 v[106:107], v[6:7], v[2:3]
	v_mul_f64 v[2:3], v[120:121], v[16:17]
	s_waitcnt lgkmcnt(1)
	v_fmac_f64_e32 v[106:107], v[2:3], v[8:9]
	;; [unrolled: 3-line block ×3, first 2 shown]
	ds_bpermute_b32 v2, v101, v108 offset:28
	ds_bpermute_b32 v3, v101, v109 offset:28
	;; [unrolled: 1-line block ×6, first 2 shown]
	v_mul_f64 v[6:7], v[38:39], v[20:21]
	s_waitcnt lgkmcnt(4)
	v_fmac_f64_e32 v[106:107], v[6:7], v[2:3]
	v_mul_f64 v[2:3], v[124:125], v[22:23]
	s_waitcnt lgkmcnt(2)
	v_fmac_f64_e32 v[106:107], v[2:3], v[8:9]
	;; [unrolled: 3-line block ×3, first 2 shown]
	ds_bpermute_b32 v0, v101, v108 offset:40
	ds_bpermute_b32 v1, v101, v109 offset:40
	;; [unrolled: 1-line block ×6, first 2 shown]
	v_mul_f64 v[2:3], v[40:41], v[26:27]
	s_waitcnt lgkmcnt(4)
	v_fmac_f64_e32 v[106:107], v[2:3], v[0:1]
	v_mul_f64 v[0:1], v[42:43], v[28:29]
	s_waitcnt lgkmcnt(2)
	v_fmac_f64_e32 v[106:107], v[0:1], v[6:7]
	v_mul_f64 v[0:1], v[126:127], v[30:31]
	ds_bpermute_b32 v2, v101, v108 offset:52
	ds_bpermute_b32 v3, v101, v109 offset:52
	s_waitcnt lgkmcnt(2)
	v_fmac_f64_e32 v[106:107], v[0:1], v[8:9]
	ds_bpermute_b32 v8, v101, v108 offset:56
	ds_bpermute_b32 v9, v101, v109 offset:56
	v_mul_f64 v[6:7], v[112:113], v[32:33]
	s_waitcnt lgkmcnt(2)
	v_fmac_f64_e32 v[106:107], v[6:7], v[2:3]
	v_mul_f64 v[2:3], v[44:45], v[34:35]
	ds_bpermute_b32 v0, v101, v108 offset:60
	s_waitcnt lgkmcnt(1)
	v_fmac_f64_e32 v[106:107], v[2:3], v[8:9]
	ds_bpermute_b32 v1, v101, v109 offset:60
	v_pk_mov_b32 v[2:3], v[106:107], v[106:107] op_sel:[0,1]
.LBB128_77:                             ;   in Loop: Header=BB128_3 Depth=1
	v_mul_f64 v[6:7], v[122:123], v[36:37]
	s_waitcnt vmcnt(0) lgkmcnt(0)
	v_fmac_f64_e32 v[2:3], v[6:7], v[0:1]
	buffer_load_dword v6, off, s[68:71], 0  ; 4-byte Folded Reload
	buffer_load_dword v7, off, s[68:71], 0 offset:4 ; 4-byte Folded Reload
	s_add_u32 s28, s28, s7
	s_addc_u32 s29, s29, 0
	v_pk_mov_b32 v[0:1], s[12:13], s[12:13] op_sel:[0,1]
	v_cmp_lt_i64_e32 vcc, s[28:29], v[0:1]
	v_mov_b32_e32 v0, s25
	s_add_u32 s26, s26, s7
	s_addc_u32 s27, s27, 0
	s_and_b64 vcc, exec, vcc
	s_waitcnt vmcnt(1)
	v_add_co_u32_e64 v6, s[8:9], s24, v6
	s_waitcnt vmcnt(0)
	buffer_store_dword v6, off, s[68:71], 0 ; 4-byte Folded Spill
	s_nop 0
	buffer_store_dword v7, off, s[68:71], 0 offset:4 ; 4-byte Folded Spill
	buffer_load_dword v6, off, s[68:71], 0 offset:8 ; 4-byte Folded Reload
	s_nop 0
	buffer_load_dword v7, off, s[68:71], 0 offset:12 ; 4-byte Folded Reload
	s_waitcnt vmcnt(0)
	v_addc_co_u32_e64 v7, s[8:9], v7, v0, s[8:9]
	buffer_store_dword v6, off, s[68:71], 0 offset:8 ; 4-byte Folded Spill
	s_nop 0
	buffer_store_dword v7, off, s[68:71], 0 offset:12 ; 4-byte Folded Spill
	buffer_load_dword v6, off, s[68:71], 0 offset:16 ; 4-byte Folded Reload
	s_nop 0
	buffer_load_dword v7, off, s[68:71], 0 offset:20 ; 4-byte Folded Reload
	s_waitcnt vmcnt(1)
	v_add_co_u32_e64 v6, s[8:9], s24, v6
	s_waitcnt vmcnt(0)
	buffer_store_dword v6, off, s[68:71], 0 offset:16 ; 4-byte Folded Spill
	s_nop 0
	buffer_store_dword v7, off, s[68:71], 0 offset:20 ; 4-byte Folded Spill
	buffer_load_dword v6, off, s[68:71], 0 offset:24 ; 4-byte Folded Reload
	s_nop 0
	buffer_load_dword v7, off, s[68:71], 0 offset:28 ; 4-byte Folded Reload
	s_waitcnt vmcnt(0)
	v_addc_co_u32_e64 v7, s[8:9], v7, v0, s[8:9]
	buffer_store_dword v6, off, s[68:71], 0 offset:24 ; 4-byte Folded Spill
	s_nop 0
	buffer_store_dword v7, off, s[68:71], 0 offset:28 ; 4-byte Folded Spill
	buffer_load_dword v6, off, s[68:71], 0 offset:32 ; 4-byte Folded Reload
	s_nop 0
	buffer_load_dword v7, off, s[68:71], 0 offset:36 ; 4-byte Folded Reload
	s_waitcnt vmcnt(1)
	v_add_co_u32_e64 v6, s[8:9], s24, v6
	s_waitcnt vmcnt(0)
	buffer_store_dword v6, off, s[68:71], 0 offset:32 ; 4-byte Folded Spill
	s_nop 0
	buffer_store_dword v7, off, s[68:71], 0 offset:36 ; 4-byte Folded Spill
	buffer_load_dword v6, off, s[68:71], 0 offset:40 ; 4-byte Folded Reload
	s_nop 0
	buffer_load_dword v7, off, s[68:71], 0 offset:44 ; 4-byte Folded Reload
	v_addc_co_u32_e64 v103, s[8:9], v103, v0, s[8:9]
	s_waitcnt vmcnt(1)
	v_add_co_u32_e64 v6, s[8:9], s24, v6
	s_waitcnt vmcnt(0)
	buffer_store_dword v6, off, s[68:71], 0 offset:40 ; 4-byte Folded Spill
	s_nop 0
	buffer_store_dword v7, off, s[68:71], 0 offset:44 ; 4-byte Folded Spill
	buffer_load_dword v6, off, s[68:71], 0 offset:48 ; 4-byte Folded Reload
	s_nop 0
	buffer_load_dword v7, off, s[68:71], 0 offset:52 ; 4-byte Folded Reload
	s_waitcnt vmcnt(0)
	v_addc_co_u32_e64 v7, s[8:9], v7, v0, s[8:9]
	buffer_store_dword v6, off, s[68:71], 0 offset:48 ; 4-byte Folded Spill
	s_nop 0
	buffer_store_dword v7, off, s[68:71], 0 offset:52 ; 4-byte Folded Spill
	buffer_load_dword v6, off, s[68:71], 0 offset:72 ; 4-byte Folded Reload
	s_nop 0
	buffer_load_dword v7, off, s[68:71], 0 offset:76 ; 4-byte Folded Reload
	s_waitcnt vmcnt(1)
	v_add_co_u32_e64 v6, s[8:9], s24, v6
	s_waitcnt vmcnt(0)
	buffer_store_dword v6, off, s[68:71], 0 offset:72 ; 4-byte Folded Spill
	s_nop 0
	buffer_store_dword v7, off, s[68:71], 0 offset:76 ; 4-byte Folded Spill
	buffer_load_dword v6, off, s[68:71], 0 offset:56 ; 4-byte Folded Reload
	s_nop 0
	buffer_load_dword v7, off, s[68:71], 0 offset:60 ; 4-byte Folded Reload
	s_waitcnt vmcnt(0)
	v_addc_co_u32_e64 v7, s[8:9], v7, v0, s[8:9]
	buffer_store_dword v6, off, s[68:71], 0 offset:56 ; 4-byte Folded Spill
	s_nop 0
	buffer_store_dword v7, off, s[68:71], 0 offset:60 ; 4-byte Folded Spill
	buffer_load_dword v6, off, s[68:71], 0 offset:64 ; 4-byte Folded Reload
	s_nop 0
	buffer_load_dword v7, off, s[68:71], 0 offset:68 ; 4-byte Folded Reload
	v_add_co_u32_e64 v50, s[8:9], s24, v50
	s_waitcnt vmcnt(0)
	v_addc_co_u32_e64 v7, s[8:9], v7, v0, s[8:9]
	buffer_store_dword v6, off, s[68:71], 0 offset:64 ; 4-byte Folded Spill
	s_nop 0
	buffer_store_dword v7, off, s[68:71], 0 offset:68 ; 4-byte Folded Spill
	buffer_load_dword v6, off, s[68:71], 0 offset:80 ; 4-byte Folded Reload
	s_nop 0
	buffer_load_dword v7, off, s[68:71], 0 offset:84 ; 4-byte Folded Reload
	v_add_co_u32_e64 v52, s[8:9], s24, v52
	s_waitcnt vmcnt(0)
	v_addc_co_u32_e64 v7, s[8:9], v7, v0, s[8:9]
	v_add_co_u32_e64 v54, s[8:9], s24, v54
	v_addc_co_u32_e64 v51, s[8:9], v51, v0, s[8:9]
	v_add_co_u32_e64 v56, s[8:9], s24, v56
	v_addc_co_u32_e64 v53, s[8:9], v53, v0, s[8:9]
	v_add_co_u32_e64 v58, s[8:9], s24, v58
	v_addc_co_u32_e64 v55, s[8:9], v55, v0, s[8:9]
	v_add_co_u32_e64 v60, s[8:9], s24, v60
	v_addc_co_u32_e64 v57, s[8:9], v57, v0, s[8:9]
	v_add_co_u32_e64 v62, s[8:9], s24, v62
	v_addc_co_u32_e64 v59, s[8:9], v59, v0, s[8:9]
	v_add_co_u32_e64 v64, s[8:9], s24, v64
	v_addc_co_u32_e64 v61, s[8:9], v61, v0, s[8:9]
	v_add_co_u32_e64 v66, s[8:9], s24, v66
	v_addc_co_u32_e64 v63, s[8:9], v63, v0, s[8:9]
	v_add_co_u32_e64 v68, s[8:9], s24, v68
	v_addc_co_u32_e64 v65, s[8:9], v65, v0, s[8:9]
	v_add_co_u32_e64 v70, s[8:9], s24, v70
	v_addc_co_u32_e64 v67, s[8:9], v67, v0, s[8:9]
	v_add_co_u32_e64 v72, s[8:9], s24, v72
	v_addc_co_u32_e64 v69, s[8:9], v69, v0, s[8:9]
	v_add_co_u32_e64 v74, s[8:9], s24, v74
	v_addc_co_u32_e64 v71, s[8:9], v71, v0, s[8:9]
	v_add_co_u32_e64 v76, s[8:9], s24, v76
	v_addc_co_u32_e64 v73, s[8:9], v73, v0, s[8:9]
	v_add_co_u32_e64 v78, s[8:9], s24, v78
	v_addc_co_u32_e64 v75, s[8:9], v75, v0, s[8:9]
	v_add_co_u32_e64 v80, s[8:9], s24, v80
	v_addc_co_u32_e64 v77, s[8:9], v77, v0, s[8:9]
	v_add_co_u32_e64 v82, s[8:9], s24, v82
	v_addc_co_u32_e64 v79, s[8:9], v79, v0, s[8:9]
	v_add_co_u32_e64 v84, s[8:9], s24, v84
	v_addc_co_u32_e64 v81, s[8:9], v81, v0, s[8:9]
	v_add_co_u32_e64 v86, s[8:9], s24, v86
	v_addc_co_u32_e64 v83, s[8:9], v83, v0, s[8:9]
	v_add_co_u32_e64 v88, s[8:9], s24, v88
	v_addc_co_u32_e64 v85, s[8:9], v85, v0, s[8:9]
	v_add_co_u32_e64 v90, s[8:9], s24, v90
	v_addc_co_u32_e64 v87, s[8:9], v87, v0, s[8:9]
	v_add_co_u32_e64 v92, s[8:9], s24, v92
	v_addc_co_u32_e64 v89, s[8:9], v89, v0, s[8:9]
	v_add_co_u32_e64 v94, s[8:9], s24, v94
	v_addc_co_u32_e64 v91, s[8:9], v91, v0, s[8:9]
	v_add_co_u32_e64 v96, s[8:9], s24, v96
	v_addc_co_u32_e64 v93, s[8:9], v93, v0, s[8:9]
	v_add_co_u32_e64 v98, s[8:9], s24, v98
	v_addc_co_u32_e64 v95, s[8:9], v95, v0, s[8:9]
	v_add_co_u32_e64 v100, s[8:9], s24, v100
	v_addc_co_u32_e64 v97, s[8:9], v97, v0, s[8:9]
	v_add_co_u32_e64 v102, s[8:9], s24, v102
	v_addc_co_u32_e64 v99, s[8:9], v99, v0, s[8:9]
	buffer_store_dword v6, off, s[68:71], 0 offset:80 ; 4-byte Folded Spill
	s_nop 0
	buffer_store_dword v7, off, s[68:71], 0 offset:84 ; 4-byte Folded Spill
	s_cbranch_vccz .LBB128_82
; %bb.78:                               ;   in Loop: Header=BB128_3 Depth=1
	v_pk_mov_b32 v[106:107], v[2:3], v[2:3] op_sel:[0,1]
	s_branch .LBB128_3
.LBB128_79:                             ;   in Loop: Header=BB128_3 Depth=1
	buffer_load_dword v32, off, s[68:71], 0 offset:72 ; 4-byte Folded Reload
	buffer_load_dword v33, off, s[68:71], 0 offset:76 ; 4-byte Folded Reload
	;; [unrolled: 1-line block ×4, first 2 shown]
	s_waitcnt vmcnt(3)
	v_add_co_u32_e32 v32, vcc, v32, v104
	s_waitcnt vmcnt(0)
	v_addc_co_u32_e32 v33, vcc, v47, v105, vcc
	global_load_dwordx2 v[32:33], v[32:33], off
	s_nop 0
	buffer_load_dword v46, off, s[68:71], 0 offset:64 ; 4-byte Folded Reload
	buffer_load_dword v47, off, s[68:71], 0 offset:68 ; 4-byte Folded Reload
	v_add_co_u32_e32 v112, vcc, v50, v104
	s_waitcnt vmcnt(0)
	v_addc_co_u32_e32 v113, vcc, v47, v105, vcc
	global_load_dwordx2 v[112:113], v[112:113], off
	s_or_b64 exec, exec, s[8:9]
	s_and_saveexec_b64 s[8:9], s[2:3]
	s_cbranch_execz .LBB128_74
.LBB128_80:                             ;   in Loop: Header=BB128_3 Depth=1
	buffer_load_dword v34, off, s[68:71], 0 offset:32 ; 4-byte Folded Reload
	buffer_load_dword v35, off, s[68:71], 0 offset:36 ; 4-byte Folded Reload
	s_waitcnt vmcnt(1)
	v_add_co_u32_e32 v34, vcc, v34, v104
	s_waitcnt vmcnt(0)
	v_addc_co_u32_e32 v35, vcc, v103, v105, vcc
	global_load_dwordx2 v[34:35], v[34:35], off
	s_nop 0
	buffer_load_dword v44, off, s[68:71], 0 offset:40 ; 4-byte Folded Reload
	buffer_load_dword v45, off, s[68:71], 0 offset:44 ; 4-byte Folded Reload
	;; [unrolled: 1-line block ×4, first 2 shown]
	s_waitcnt vmcnt(3)
	v_add_co_u32_e32 v44, vcc, v44, v104
	s_waitcnt vmcnt(0)
	v_addc_co_u32_e32 v45, vcc, v47, v105, vcc
	global_load_dwordx2 v[44:45], v[44:45], off
	s_or_b64 exec, exec, s[8:9]
	v_pk_mov_b32 v[122:123], 0, 0
	s_and_saveexec_b64 s[8:9], s[2:3]
	s_cbranch_execnz .LBB128_75
	s_branch .LBB128_76
.LBB128_81:
                                        ; implicit-def: $vgpr2_vgpr3
	s_branch .LBB128_84
.LBB128_82:
	buffer_load_dword v36, off, s[68:71], 0 offset:568 ; 4-byte Folded Reload
.LBB128_83:
	s_cbranch_execnz .LBB128_133
.LBB128_84:
	s_and_b64 vcc, exec, s[0:1]
	v_pk_mov_b32 v[2:3], 0, 0
	s_cbranch_vccnz .LBB128_133
; %bb.85:
	s_load_dword s0, s[4:5], 0x44
	s_add_u32 s2, s4, 64
	s_addc_u32 s3, s5, 0
	s_waitcnt vmcnt(0)
	v_bfe_u32 v37, v36, 10, 10
	v_lshlrev_b32_e32 v0, 7, v37
	s_waitcnt lgkmcnt(0)
	s_lshl_b32 s7, s0, 8
	s_add_u32 s8, s20, 0xff
	s_addc_u32 s9, 0, 0
	s_lshl_b64 s[0:1], s[20:21], 3
	v_mov_b32_e32 v1, s1
	v_add_co_u32_e32 v2, vcc, s0, v0
	v_addc_co_u32_e32 v3, vcc, 0, v1, vcc
	v_add_co_u32_e32 v6, vcc, 8, v2
	v_addc_co_u32_e32 v4, vcc, 0, v3, vcc
	v_add_co_u32_e32 v9, vcc, 16, v2
	v_mul_lo_u32 v7, s14, v4
	v_addc_co_u32_e32 v4, vcc, 0, v3, vcc
	v_add_co_u32_e32 v12, vcc, 24, v2
	v_mul_lo_u32 v10, s14, v4
	;; [unrolled: 3-line block ×6, first 2 shown]
	v_addc_co_u32_e32 v4, vcc, 0, v3, vcc
	v_pk_mov_b32 v[0:1], s[16:17], s[16:17] op_sel:[0,1]
	v_add_co_u32_e32 v27, vcc, 64, v2
	v_mad_u64_u32 v[38:39], s[0:1], s14, v6, v[0:1]
	v_mad_u64_u32 v[40:41], s[0:1], s14, v9, v[0:1]
	;; [unrolled: 1-line block ×8, first 2 shown]
	v_mul_lo_u32 v25, s14, v4
	v_addc_co_u32_e32 v4, vcc, 0, v3, vcc
	s_movk_i32 s0, 0x48
	v_add_co_u32_e32 v30, vcc, s0, v2
	v_mad_u64_u32 v[54:55], s[0:1], s14, v30, v[0:1]
	v_mul_lo_u32 v28, s14, v4
	v_addc_co_u32_e32 v4, vcc, 0, v3, vcc
	s_movk_i32 s0, 0x50
	v_add_co_u32_e32 v33, vcc, s0, v2
	v_mul_lo_u32 v31, s14, v4
	v_addc_co_u32_e32 v4, vcc, 0, v3, vcc
	v_mul_lo_u32 v34, s14, v4
	s_movk_i32 s22, 0x58
	v_pk_mov_b32 v[4:5], s[18:19], s[18:19] op_sel:[0,1]
	v_mul_lo_u32 v8, s15, v6
	v_mad_u64_u32 v[58:59], s[0:1], s14, v6, v[4:5]
	v_add_co_u32_e32 v6, vcc, s22, v2
	v_add3_u32 v39, v8, v39, v7
	v_add3_u32 v59, v8, v59, v7
	v_addc_co_u32_e32 v7, vcc, 0, v3, vcc
	s_movk_i32 s22, 0x60
	v_mul_lo_u32 v11, s15, v9
	v_mad_u64_u32 v[60:61], s[0:1], s14, v9, v[4:5]
	v_add_co_u32_e32 v9, vcc, s22, v2
	v_add3_u32 v41, v11, v41, v10
	v_add3_u32 v61, v11, v61, v10
	v_addc_co_u32_e32 v10, vcc, 0, v3, vcc
	s_movk_i32 s22, 0x68
	v_mad_u64_u32 v[64:65], s[0:1], s14, v6, v[0:1]
	v_mul_lo_u32 v8, s15, v6
	v_mad_u64_u32 v[82:83], s[0:1], s14, v6, v[4:5]
	v_add_co_u32_e32 v6, vcc, s22, v2
	v_mad_u64_u32 v[56:57], s[0:1], s14, v33, v[0:1]
	v_mad_u64_u32 v[62:63], s[0:1], s14, v12, v[4:5]
	v_mul_lo_u32 v7, s14, v7
	v_mad_u64_u32 v[66:67], s[0:1], s14, v15, v[4:5]
	v_mad_u64_u32 v[68:69], s[0:1], s14, v18, v[4:5]
	;; [unrolled: 1-line block ×11, first 2 shown]
	v_add3_u32 v65, v8, v65, v7
	v_add3_u32 v83, v8, v83, v7
	v_addc_co_u32_e32 v7, vcc, 0, v3, vcc
	s_movk_i32 s0, 0x70
	v_mul_lo_u32 v8, s15, v6
	v_add_co_u32_e32 v6, vcc, s0, v2
	v_mul_lo_u32 v7, s14, v7
	v_mad_u64_u32 v[90:91], s[0:1], s14, v6, v[0:1]
	v_mad_u64_u32 v[92:93], s[0:1], s14, v6, v[4:5]
	v_add3_u32 v87, v8, v87, v7
	v_add3_u32 v89, v8, v89, v7
	v_addc_co_u32_e32 v7, vcc, 0, v3, vcc
	s_movk_i32 s0, 0x78
	v_add_co_u32_e32 v2, vcc, s0, v2
	v_addc_co_u32_e32 v3, vcc, 0, v3, vcc
	v_mul_lo_u32 v23, s15, v21
	v_mad_u64_u32 v[94:95], s[0:1], s14, v2, v[0:1]
	v_mul_lo_u32 v0, s14, v3
	v_mad_u64_u32 v[96:97], s[0:1], s14, v2, v[4:5]
	v_mul_lo_u32 v1, s15, v2
	v_lshlrev_b32_e32 v4, 4, v37
	v_add3_u32 v49, v23, v49, v22
	v_add3_u32 v71, v23, v71, v22
	;; [unrolled: 1-line block ×4, first 2 shown]
	v_mov_b32_e32 v0, s21
	v_add_co_u32_e32 v22, vcc, s20, v4
	v_addc_co_u32_e32 v23, vcc, 0, v0, vcc
	v_mov_b32_e32 v2, v4
	v_add_co_u32_e32 v0, vcc, 15, v22
	buffer_store_dword v2, off, s[68:71], 0 offset:560 ; 4-byte Folded Spill
	s_nop 0
	buffer_store_dword v3, off, s[68:71], 0 offset:564 ; 4-byte Folded Spill
	v_addc_co_u32_e32 v1, vcc, 0, v23, vcc
	v_mul_lo_u32 v2, s14, v1
	v_mul_lo_u32 v3, s15, v0
	v_mad_u64_u32 v[0:1], s[0:1], s14, v0, 0
	v_add3_u32 v1, v1, v2, v3
	v_add_co_u32_e32 v2, vcc, 14, v22
	v_addc_co_u32_e32 v3, vcc, 0, v23, vcc
	v_mul_lo_u32 v4, s14, v3
	v_mul_lo_u32 v5, s15, v2
	v_mad_u64_u32 v[2:3], s[0:1], s14, v2, 0
	v_add3_u32 v3, v3, v4, v5
	v_add_co_u32_e32 v4, vcc, 13, v22
	v_mul_lo_u32 v7, s14, v7
	v_mul_lo_u32 v8, s15, v6
	v_addc_co_u32_e32 v5, vcc, 0, v23, vcc
	v_add3_u32 v91, v8, v91, v7
	v_add3_u32 v93, v8, v93, v7
	v_mul_lo_u32 v6, s14, v5
	v_mul_lo_u32 v7, s15, v4
	v_mad_u64_u32 v[4:5], s[0:1], s14, v4, 0
	v_add3_u32 v5, v5, v6, v7
	v_add_co_u32_e32 v6, vcc, 12, v22
	v_addc_co_u32_e32 v7, vcc, 0, v23, vcc
	v_mul_lo_u32 v11, s15, v9
	v_mul_lo_u32 v8, s14, v7
	;; [unrolled: 1-line block ×3, first 2 shown]
	v_mad_u64_u32 v[6:7], s[0:1], s14, v6, 0
	v_add3_u32 v7, v7, v8, v9
	v_add_co_u32_e32 v8, vcc, 11, v22
	v_mul_lo_u32 v10, s14, v10
	v_addc_co_u32_e32 v9, vcc, 0, v23, vcc
	v_add3_u32 v77, v11, v77, v10
	v_add3_u32 v85, v11, v85, v10
	v_mul_lo_u32 v10, s14, v9
	v_mul_lo_u32 v11, s15, v8
	v_mad_u64_u32 v[8:9], s[0:1], s14, v8, 0
	v_add3_u32 v9, v9, v10, v11
	v_add_co_u32_e32 v10, vcc, 10, v22
	v_mul_lo_u32 v14, s15, v12
	v_addc_co_u32_e32 v11, vcc, 0, v23, vcc
	v_add3_u32 v43, v14, v43, v13
	v_add3_u32 v63, v14, v63, v13
	v_mul_lo_u32 v12, s14, v11
	v_mul_lo_u32 v13, s15, v10
	v_mad_u64_u32 v[10:11], s[0:1], s14, v10, 0
	v_add3_u32 v11, v11, v12, v13
	v_add_co_u32_e32 v12, vcc, 9, v22
	v_addc_co_u32_e32 v13, vcc, 0, v23, vcc
	v_mul_lo_u32 v17, s15, v15
	v_mul_lo_u32 v14, s14, v13
	;; [unrolled: 1-line block ×3, first 2 shown]
	v_mad_u64_u32 v[12:13], s[0:1], s14, v12, 0
	v_add3_u32 v13, v13, v14, v15
	v_add_co_u32_e32 v14, vcc, 8, v22
	v_addc_co_u32_e32 v15, vcc, 0, v23, vcc
	v_add3_u32 v45, v17, v45, v16
	v_add3_u32 v67, v17, v67, v16
	v_mul_lo_u32 v16, s14, v15
	v_mul_lo_u32 v17, s15, v14
	v_mad_u64_u32 v[14:15], s[0:1], s14, v14, 0
	v_add3_u32 v15, v15, v16, v17
	v_add_co_u32_e32 v16, vcc, 7, v22
	v_mul_lo_u32 v20, s15, v18
	v_addc_co_u32_e32 v17, vcc, 0, v23, vcc
	v_add3_u32 v47, v20, v47, v19
	v_add3_u32 v69, v20, v69, v19
	v_mul_lo_u32 v18, s14, v17
	v_mul_lo_u32 v19, s15, v16
	v_mad_u64_u32 v[16:17], s[0:1], s14, v16, 0
	v_add3_u32 v17, v17, v18, v19
	v_add_co_u32_e32 v18, vcc, 6, v22
	v_addc_co_u32_e32 v19, vcc, 0, v23, vcc
	v_mul_lo_u32 v20, s14, v19
	v_mul_lo_u32 v21, s15, v18
	v_mad_u64_u32 v[18:19], s[0:1], s14, v18, 0
	v_add3_u32 v19, v19, v20, v21
	v_add_co_u32_e32 v20, vcc, 5, v22
	v_mul_lo_u32 v26, s15, v24
	v_addc_co_u32_e32 v21, vcc, 0, v23, vcc
	v_add3_u32 v51, v26, v51, v25
	v_add3_u32 v73, v26, v73, v25
	v_mul_lo_u32 v24, s14, v21
	v_mul_lo_u32 v25, s15, v20
	v_mad_u64_u32 v[20:21], s[0:1], s14, v20, 0
	v_add3_u32 v21, v21, v24, v25
	v_add_co_u32_e32 v24, vcc, 4, v22
	v_addc_co_u32_e32 v25, vcc, 0, v23, vcc
	v_mul_lo_u32 v29, s15, v27
	v_mul_lo_u32 v26, s14, v25
	;; [unrolled: 1-line block ×3, first 2 shown]
	v_mad_u64_u32 v[24:25], s[0:1], s14, v24, 0
	v_add3_u32 v25, v25, v26, v27
	v_add_co_u32_e32 v26, vcc, 3, v22
	v_addc_co_u32_e32 v27, vcc, 0, v23, vcc
	v_add3_u32 v53, v29, v53, v28
	v_add3_u32 v75, v29, v75, v28
	v_mul_lo_u32 v28, s14, v27
	v_mul_lo_u32 v29, s15, v26
	v_mad_u64_u32 v[26:27], s[0:1], s14, v26, 0
	v_add3_u32 v27, v27, v28, v29
	v_add_co_u32_e32 v28, vcc, 2, v22
	v_mul_lo_u32 v32, s15, v30
	v_addc_co_u32_e32 v29, vcc, 0, v23, vcc
	v_add3_u32 v55, v32, v55, v31
	v_add3_u32 v79, v32, v79, v31
	v_mul_lo_u32 v30, s14, v29
	v_mul_lo_u32 v31, s15, v28
	v_mad_u64_u32 v[28:29], s[0:1], s14, v28, 0
	v_add3_u32 v29, v29, v30, v31
	v_pk_mov_b32 v[30:31], s[14:15], s[14:15] op_sel:[0,1]
	v_mul_lo_u32 v35, s15, v33
	v_mul_lo_u32 v32, s14, v23
	v_mad_u64_u32 v[30:31], s[0:1], s14, v22, v[30:31]
	v_mul_lo_u32 v33, s15, v22
	v_mad_u64_u32 v[22:23], s[0:1], s14, v22, 0
	v_add3_u32 v23, v23, v32, v33
	v_lshlrev_b64 v[22:23], 3, v[22:23]
	v_add3_u32 v57, v35, v57, v34
	v_add3_u32 v81, v35, v81, v34
	v_add_co_u32_e32 v34, vcc, s16, v22
	buffer_store_dword v34, off, s[68:71], 0 ; 4-byte Folded Spill
	s_nop 0
	buffer_store_dword v35, off, s[68:71], 0 offset:4 ; 4-byte Folded Spill
	v_add3_u32 v31, v33, v31, v32
	v_mov_b32_e32 v32, s17
	v_addc_co_u32_e32 v35, vcc, v32, v23, vcc
	v_add_co_u32_e32 v22, vcc, s18, v22
	buffer_store_dword v34, off, s[68:71], 0 offset:8 ; 4-byte Folded Spill
	s_nop 0
	buffer_store_dword v35, off, s[68:71], 0 offset:12 ; 4-byte Folded Spill
	buffer_store_dword v22, off, s[68:71], 0 offset:16 ; 4-byte Folded Spill
	s_nop 0
	buffer_store_dword v23, off, s[68:71], 0 offset:20 ; 4-byte Folded Spill
	v_mov_b32_e32 v33, s19
	v_lshlrev_b64 v[0:1], 3, v[0:1]
	s_mul_i32 s0, s15, s7
	s_mul_hi_u32 s1, s14, s7
	s_add_i32 s1, s1, s0
	s_mul_i32 s0, s14, s7
	s_mov_b32 s36, 0
	v_pk_mov_b32 v[124:125], 0, 0
	v_addc_co_u32_e32 v23, vcc, v33, v23, vcc
	buffer_store_dword v22, off, s[68:71], 0 offset:24 ; 4-byte Folded Spill
	s_nop 0
	buffer_store_dword v23, off, s[68:71], 0 offset:28 ; 4-byte Folded Spill
	v_add_co_u32_e32 v22, vcc, s16, v0
	buffer_store_dword v22, off, s[68:71], 0 offset:32 ; 4-byte Folded Spill
	s_nop 0
	buffer_store_dword v23, off, s[68:71], 0 offset:36 ; 4-byte Folded Spill
	v_addc_co_u32_e32 v23, vcc, v32, v1, vcc
	v_add_co_u32_e32 v0, vcc, s18, v0
	buffer_store_dword v22, off, s[68:71], 0 offset:40 ; 4-byte Folded Spill
	s_nop 0
	buffer_store_dword v23, off, s[68:71], 0 offset:44 ; 4-byte Folded Spill
	buffer_store_dword v0, off, s[68:71], 0 offset:48 ; 4-byte Folded Spill
	s_nop 0
	buffer_store_dword v1, off, s[68:71], 0 offset:52 ; 4-byte Folded Spill
	v_addc_co_u32_e32 v1, vcc, v33, v1, vcc
	buffer_store_dword v0, off, s[68:71], 0 offset:56 ; 4-byte Folded Spill
	s_nop 0
	buffer_store_dword v1, off, s[68:71], 0 offset:60 ; 4-byte Folded Spill
	v_lshlrev_b64 v[0:1], 3, v[2:3]
	v_add_co_u32_e32 v2, vcc, s16, v0
	buffer_store_dword v2, off, s[68:71], 0 offset:64 ; 4-byte Folded Spill
	s_nop 0
	buffer_store_dword v3, off, s[68:71], 0 offset:68 ; 4-byte Folded Spill
	v_addc_co_u32_e32 v3, vcc, v32, v1, vcc
	v_add_co_u32_e32 v0, vcc, s18, v0
	buffer_store_dword v2, off, s[68:71], 0 offset:72 ; 4-byte Folded Spill
	s_nop 0
	buffer_store_dword v3, off, s[68:71], 0 offset:76 ; 4-byte Folded Spill
	buffer_store_dword v0, off, s[68:71], 0 offset:80 ; 4-byte Folded Spill
	s_nop 0
	buffer_store_dword v1, off, s[68:71], 0 offset:84 ; 4-byte Folded Spill
	v_addc_co_u32_e32 v1, vcc, v33, v1, vcc
	buffer_store_dword v0, off, s[68:71], 0 offset:88 ; 4-byte Folded Spill
	s_nop 0
	buffer_store_dword v1, off, s[68:71], 0 offset:92 ; 4-byte Folded Spill
	v_lshlrev_b64 v[0:1], 3, v[4:5]
	v_add_co_u32_e32 v2, vcc, s16, v0
	buffer_store_dword v2, off, s[68:71], 0 offset:96 ; 4-byte Folded Spill
	s_nop 0
	buffer_store_dword v3, off, s[68:71], 0 offset:100 ; 4-byte Folded Spill
	v_addc_co_u32_e32 v3, vcc, v32, v1, vcc
	v_add_co_u32_e32 v0, vcc, s18, v0
	buffer_store_dword v2, off, s[68:71], 0 offset:104 ; 4-byte Folded Spill
	s_nop 0
	buffer_store_dword v3, off, s[68:71], 0 offset:108 ; 4-byte Folded Spill
	buffer_store_dword v0, off, s[68:71], 0 offset:112 ; 4-byte Folded Spill
	s_nop 0
	buffer_store_dword v1, off, s[68:71], 0 offset:116 ; 4-byte Folded Spill
	v_mov_b32_e32 v4, 0
	v_mov_b32_e32 v5, v37
	v_addc_co_u32_e32 v1, vcc, v33, v1, vcc
	buffer_store_dword v0, off, s[68:71], 0 offset:120 ; 4-byte Folded Spill
	s_nop 0
	buffer_store_dword v1, off, s[68:71], 0 offset:124 ; 4-byte Folded Spill
	v_lshlrev_b64 v[0:1], 3, v[6:7]
	v_add_co_u32_e32 v2, vcc, s16, v0
	buffer_store_dword v2, off, s[68:71], 0 offset:128 ; 4-byte Folded Spill
	s_nop 0
	buffer_store_dword v3, off, s[68:71], 0 offset:132 ; 4-byte Folded Spill
	v_addc_co_u32_e32 v3, vcc, v32, v1, vcc
	v_add_co_u32_e32 v0, vcc, s18, v0
	buffer_store_dword v2, off, s[68:71], 0 offset:136 ; 4-byte Folded Spill
	s_nop 0
	buffer_store_dword v3, off, s[68:71], 0 offset:140 ; 4-byte Folded Spill
	buffer_store_dword v0, off, s[68:71], 0 offset:144 ; 4-byte Folded Spill
	s_nop 0
	buffer_store_dword v1, off, s[68:71], 0 offset:148 ; 4-byte Folded Spill
	v_addc_co_u32_e32 v1, vcc, v33, v1, vcc
	buffer_store_dword v0, off, s[68:71], 0 offset:152 ; 4-byte Folded Spill
	s_nop 0
	buffer_store_dword v1, off, s[68:71], 0 offset:156 ; 4-byte Folded Spill
	v_lshlrev_b64 v[0:1], 3, v[8:9]
	v_add_co_u32_e32 v2, vcc, s16, v0
	buffer_store_dword v2, off, s[68:71], 0 offset:160 ; 4-byte Folded Spill
	s_nop 0
	buffer_store_dword v3, off, s[68:71], 0 offset:164 ; 4-byte Folded Spill
	v_addc_co_u32_e32 v3, vcc, v32, v1, vcc
	v_add_co_u32_e32 v0, vcc, s18, v0
	buffer_store_dword v2, off, s[68:71], 0 offset:168 ; 4-byte Folded Spill
	s_nop 0
	buffer_store_dword v3, off, s[68:71], 0 offset:172 ; 4-byte Folded Spill
	buffer_store_dword v0, off, s[68:71], 0 offset:176 ; 4-byte Folded Spill
	s_nop 0
	buffer_store_dword v1, off, s[68:71], 0 offset:180 ; 4-byte Folded Spill
	;; [unrolled: 17-line block ×12, first 2 shown]
	s_lshl_b64 s[16:17], s[0:1], 3
	v_addc_co_u32_e32 v1, vcc, v33, v1, vcc
	buffer_store_dword v0, off, s[68:71], 0 offset:504 ; 4-byte Folded Spill
	s_nop 0
	buffer_store_dword v1, off, s[68:71], 0 offset:508 ; 4-byte Folded Spill
	v_and_b32_e32 v0, 0x3ff, v36
	v_mov_b32_e32 v119, v0
	v_add_u32_e32 v0, s33, v0
	v_mov_b32_e32 v1, v4
	v_lshlrev_b64 v[104:105], 3, v[0:1]
	v_mbcnt_lo_u32_b32 v0, -1, 0
	v_mbcnt_hi_u32_b32 v0, -1, v0
	v_lshlrev_b32_e32 v0, 2, v0
	v_and_b32_e32 v114, 0x100, v0
	buffer_store_dword v36, off, s[68:71], 0 offset:568 ; 4-byte Folded Spill
.LBB128_86:                             ; =>This Inner Loop Header: Depth=1
	buffer_load_dword v2, off, s[68:71], 0 offset:560 ; 4-byte Folded Reload
	buffer_load_dword v3, off, s[68:71], 0 offset:564 ; 4-byte Folded Reload
	v_pk_mov_b32 v[0:1], s[12:13], s[12:13] op_sel:[0,1]
	v_cmp_ge_i64_e32 vcc, s[8:9], v[0:1]
	v_mov_b32_e32 v0, s9
	s_waitcnt vmcnt(1)
	v_add_co_u32_e64 v115, s[0:1], s8, v2
	v_addc_co_u32_e64 v118, s[0:1], 0, v0, s[0:1]
	s_cbranch_vccz .LBB128_124
; %bb.87:                               ;   in Loop: Header=BB128_86 Depth=1
	s_load_dword s0, s[2:3], 0xc
	v_mov_b32_e32 v0, v119
	v_pk_mov_b32 v[106:107], 0, 0
	buffer_store_dword v106, off, s[68:71], 0 offset:512 ; 4-byte Folded Spill
	s_nop 0
	buffer_store_dword v107, off, s[68:71], 0 offset:516 ; 4-byte Folded Spill
	s_waitcnt lgkmcnt(0)
	s_and_b32 s0, s0, 0xffff
	v_mad_u32_u24 v0, v5, s0, v0
	v_and_b32_e32 v0, 63, v0
	v_cmp_gt_u32_e32 vcc, 16, v0
	s_and_saveexec_b64 s[0:1], vcc
	s_cbranch_execz .LBB128_91
; %bb.88:                               ;   in Loop: Header=BB128_86 Depth=1
	v_add_co_u32_e32 v0, vcc, v115, v0
	v_addc_co_u32_e32 v1, vcc, 0, v118, vcc
	v_add_co_u32_e32 v0, vcc, 0xffffff01, v0
	v_addc_co_u32_e32 v1, vcc, -1, v1, vcc
	v_cmp_gt_i64_e32 vcc, s[12:13], v[0:1]
	v_pk_mov_b32 v[106:107], 0, 0
	s_and_saveexec_b64 s[18:19], vcc
	s_cbranch_execz .LBB128_90
; %bb.89:                               ;   in Loop: Header=BB128_86 Depth=1
	v_lshlrev_b64 v[0:1], 3, v[0:1]
	v_mov_b32_e32 v2, s11
	v_add_co_u32_e32 v0, vcc, s10, v0
	v_addc_co_u32_e32 v1, vcc, v2, v1, vcc
	global_load_dwordx2 v[106:107], v[0:1], off
.LBB128_90:                             ;   in Loop: Header=BB128_86 Depth=1
	s_or_b64 exec, exec, s[18:19]
.LBB128_91:                             ;   in Loop: Header=BB128_86 Depth=1
	s_or_b64 exec, exec, s[0:1]
	v_add_co_u32_e32 v0, vcc, 0xffffff01, v115
	s_mov_b32 s37, s36
	v_addc_co_u32_e32 v1, vcc, -1, v118, vcc
	s_mov_b32 s38, s36
	s_mov_b32 s39, s36
	;; [unrolled: 1-line block ×30, first 2 shown]
	v_pk_mov_b32 v[6:7], s[36:37], s[36:37] op_sel:[0,1]
	v_cmp_gt_i64_e32 vcc, s[12:13], v[0:1]
	v_pk_mov_b32 v[8:9], s[38:39], s[38:39] op_sel:[0,1]
	v_pk_mov_b32 v[10:11], s[40:41], s[40:41] op_sel:[0,1]
	;; [unrolled: 1-line block ×15, first 2 shown]
	s_and_saveexec_b64 s[0:1], vcc
	s_cbranch_execz .LBB128_93
; %bb.92:                               ;   in Loop: Header=BB128_86 Depth=1
	buffer_load_dword v0, off, s[68:71], 0  ; 4-byte Folded Reload
	buffer_load_dword v1, off, s[68:71], 0 offset:4 ; 4-byte Folded Reload
	buffer_load_dword v2, off, s[68:71], 0 offset:8 ; 4-byte Folded Reload
	buffer_load_dword v3, off, s[68:71], 0 offset:12 ; 4-byte Folded Reload
	v_mov_b32_e32 v8, v4
	v_mov_b32_e32 v9, v4
	;; [unrolled: 1-line block ×26, first 2 shown]
	s_waitcnt vmcnt(3)
	v_add_co_u32_e32 v0, vcc, v0, v104
	s_waitcnt vmcnt(0)
	v_addc_co_u32_e32 v1, vcc, v3, v105, vcc
	global_load_dwordx2 v[2:3], v[0:1], off
	s_nop 0
	buffer_load_dword v0, off, s[68:71], 0 offset:16 ; 4-byte Folded Reload
	buffer_load_dword v1, off, s[68:71], 0 offset:20 ; 4-byte Folded Reload
	;; [unrolled: 1-line block ×4, first 2 shown]
	s_waitcnt vmcnt(1)
	v_mov_b32_e32 v6, v4
	v_add_co_u32_e32 v0, vcc, v0, v104
	s_waitcnt vmcnt(0)
	v_addc_co_u32_e32 v1, vcc, v7, v105, vcc
	global_load_dwordx2 v[0:1], v[0:1], off
	v_mov_b32_e32 v7, v4
	s_waitcnt vmcnt(0)
	buffer_store_dword v0, off, s[68:71], 0 offset:512 ; 4-byte Folded Spill
	s_nop 0
	buffer_store_dword v1, off, s[68:71], 0 offset:516 ; 4-byte Folded Spill
	v_mov_b32_e32 v0, v5
	v_mov_b32_e32 v5, v4
	v_pk_mov_b32 v[36:37], v[32:33], v[32:33] op_sel:[0,1]
	v_pk_mov_b32 v[34:35], v[30:31], v[30:31] op_sel:[0,1]
	;; [unrolled: 1-line block ×16, first 2 shown]
	v_mov_b32_e32 v5, v0
.LBB128_93:                             ;   in Loop: Header=BB128_86 Depth=1
	s_or_b64 exec, exec, s[0:1]
	v_add_co_u32_e32 v0, vcc, 0xffffff02, v115
	v_addc_co_u32_e32 v1, vcc, -1, v118, vcc
	v_cmp_gt_i64_e32 vcc, s[12:13], v[0:1]
	v_pk_mov_b32 v[122:123], 0, 0
	buffer_store_dword v122, off, s[68:71], 0 offset:520 ; 4-byte Folded Spill
	s_nop 0
	buffer_store_dword v123, off, s[68:71], 0 offset:524 ; 4-byte Folded Spill
	s_and_saveexec_b64 s[0:1], vcc
	s_cbranch_execz .LBB128_95
; %bb.94:                               ;   in Loop: Header=BB128_86 Depth=1
	buffer_load_dword v0, off, s[68:71], 0 offset:480 ; 4-byte Folded Reload
	buffer_load_dword v1, off, s[68:71], 0 offset:484 ; 4-byte Folded Reload
	;; [unrolled: 1-line block ×4, first 2 shown]
	s_waitcnt vmcnt(3)
	v_add_co_u32_e32 v0, vcc, v0, v104
	s_waitcnt vmcnt(0)
	v_addc_co_u32_e32 v1, vcc, v3, v105, vcc
	global_load_dwordx2 v[8:9], v[0:1], off
	s_nop 0
	buffer_load_dword v0, off, s[68:71], 0 offset:496 ; 4-byte Folded Reload
	buffer_load_dword v1, off, s[68:71], 0 offset:500 ; 4-byte Folded Reload
	;; [unrolled: 1-line block ×4, first 2 shown]
	s_waitcnt vmcnt(3)
	v_add_co_u32_e32 v0, vcc, v0, v104
	s_waitcnt vmcnt(0)
	v_addc_co_u32_e32 v1, vcc, v3, v105, vcc
	global_load_dwordx2 v[0:1], v[0:1], off
	s_waitcnt vmcnt(0)
	buffer_store_dword v0, off, s[68:71], 0 offset:520 ; 4-byte Folded Spill
	s_nop 0
	buffer_store_dword v1, off, s[68:71], 0 offset:524 ; 4-byte Folded Spill
.LBB128_95:                             ;   in Loop: Header=BB128_86 Depth=1
	s_or_b64 exec, exec, s[0:1]
	v_add_co_u32_e32 v0, vcc, 0xffffff03, v115
	v_addc_co_u32_e32 v1, vcc, -1, v118, vcc
	v_cmp_gt_i64_e32 vcc, s[12:13], v[0:1]
	s_and_saveexec_b64 s[0:1], vcc
	s_cbranch_execz .LBB128_97
; %bb.96:                               ;   in Loop: Header=BB128_86 Depth=1
	buffer_load_dword v0, off, s[68:71], 0 offset:448 ; 4-byte Folded Reload
	buffer_load_dword v1, off, s[68:71], 0 offset:452 ; 4-byte Folded Reload
	;; [unrolled: 1-line block ×4, first 2 shown]
	s_waitcnt vmcnt(3)
	v_add_co_u32_e32 v0, vcc, v0, v104
	s_waitcnt vmcnt(0)
	v_addc_co_u32_e32 v1, vcc, v3, v105, vcc
	global_load_dwordx2 v[10:11], v[0:1], off
	s_nop 0
	buffer_load_dword v0, off, s[68:71], 0 offset:464 ; 4-byte Folded Reload
	buffer_load_dword v1, off, s[68:71], 0 offset:468 ; 4-byte Folded Reload
	;; [unrolled: 1-line block ×4, first 2 shown]
	s_waitcnt vmcnt(3)
	v_add_co_u32_e32 v0, vcc, v0, v104
	s_waitcnt vmcnt(0)
	v_addc_co_u32_e32 v1, vcc, v3, v105, vcc
	global_load_dwordx2 v[122:123], v[0:1], off
.LBB128_97:                             ;   in Loop: Header=BB128_86 Depth=1
	s_or_b64 exec, exec, s[0:1]
	v_add_co_u32_e32 v0, vcc, 0xffffff04, v115
	v_addc_co_u32_e32 v1, vcc, -1, v118, vcc
	v_cmp_gt_i64_e32 vcc, s[12:13], v[0:1]
	v_pk_mov_b32 v[110:111], 0, 0
	buffer_store_dword v110, off, s[68:71], 0 offset:528 ; 4-byte Folded Spill
	s_nop 0
	buffer_store_dword v111, off, s[68:71], 0 offset:532 ; 4-byte Folded Spill
	s_and_saveexec_b64 s[0:1], vcc
	s_cbranch_execz .LBB128_99
; %bb.98:                               ;   in Loop: Header=BB128_86 Depth=1
	buffer_load_dword v0, off, s[68:71], 0 offset:416 ; 4-byte Folded Reload
	buffer_load_dword v1, off, s[68:71], 0 offset:420 ; 4-byte Folded Reload
	;; [unrolled: 1-line block ×4, first 2 shown]
	s_waitcnt vmcnt(3)
	v_add_co_u32_e32 v0, vcc, v0, v104
	s_waitcnt vmcnt(0)
	v_addc_co_u32_e32 v1, vcc, v3, v105, vcc
	global_load_dwordx2 v[12:13], v[0:1], off
	s_nop 0
	buffer_load_dword v0, off, s[68:71], 0 offset:432 ; 4-byte Folded Reload
	buffer_load_dword v1, off, s[68:71], 0 offset:436 ; 4-byte Folded Reload
	;; [unrolled: 1-line block ×4, first 2 shown]
	s_waitcnt vmcnt(3)
	v_add_co_u32_e32 v0, vcc, v0, v104
	s_waitcnt vmcnt(0)
	v_addc_co_u32_e32 v1, vcc, v3, v105, vcc
	global_load_dwordx2 v[0:1], v[0:1], off
	s_waitcnt vmcnt(0)
	buffer_store_dword v0, off, s[68:71], 0 offset:528 ; 4-byte Folded Spill
	s_nop 0
	buffer_store_dword v1, off, s[68:71], 0 offset:532 ; 4-byte Folded Spill
.LBB128_99:                             ;   in Loop: Header=BB128_86 Depth=1
	s_or_b64 exec, exec, s[0:1]
	v_add_co_u32_e32 v0, vcc, 0xffffff05, v115
	v_addc_co_u32_e32 v1, vcc, -1, v118, vcc
	v_cmp_gt_i64_e32 vcc, s[12:13], v[0:1]
	s_and_saveexec_b64 s[0:1], vcc
	s_cbranch_execz .LBB128_101
; %bb.100:                              ;   in Loop: Header=BB128_86 Depth=1
	buffer_load_dword v0, off, s[68:71], 0 offset:384 ; 4-byte Folded Reload
	buffer_load_dword v1, off, s[68:71], 0 offset:388 ; 4-byte Folded Reload
	buffer_load_dword v2, off, s[68:71], 0 offset:392 ; 4-byte Folded Reload
	buffer_load_dword v3, off, s[68:71], 0 offset:396 ; 4-byte Folded Reload
	s_waitcnt vmcnt(3)
	v_add_co_u32_e32 v0, vcc, v0, v104
	s_waitcnt vmcnt(0)
	v_addc_co_u32_e32 v1, vcc, v3, v105, vcc
	global_load_dwordx2 v[14:15], v[0:1], off
	s_nop 0
	buffer_load_dword v0, off, s[68:71], 0 offset:400 ; 4-byte Folded Reload
	buffer_load_dword v1, off, s[68:71], 0 offset:404 ; 4-byte Folded Reload
	buffer_load_dword v2, off, s[68:71], 0 offset:408 ; 4-byte Folded Reload
	buffer_load_dword v3, off, s[68:71], 0 offset:412 ; 4-byte Folded Reload
	s_waitcnt vmcnt(3)
	v_add_co_u32_e32 v0, vcc, v0, v104
	s_waitcnt vmcnt(0)
	v_addc_co_u32_e32 v1, vcc, v3, v105, vcc
	global_load_dwordx2 v[110:111], v[0:1], off
.LBB128_101:                            ;   in Loop: Header=BB128_86 Depth=1
	s_or_b64 exec, exec, s[0:1]
	v_add_co_u32_e32 v0, vcc, 0xffffff06, v115
	v_addc_co_u32_e32 v1, vcc, -1, v118, vcc
	v_cmp_gt_i64_e32 vcc, s[12:13], v[0:1]
	v_pk_mov_b32 v[112:113], 0, 0
	buffer_store_dword v112, off, s[68:71], 0 offset:536 ; 4-byte Folded Spill
	s_nop 0
	buffer_store_dword v113, off, s[68:71], 0 offset:540 ; 4-byte Folded Spill
	s_and_saveexec_b64 s[0:1], vcc
	s_cbranch_execz .LBB128_103
; %bb.102:                              ;   in Loop: Header=BB128_86 Depth=1
	buffer_load_dword v0, off, s[68:71], 0 offset:352 ; 4-byte Folded Reload
	buffer_load_dword v1, off, s[68:71], 0 offset:356 ; 4-byte Folded Reload
	buffer_load_dword v2, off, s[68:71], 0 offset:360 ; 4-byte Folded Reload
	buffer_load_dword v3, off, s[68:71], 0 offset:364 ; 4-byte Folded Reload
	s_waitcnt vmcnt(3)
	v_add_co_u32_e32 v0, vcc, v0, v104
	s_waitcnt vmcnt(0)
	v_addc_co_u32_e32 v1, vcc, v3, v105, vcc
	global_load_dwordx2 v[16:17], v[0:1], off
	s_nop 0
	buffer_load_dword v0, off, s[68:71], 0 offset:368 ; 4-byte Folded Reload
	buffer_load_dword v1, off, s[68:71], 0 offset:372 ; 4-byte Folded Reload
	buffer_load_dword v2, off, s[68:71], 0 offset:376 ; 4-byte Folded Reload
	buffer_load_dword v3, off, s[68:71], 0 offset:380 ; 4-byte Folded Reload
	s_waitcnt vmcnt(3)
	v_add_co_u32_e32 v0, vcc, v0, v104
	s_waitcnt vmcnt(0)
	v_addc_co_u32_e32 v1, vcc, v3, v105, vcc
	global_load_dwordx2 v[0:1], v[0:1], off
	s_waitcnt vmcnt(0)
	buffer_store_dword v0, off, s[68:71], 0 offset:536 ; 4-byte Folded Spill
	s_nop 0
	buffer_store_dword v1, off, s[68:71], 0 offset:540 ; 4-byte Folded Spill
.LBB128_103:                            ;   in Loop: Header=BB128_86 Depth=1
	s_or_b64 exec, exec, s[0:1]
	v_add_co_u32_e32 v0, vcc, 0xffffff07, v115
	v_addc_co_u32_e32 v1, vcc, -1, v118, vcc
	v_cmp_gt_i64_e32 vcc, s[12:13], v[0:1]
	s_and_saveexec_b64 s[0:1], vcc
	s_cbranch_execz .LBB128_105
; %bb.104:                              ;   in Loop: Header=BB128_86 Depth=1
	buffer_load_dword v0, off, s[68:71], 0 offset:320 ; 4-byte Folded Reload
	buffer_load_dword v1, off, s[68:71], 0 offset:324 ; 4-byte Folded Reload
	buffer_load_dword v2, off, s[68:71], 0 offset:328 ; 4-byte Folded Reload
	buffer_load_dword v3, off, s[68:71], 0 offset:332 ; 4-byte Folded Reload
	s_waitcnt vmcnt(3)
	v_add_co_u32_e32 v0, vcc, v0, v104
	s_waitcnt vmcnt(0)
	v_addc_co_u32_e32 v1, vcc, v3, v105, vcc
	global_load_dwordx2 v[18:19], v[0:1], off
	s_nop 0
	buffer_load_dword v0, off, s[68:71], 0 offset:336 ; 4-byte Folded Reload
	buffer_load_dword v1, off, s[68:71], 0 offset:340 ; 4-byte Folded Reload
	buffer_load_dword v2, off, s[68:71], 0 offset:344 ; 4-byte Folded Reload
	buffer_load_dword v3, off, s[68:71], 0 offset:348 ; 4-byte Folded Reload
	s_waitcnt vmcnt(3)
	v_add_co_u32_e32 v0, vcc, v0, v104
	s_waitcnt vmcnt(0)
	v_addc_co_u32_e32 v1, vcc, v3, v105, vcc
	global_load_dwordx2 v[112:113], v[0:1], off
.LBB128_105:                            ;   in Loop: Header=BB128_86 Depth=1
	s_or_b64 exec, exec, s[0:1]
	v_add_co_u32_e32 v0, vcc, 0xffffff08, v115
	v_addc_co_u32_e32 v1, vcc, -1, v118, vcc
	v_cmp_gt_i64_e32 vcc, s[12:13], v[0:1]
	v_pk_mov_b32 v[116:117], 0, 0
	buffer_store_dword v116, off, s[68:71], 0 offset:544 ; 4-byte Folded Spill
	s_nop 0
	buffer_store_dword v117, off, s[68:71], 0 offset:548 ; 4-byte Folded Spill
	s_and_saveexec_b64 s[0:1], vcc
	s_cbranch_execz .LBB128_107
; %bb.106:                              ;   in Loop: Header=BB128_86 Depth=1
	buffer_load_dword v0, off, s[68:71], 0 offset:288 ; 4-byte Folded Reload
	buffer_load_dword v1, off, s[68:71], 0 offset:292 ; 4-byte Folded Reload
	buffer_load_dword v2, off, s[68:71], 0 offset:296 ; 4-byte Folded Reload
	buffer_load_dword v3, off, s[68:71], 0 offset:300 ; 4-byte Folded Reload
	s_waitcnt vmcnt(3)
	v_add_co_u32_e32 v0, vcc, v0, v104
	s_waitcnt vmcnt(0)
	v_addc_co_u32_e32 v1, vcc, v3, v105, vcc
	global_load_dwordx2 v[20:21], v[0:1], off
	s_nop 0
	buffer_load_dword v0, off, s[68:71], 0 offset:304 ; 4-byte Folded Reload
	buffer_load_dword v1, off, s[68:71], 0 offset:308 ; 4-byte Folded Reload
	buffer_load_dword v2, off, s[68:71], 0 offset:312 ; 4-byte Folded Reload
	buffer_load_dword v3, off, s[68:71], 0 offset:316 ; 4-byte Folded Reload
	s_waitcnt vmcnt(3)
	v_add_co_u32_e32 v0, vcc, v0, v104
	s_waitcnt vmcnt(0)
	v_addc_co_u32_e32 v1, vcc, v3, v105, vcc
	global_load_dwordx2 v[0:1], v[0:1], off
	s_waitcnt vmcnt(0)
	buffer_store_dword v0, off, s[68:71], 0 offset:544 ; 4-byte Folded Spill
	s_nop 0
	buffer_store_dword v1, off, s[68:71], 0 offset:548 ; 4-byte Folded Spill
.LBB128_107:                            ;   in Loop: Header=BB128_86 Depth=1
	;; [unrolled: 62-line block ×3, first 2 shown]
	s_or_b64 exec, exec, s[0:1]
	v_add_co_u32_e32 v0, vcc, 0xffffff0b, v115
	v_addc_co_u32_e32 v1, vcc, -1, v118, vcc
	v_cmp_gt_i64_e32 vcc, s[12:13], v[0:1]
	s_and_saveexec_b64 s[0:1], vcc
	s_cbranch_execz .LBB128_113
; %bb.112:                              ;   in Loop: Header=BB128_86 Depth=1
	buffer_load_dword v0, off, s[68:71], 0 offset:192 ; 4-byte Folded Reload
	buffer_load_dword v1, off, s[68:71], 0 offset:196 ; 4-byte Folded Reload
	;; [unrolled: 1-line block ×4, first 2 shown]
	s_waitcnt vmcnt(3)
	v_add_co_u32_e32 v0, vcc, v0, v104
	s_waitcnt vmcnt(0)
	v_addc_co_u32_e32 v1, vcc, v3, v105, vcc
	global_load_dwordx2 v[26:27], v[0:1], off
	s_nop 0
	buffer_load_dword v0, off, s[68:71], 0 offset:208 ; 4-byte Folded Reload
	buffer_load_dword v1, off, s[68:71], 0 offset:212 ; 4-byte Folded Reload
	;; [unrolled: 1-line block ×4, first 2 shown]
	s_waitcnt vmcnt(3)
	v_add_co_u32_e32 v0, vcc, v0, v104
	s_waitcnt vmcnt(0)
	v_addc_co_u32_e32 v1, vcc, v3, v105, vcc
	global_load_dwordx2 v[120:121], v[0:1], off
.LBB128_113:                            ;   in Loop: Header=BB128_86 Depth=1
	s_or_b64 exec, exec, s[0:1]
	v_add_co_u32_e32 v0, vcc, 0xffffff0c, v115
	v_addc_co_u32_e32 v1, vcc, -1, v118, vcc
	v_pk_mov_b32 v[126:127], 0, 0
	v_cmp_gt_i64_e32 vcc, s[12:13], v[0:1]
	v_pk_mov_b32 v[100:101], v[126:127], v[126:127] op_sel:[0,1]
	s_and_saveexec_b64 s[0:1], vcc
	s_cbranch_execz .LBB128_115
; %bb.114:                              ;   in Loop: Header=BB128_86 Depth=1
	buffer_load_dword v0, off, s[68:71], 0 offset:160 ; 4-byte Folded Reload
	buffer_load_dword v1, off, s[68:71], 0 offset:164 ; 4-byte Folded Reload
	;; [unrolled: 1-line block ×4, first 2 shown]
	s_waitcnt vmcnt(3)
	v_add_co_u32_e32 v0, vcc, v0, v104
	s_waitcnt vmcnt(0)
	v_addc_co_u32_e32 v1, vcc, v3, v105, vcc
	global_load_dwordx2 v[28:29], v[0:1], off
	s_nop 0
	buffer_load_dword v0, off, s[68:71], 0 offset:176 ; 4-byte Folded Reload
	buffer_load_dword v1, off, s[68:71], 0 offset:180 ; 4-byte Folded Reload
	;; [unrolled: 1-line block ×4, first 2 shown]
	s_waitcnt vmcnt(3)
	v_add_co_u32_e32 v0, vcc, v0, v104
	s_waitcnt vmcnt(0)
	v_addc_co_u32_e32 v1, vcc, v3, v105, vcc
	global_load_dwordx2 v[100:101], v[0:1], off
.LBB128_115:                            ;   in Loop: Header=BB128_86 Depth=1
	s_or_b64 exec, exec, s[0:1]
	v_add_co_u32_e32 v0, vcc, 0xffffff0d, v115
	v_addc_co_u32_e32 v1, vcc, -1, v118, vcc
	v_cmp_gt_i64_e32 vcc, s[12:13], v[0:1]
	s_and_saveexec_b64 s[0:1], vcc
	s_cbranch_execz .LBB128_117
; %bb.116:                              ;   in Loop: Header=BB128_86 Depth=1
	buffer_load_dword v0, off, s[68:71], 0 offset:128 ; 4-byte Folded Reload
	buffer_load_dword v1, off, s[68:71], 0 offset:132 ; 4-byte Folded Reload
	;; [unrolled: 1-line block ×4, first 2 shown]
	s_waitcnt vmcnt(3)
	v_add_co_u32_e32 v0, vcc, v0, v104
	s_waitcnt vmcnt(0)
	v_addc_co_u32_e32 v1, vcc, v3, v105, vcc
	global_load_dwordx2 v[30:31], v[0:1], off
	s_nop 0
	buffer_load_dword v0, off, s[68:71], 0 offset:144 ; 4-byte Folded Reload
	buffer_load_dword v1, off, s[68:71], 0 offset:148 ; 4-byte Folded Reload
	;; [unrolled: 1-line block ×4, first 2 shown]
	s_waitcnt vmcnt(3)
	v_add_co_u32_e32 v0, vcc, v0, v104
	s_waitcnt vmcnt(0)
	v_addc_co_u32_e32 v1, vcc, v3, v105, vcc
	global_load_dwordx2 v[126:127], v[0:1], off
.LBB128_117:                            ;   in Loop: Header=BB128_86 Depth=1
	s_or_b64 exec, exec, s[0:1]
	v_add_co_u32_e32 v0, vcc, 0xffffff0e, v115
	v_addc_co_u32_e32 v1, vcc, -1, v118, vcc
	v_pk_mov_b32 v[102:103], 0, 0
	v_cmp_gt_i64_e32 vcc, s[12:13], v[0:1]
	v_pk_mov_b32 v[0:1], v[102:103], v[102:103] op_sel:[0,1]
	s_and_saveexec_b64 s[0:1], vcc
	s_cbranch_execz .LBB128_119
; %bb.118:                              ;   in Loop: Header=BB128_86 Depth=1
	buffer_load_dword v0, off, s[68:71], 0 offset:96 ; 4-byte Folded Reload
	buffer_load_dword v1, off, s[68:71], 0 offset:100 ; 4-byte Folded Reload
	;; [unrolled: 1-line block ×4, first 2 shown]
	s_waitcnt vmcnt(3)
	v_add_co_u32_e32 v0, vcc, v0, v104
	s_waitcnt vmcnt(0)
	v_addc_co_u32_e32 v1, vcc, v3, v105, vcc
	global_load_dwordx2 v[32:33], v[0:1], off
	s_nop 0
	buffer_load_dword v0, off, s[68:71], 0 offset:112 ; 4-byte Folded Reload
	buffer_load_dword v1, off, s[68:71], 0 offset:116 ; 4-byte Folded Reload
	;; [unrolled: 1-line block ×4, first 2 shown]
	s_waitcnt vmcnt(3)
	v_add_co_u32_e32 v0, vcc, v0, v104
	s_waitcnt vmcnt(0)
	v_addc_co_u32_e32 v1, vcc, v3, v105, vcc
	global_load_dwordx2 v[0:1], v[0:1], off
.LBB128_119:                            ;   in Loop: Header=BB128_86 Depth=1
	s_or_b64 exec, exec, s[0:1]
	v_add_co_u32_e32 v2, vcc, 0xffffff0f, v115
	s_waitcnt vmcnt(12)
	v_addc_co_u32_e32 v3, vcc, -1, v118, vcc
	v_cmp_gt_i64_e32 vcc, s[12:13], v[2:3]
	s_and_saveexec_b64 s[0:1], vcc
	s_cbranch_execz .LBB128_121
; %bb.120:                              ;   in Loop: Header=BB128_86 Depth=1
	buffer_load_dword v2, off, s[68:71], 0 offset:64 ; 4-byte Folded Reload
	buffer_load_dword v3, off, s[68:71], 0 offset:68 ; 4-byte Folded Reload
	;; [unrolled: 1-line block ×4, first 2 shown]
	s_waitcnt vmcnt(3)
	v_add_co_u32_e32 v2, vcc, v2, v104
	s_waitcnt vmcnt(0)
	v_addc_co_u32_e32 v3, vcc, v35, v105, vcc
	global_load_dwordx2 v[34:35], v[2:3], off
	s_nop 0
	buffer_load_dword v2, off, s[68:71], 0 offset:80 ; 4-byte Folded Reload
	buffer_load_dword v3, off, s[68:71], 0 offset:84 ; 4-byte Folded Reload
	buffer_load_dword v98, off, s[68:71], 0 offset:88 ; 4-byte Folded Reload
	buffer_load_dword v99, off, s[68:71], 0 offset:92 ; 4-byte Folded Reload
	s_waitcnt vmcnt(3)
	v_add_co_u32_e32 v2, vcc, v2, v104
	s_waitcnt vmcnt(0)
	v_addc_co_u32_e32 v3, vcc, v99, v105, vcc
	global_load_dwordx2 v[102:103], v[2:3], off
.LBB128_121:                            ;   in Loop: Header=BB128_86 Depth=1
	s_or_b64 exec, exec, s[0:1]
	v_add_co_u32_e32 v2, vcc, 0xffffff10, v115
	v_addc_co_u32_e32 v3, vcc, -1, v118, vcc
	v_cmp_gt_i64_e32 vcc, s[12:13], v[2:3]
	v_pk_mov_b32 v[98:99], 0, 0
	s_and_saveexec_b64 s[0:1], vcc
	s_cbranch_execz .LBB128_123
; %bb.122:                              ;   in Loop: Header=BB128_86 Depth=1
	buffer_load_dword v2, off, s[68:71], 0 offset:32 ; 4-byte Folded Reload
	buffer_load_dword v3, off, s[68:71], 0 offset:36 ; 4-byte Folded Reload
	;; [unrolled: 1-line block ×4, first 2 shown]
	s_waitcnt vmcnt(3)
	v_add_co_u32_e32 v2, vcc, v2, v104
	s_waitcnt vmcnt(0)
	v_addc_co_u32_e32 v3, vcc, v37, v105, vcc
	global_load_dwordx2 v[36:37], v[2:3], off
	s_nop 0
	buffer_load_dword v2, off, s[68:71], 0 offset:48 ; 4-byte Folded Reload
	buffer_load_dword v3, off, s[68:71], 0 offset:52 ; 4-byte Folded Reload
	;; [unrolled: 1-line block ×4, first 2 shown]
	s_waitcnt vmcnt(3)
	v_add_co_u32_e32 v2, vcc, v2, v104
	s_waitcnt vmcnt(0)
	v_addc_co_u32_e32 v3, vcc, v99, v105, vcc
	global_load_dwordx2 v[98:99], v[2:3], off
.LBB128_123:                            ;   in Loop: Header=BB128_86 Depth=1
	s_or_b64 exec, exec, s[0:1]
	buffer_load_dword v108, off, s[68:71], 0 offset:512 ; 4-byte Folded Reload
	buffer_load_dword v109, off, s[68:71], 0 offset:516 ; 4-byte Folded Reload
	s_waitcnt vmcnt(12)
	ds_bpermute_b32 v2, v114, v106
	ds_bpermute_b32 v3, v114, v107
	s_waitcnt vmcnt(2)
	v_mul_f64 v[0:1], v[0:1], v[32:33]
	s_waitcnt vmcnt(0)
	v_mul_f64 v[6:7], v[108:109], v[6:7]
	buffer_load_dword v108, off, s[68:71], 0 offset:520 ; 4-byte Folded Reload
	buffer_load_dword v109, off, s[68:71], 0 offset:524 ; 4-byte Folded Reload
	s_waitcnt lgkmcnt(0)
	v_fma_f64 v[2:3], v[6:7], v[2:3], v[124:125]
	ds_bpermute_b32 v6, v114, v106 offset:4
	ds_bpermute_b32 v7, v114, v107 offset:4
	s_waitcnt vmcnt(0)
	v_mul_f64 v[8:9], v[108:109], v[8:9]
	s_waitcnt lgkmcnt(0)
	v_fmac_f64_e32 v[2:3], v[8:9], v[6:7]
	ds_bpermute_b32 v6, v114, v106 offset:8
	ds_bpermute_b32 v7, v114, v107 offset:8
	v_mul_f64 v[8:9], v[122:123], v[10:11]
	s_waitcnt lgkmcnt(0)
	v_fmac_f64_e32 v[2:3], v[8:9], v[6:7]
	buffer_load_dword v8, off, s[68:71], 0 offset:528 ; 4-byte Folded Reload
	buffer_load_dword v9, off, s[68:71], 0 offset:532 ; 4-byte Folded Reload
	ds_bpermute_b32 v6, v114, v106 offset:12
	ds_bpermute_b32 v7, v114, v107 offset:12
	s_waitcnt vmcnt(0)
	v_mul_f64 v[8:9], v[8:9], v[12:13]
	s_waitcnt lgkmcnt(0)
	v_fmac_f64_e32 v[2:3], v[8:9], v[6:7]
	ds_bpermute_b32 v6, v114, v106 offset:16
	ds_bpermute_b32 v7, v114, v107 offset:16
	v_mul_f64 v[8:9], v[110:111], v[14:15]
	s_waitcnt lgkmcnt(0)
	v_fmac_f64_e32 v[2:3], v[8:9], v[6:7]
	buffer_load_dword v8, off, s[68:71], 0 offset:536 ; 4-byte Folded Reload
	buffer_load_dword v9, off, s[68:71], 0 offset:540 ; 4-byte Folded Reload
	;; [unrolled: 13-line block ×4, first 2 shown]
	ds_bpermute_b32 v6, v114, v106 offset:36
	ds_bpermute_b32 v7, v114, v107 offset:36
	s_waitcnt vmcnt(0)
	v_mul_f64 v[8:9], v[8:9], v[24:25]
	s_waitcnt lgkmcnt(0)
	v_fmac_f64_e32 v[2:3], v[8:9], v[6:7]
	ds_bpermute_b32 v6, v114, v106 offset:40
	ds_bpermute_b32 v7, v114, v107 offset:40
	v_mul_f64 v[8:9], v[120:121], v[26:27]
	s_waitcnt lgkmcnt(0)
	v_fmac_f64_e32 v[2:3], v[8:9], v[6:7]
	ds_bpermute_b32 v6, v114, v106 offset:44
	ds_bpermute_b32 v7, v114, v107 offset:44
	;; [unrolled: 5-line block ×4, first 2 shown]
	s_waitcnt lgkmcnt(0)
	v_fmac_f64_e32 v[2:3], v[0:1], v[6:7]
	ds_bpermute_b32 v0, v114, v106 offset:56
	ds_bpermute_b32 v1, v114, v107 offset:56
	v_mul_f64 v[6:7], v[102:103], v[34:35]
	s_waitcnt lgkmcnt(0)
	v_fmac_f64_e32 v[2:3], v[6:7], v[0:1]
	ds_bpermute_b32 v0, v114, v106 offset:60
	ds_bpermute_b32 v1, v114, v107 offset:60
	v_mul_f64 v[6:7], v[98:99], v[36:37]
	s_waitcnt lgkmcnt(0)
	v_fmac_f64_e32 v[2:3], v[6:7], v[0:1]
	s_branch .LBB128_130
.LBB128_124:                            ;   in Loop: Header=BB128_86 Depth=1
                                        ; implicit-def: $vgpr2_vgpr3
	s_cbranch_execz .LBB128_130
; %bb.125:                              ;   in Loop: Header=BB128_86 Depth=1
	s_load_dword s0, s[2:3], 0x0
	v_mov_b32_e32 v1, v119
	s_waitcnt vmcnt(0)
	v_pk_mov_b32 v[2:3], 0, 0
	s_waitcnt lgkmcnt(0)
	s_cmp_lt_u32 s6, s0
	s_cselect_b32 s0, 12, 18
	s_add_u32 s0, s2, s0
	s_addc_u32 s1, s3, 0
	global_load_ushort v0, v4, s[0:1]
	s_waitcnt vmcnt(0)
	v_mad_u32_u24 v0, v5, v0, v1
	v_and_b32_e32 v0, 63, v0
	v_cmp_gt_u32_e32 vcc, 16, v0
	s_and_saveexec_b64 s[0:1], vcc
	s_cbranch_execz .LBB128_129
; %bb.126:                              ;   in Loop: Header=BB128_86 Depth=1
	v_add_co_u32_e32 v0, vcc, v115, v0
	v_addc_co_u32_e32 v1, vcc, 0, v118, vcc
	v_add_co_u32_e32 v0, vcc, 0xffffff01, v0
	v_addc_co_u32_e32 v1, vcc, -1, v1, vcc
	v_cmp_gt_i64_e32 vcc, s[12:13], v[0:1]
	v_pk_mov_b32 v[2:3], 0, 0
	s_and_saveexec_b64 s[18:19], vcc
	s_cbranch_execz .LBB128_128
; %bb.127:                              ;   in Loop: Header=BB128_86 Depth=1
	v_lshlrev_b64 v[0:1], 3, v[0:1]
	v_mov_b32_e32 v2, s11
	v_add_co_u32_e32 v0, vcc, s10, v0
	v_addc_co_u32_e32 v1, vcc, v2, v1, vcc
	global_load_dwordx2 v[2:3], v[0:1], off
.LBB128_128:                            ;   in Loop: Header=BB128_86 Depth=1
	s_or_b64 exec, exec, s[18:19]
.LBB128_129:                            ;   in Loop: Header=BB128_86 Depth=1
	s_or_b64 exec, exec, s[0:1]
	buffer_load_dword v0, off, s[68:71], 0  ; 4-byte Folded Reload
	buffer_load_dword v1, off, s[68:71], 0 offset:4 ; 4-byte Folded Reload
	buffer_load_dword v6, off, s[68:71], 0 offset:8 ; 4-byte Folded Reload
	buffer_load_dword v7, off, s[68:71], 0 offset:12 ; 4-byte Folded Reload
	s_waitcnt vmcnt(4)
	ds_bpermute_b32 v106, v114, v2
	ds_bpermute_b32 v107, v114, v3
	s_waitcnt vmcnt(3)
	v_add_co_u32_e32 v0, vcc, v0, v104
	s_waitcnt vmcnt(0)
	v_addc_co_u32_e32 v1, vcc, v7, v105, vcc
	global_load_dwordx2 v[100:101], v[0:1], off
	s_nop 0
	buffer_load_dword v0, off, s[68:71], 0 offset:16 ; 4-byte Folded Reload
	buffer_load_dword v1, off, s[68:71], 0 offset:20 ; 4-byte Folded Reload
	buffer_load_dword v6, off, s[68:71], 0 offset:24 ; 4-byte Folded Reload
	buffer_load_dword v7, off, s[68:71], 0 offset:28 ; 4-byte Folded Reload
	s_waitcnt vmcnt(3)
	v_add_co_u32_e32 v0, vcc, v0, v104
	s_waitcnt vmcnt(0)
	v_addc_co_u32_e32 v1, vcc, v7, v105, vcc
	global_load_dwordx2 v[102:103], v[0:1], off
	v_add_co_u32_e32 v0, vcc, v38, v104
	v_addc_co_u32_e32 v1, vcc, v39, v105, vcc
	global_load_dwordx2 v[36:37], v[0:1], off
	v_add_co_u32_e32 v0, vcc, v58, v104
	;; [unrolled: 3-line block ×11, first 2 shown]
	v_addc_co_u32_e32 v1, vcc, v49, v105, vcc
	v_add_co_u32_e32 v6, vcc, v70, v104
	v_addc_co_u32_e32 v7, vcc, v71, v105, vcc
	global_load_dwordx2 v[10:11], v[6:7], off
	v_add_co_u32_e32 v6, vcc, v50, v104
	v_addc_co_u32_e32 v7, vcc, v51, v105, vcc
	global_load_dwordx2 v[8:9], v[6:7], off
	;; [unrolled: 3-line block ×3, first 2 shown]
	v_add_co_u32_e32 v6, vcc, v52, v104
	v_addc_co_u32_e32 v7, vcc, v53, v105, vcc
	v_add_co_u32_e32 v12, vcc, v74, v104
	v_addc_co_u32_e32 v13, vcc, v75, v105, vcc
	;; [unrolled: 2-line block ×3, first 2 shown]
	v_add_co_u32_e32 v18, vcc, v78, v104
	s_waitcnt vmcnt(13)
	v_mul_f64 v[102:103], v[100:101], v[102:103]
	v_addc_co_u32_e32 v19, vcc, v79, v105, vcc
	s_waitcnt lgkmcnt(0)
	v_fmac_f64_e32 v[124:125], v[102:103], v[106:107]
	ds_bpermute_b32 v106, v114, v2 offset:4
	ds_bpermute_b32 v107, v114, v3 offset:4
	v_add_co_u32_e32 v100, vcc, v56, v104
	v_addc_co_u32_e32 v101, vcc, v57, v105, vcc
	v_add_co_u32_e32 v102, vcc, v80, v104
	global_load_dwordx2 v[0:1], v[0:1], off
	v_addc_co_u32_e32 v103, vcc, v81, v105, vcc
	s_waitcnt vmcnt(12)
	v_mul_f64 v[98:99], v[36:37], v[98:99]
	v_add_co_u32_e32 v36, vcc, v64, v104
	s_waitcnt lgkmcnt(0)
	v_fmac_f64_e32 v[124:125], v[98:99], v[106:107]
	ds_bpermute_b32 v106, v114, v2 offset:8
	ds_bpermute_b32 v107, v114, v3 offset:8
	v_addc_co_u32_e32 v37, vcc, v65, v105, vcc
	v_add_co_u32_e32 v98, vcc, v82, v104
	v_addc_co_u32_e32 v99, vcc, v83, v105, vcc
	s_waitcnt vmcnt(10)
	v_mul_f64 v[34:35], v[32:33], v[34:35]
	v_add_co_u32_e32 v32, vcc, v76, v104
	global_load_dwordx2 v[6:7], v[6:7], off
	v_addc_co_u32_e32 v33, vcc, v77, v105, vcc
	global_load_dwordx2 v[12:13], v[12:13], off
	s_waitcnt lgkmcnt(0)
	v_fmac_f64_e32 v[124:125], v[34:35], v[106:107]
	ds_bpermute_b32 v106, v114, v2 offset:12
	ds_bpermute_b32 v107, v114, v3 offset:12
	global_load_dwordx2 v[14:15], v[14:15], off
	v_add_co_u32_e32 v34, vcc, v84, v104
	global_load_dwordx2 v[18:19], v[18:19], off
	v_addc_co_u32_e32 v35, vcc, v85, v105, vcc
	s_waitcnt vmcnt(12)
	v_mul_f64 v[26:27], v[26:27], v[30:31]
	v_add_co_u32_e32 v30, vcc, v86, v104
	s_waitcnt vmcnt(10)
	v_mul_f64 v[24:25], v[24:25], v[28:29]
	ds_bpermute_b32 v28, v114, v2 offset:16
	ds_bpermute_b32 v29, v114, v3 offset:16
	v_addc_co_u32_e32 v31, vcc, v87, v105, vcc
	s_waitcnt lgkmcnt(2)
	v_fmac_f64_e32 v[124:125], v[26:27], v[106:107]
	v_add_co_u32_e32 v26, vcc, v88, v104
	global_load_dwordx2 v[100:101], v[100:101], off
	v_addc_co_u32_e32 v27, vcc, v89, v105, vcc
	global_load_dwordx2 v[102:103], v[102:103], off
	v_add_co_u32_e32 v106, vcc, v90, v104
	global_load_dwordx2 v[36:37], v[36:37], off
	v_addc_co_u32_e32 v107, vcc, v91, v105, vcc
	global_load_dwordx2 v[98:99], v[98:99], off
	s_waitcnt lgkmcnt(0)
	v_fmac_f64_e32 v[124:125], v[24:25], v[28:29]
	global_load_dwordx2 v[32:33], v[32:33], off
	ds_bpermute_b32 v28, v114, v2 offset:20
	global_load_dwordx2 v[34:35], v[34:35], off
	ds_bpermute_b32 v29, v114, v3 offset:20
	v_add_co_u32_e32 v24, vcc, v92, v104
	v_addc_co_u32_e32 v25, vcc, v93, v105, vcc
	s_waitcnt vmcnt(14)
	v_mul_f64 v[20:21], v[20:21], v[22:23]
	v_add_co_u32_e32 v22, vcc, v94, v104
	v_addc_co_u32_e32 v23, vcc, v95, v105, vcc
	global_load_dwordx2 v[30:31], v[30:31], off
	s_waitcnt lgkmcnt(0)
	v_fmac_f64_e32 v[124:125], v[20:21], v[28:29]
	global_load_dwordx2 v[26:27], v[26:27], off
	v_add_co_u32_e32 v20, vcc, v96, v104
	global_load_dwordx2 v[106:107], v[106:107], off
	v_addc_co_u32_e32 v21, vcc, v97, v105, vcc
	global_load_dwordx2 v[24:25], v[24:25], off
	ds_bpermute_b32 v28, v114, v2 offset:24
	global_load_dwordx2 v[22:23], v[22:23], off
	ds_bpermute_b32 v29, v114, v3 offset:24
	global_load_dwordx2 v[20:21], v[20:21], off
	s_waitcnt vmcnt(17)
	v_mul_f64 v[8:9], v[8:9], v[16:17]
	s_waitcnt vmcnt(16)
	v_mul_f64 v[0:1], v[0:1], v[10:11]
	ds_bpermute_b32 v10, v114, v2 offset:32
	s_waitcnt lgkmcnt(1)
	v_fmac_f64_e32 v[124:125], v[0:1], v[28:29]
	ds_bpermute_b32 v0, v114, v2 offset:28
	ds_bpermute_b32 v1, v114, v3 offset:28
	;; [unrolled: 1-line block ×5, first 2 shown]
	s_waitcnt lgkmcnt(3)
	v_fmac_f64_e32 v[124:125], v[8:9], v[0:1]
	ds_bpermute_b32 v8, v114, v2 offset:44
	ds_bpermute_b32 v9, v114, v3 offset:44
	s_waitcnt vmcnt(14)
	v_mul_f64 v[0:1], v[6:7], v[12:13]
	s_waitcnt lgkmcnt(4)
	v_fmac_f64_e32 v[124:125], v[0:1], v[10:11]
	ds_bpermute_b32 v10, v114, v2 offset:48
	ds_bpermute_b32 v11, v114, v3 offset:48
	s_waitcnt vmcnt(12)
	v_mul_f64 v[0:1], v[14:15], v[18:19]
	;; [unrolled: 6-line block ×3, first 2 shown]
	s_waitcnt lgkmcnt(0)
	v_fmac_f64_e32 v[124:125], v[6:7], v[0:1]
	s_waitcnt vmcnt(8)
	v_mul_f64 v[0:1], v[36:37], v[98:99]
	v_fmac_f64_e32 v[124:125], v[0:1], v[8:9]
	ds_bpermute_b32 v8, v114, v2 offset:56
	ds_bpermute_b32 v9, v114, v3 offset:56
	s_waitcnt vmcnt(6)
	v_mul_f64 v[0:1], v[32:33], v[34:35]
	v_fmac_f64_e32 v[124:125], v[0:1], v[10:11]
	ds_bpermute_b32 v0, v114, v2 offset:52
	ds_bpermute_b32 v1, v114, v3 offset:52
	;; [unrolled: 1-line block ×4, first 2 shown]
	s_waitcnt vmcnt(4)
	v_mul_f64 v[6:7], v[30:31], v[26:27]
	s_waitcnt lgkmcnt(2)
	v_fmac_f64_e32 v[124:125], v[6:7], v[0:1]
	s_waitcnt vmcnt(2)
	v_mul_f64 v[0:1], v[106:107], v[24:25]
	v_fmac_f64_e32 v[124:125], v[0:1], v[8:9]
	s_waitcnt vmcnt(0)
	v_mul_f64 v[0:1], v[22:23], v[20:21]
	s_waitcnt lgkmcnt(0)
	v_fmac_f64_e32 v[124:125], v[0:1], v[2:3]
	v_pk_mov_b32 v[2:3], v[124:125], v[124:125] op_sel:[0,1]
.LBB128_130:                            ;   in Loop: Header=BB128_86 Depth=1
	buffer_load_dword v6, off, s[68:71], 0  ; 4-byte Folded Reload
	buffer_load_dword v7, off, s[68:71], 0 offset:4 ; 4-byte Folded Reload
	v_add_co_u32_e32 v38, vcc, s16, v38
	v_mov_b32_e32 v0, s17
	v_addc_co_u32_e32 v39, vcc, v39, v0, vcc
	v_add_co_u32_e32 v40, vcc, s16, v40
	v_addc_co_u32_e32 v41, vcc, v41, v0, vcc
	v_add_co_u32_e32 v42, vcc, s16, v42
	;; [unrolled: 2-line block ×14, first 2 shown]
	v_addc_co_u32_e32 v95, vcc, v95, v0, vcc
	s_add_u32 s20, s20, s7
	s_addc_u32 s21, s21, 0
	s_add_u32 s8, s8, s7
	s_addc_u32 s9, s9, 0
	s_waitcnt vmcnt(1)
	v_add_co_u32_e32 v6, vcc, s16, v6
	s_waitcnt vmcnt(0)
	buffer_store_dword v6, off, s[68:71], 0 ; 4-byte Folded Spill
	s_nop 0
	buffer_store_dword v7, off, s[68:71], 0 offset:4 ; 4-byte Folded Spill
	buffer_load_dword v6, off, s[68:71], 0 offset:8 ; 4-byte Folded Reload
	s_nop 0
	buffer_load_dword v7, off, s[68:71], 0 offset:12 ; 4-byte Folded Reload
	s_waitcnt vmcnt(0)
	v_addc_co_u32_e32 v7, vcc, v7, v0, vcc
	buffer_store_dword v6, off, s[68:71], 0 offset:8 ; 4-byte Folded Spill
	s_nop 0
	buffer_store_dword v7, off, s[68:71], 0 offset:12 ; 4-byte Folded Spill
	buffer_load_dword v6, off, s[68:71], 0 offset:16 ; 4-byte Folded Reload
	s_nop 0
	buffer_load_dword v7, off, s[68:71], 0 offset:20 ; 4-byte Folded Reload
	v_add_co_u32_e32 v58, vcc, s16, v58
	v_addc_co_u32_e32 v59, vcc, v59, v0, vcc
	v_add_co_u32_e32 v60, vcc, s16, v60
	v_addc_co_u32_e32 v61, vcc, v61, v0, vcc
	;; [unrolled: 2-line block ×15, first 2 shown]
	s_waitcnt vmcnt(1)
	v_add_co_u32_e32 v6, vcc, s16, v6
	s_waitcnt vmcnt(0)
	buffer_store_dword v6, off, s[68:71], 0 offset:16 ; 4-byte Folded Spill
	s_nop 0
	buffer_store_dword v7, off, s[68:71], 0 offset:20 ; 4-byte Folded Spill
	buffer_load_dword v6, off, s[68:71], 0 offset:24 ; 4-byte Folded Reload
	s_nop 0
	buffer_load_dword v7, off, s[68:71], 0 offset:28 ; 4-byte Folded Reload
	s_waitcnt vmcnt(0)
	v_addc_co_u32_e32 v7, vcc, v7, v0, vcc
	buffer_store_dword v6, off, s[68:71], 0 offset:24 ; 4-byte Folded Spill
	s_nop 0
	buffer_store_dword v7, off, s[68:71], 0 offset:28 ; 4-byte Folded Spill
	buffer_load_dword v6, off, s[68:71], 0 offset:32 ; 4-byte Folded Reload
	s_nop 0
	buffer_load_dword v7, off, s[68:71], 0 offset:36 ; 4-byte Folded Reload
	s_waitcnt vmcnt(1)
	v_add_co_u32_e32 v6, vcc, s16, v6
	s_waitcnt vmcnt(0)
	buffer_store_dword v6, off, s[68:71], 0 offset:32 ; 4-byte Folded Spill
	s_nop 0
	buffer_store_dword v7, off, s[68:71], 0 offset:36 ; 4-byte Folded Spill
	buffer_load_dword v6, off, s[68:71], 0 offset:40 ; 4-byte Folded Reload
	s_nop 0
	buffer_load_dword v7, off, s[68:71], 0 offset:44 ; 4-byte Folded Reload
	s_waitcnt vmcnt(0)
	v_addc_co_u32_e32 v7, vcc, v7, v0, vcc
	buffer_store_dword v6, off, s[68:71], 0 offset:40 ; 4-byte Folded Spill
	s_nop 0
	buffer_store_dword v7, off, s[68:71], 0 offset:44 ; 4-byte Folded Spill
	buffer_load_dword v6, off, s[68:71], 0 offset:48 ; 4-byte Folded Reload
	s_nop 0
	buffer_load_dword v7, off, s[68:71], 0 offset:52 ; 4-byte Folded Reload
	;; [unrolled: 17-line block ×30, first 2 shown]
	s_waitcnt vmcnt(1)
	v_add_co_u32_e32 v6, vcc, s16, v6
	s_waitcnt vmcnt(0)
	buffer_store_dword v6, off, s[68:71], 0 offset:496 ; 4-byte Folded Spill
	s_nop 0
	buffer_store_dword v7, off, s[68:71], 0 offset:500 ; 4-byte Folded Spill
	buffer_load_dword v6, off, s[68:71], 0 offset:504 ; 4-byte Folded Reload
	s_nop 0
	buffer_load_dword v7, off, s[68:71], 0 offset:508 ; 4-byte Folded Reload
	s_waitcnt vmcnt(0)
	v_addc_co_u32_e32 v7, vcc, v7, v0, vcc
	v_pk_mov_b32 v[0:1], s[12:13], s[12:13] op_sel:[0,1]
	v_cmp_ge_i64_e32 vcc, s[20:21], v[0:1]
	buffer_store_dword v6, off, s[68:71], 0 offset:504 ; 4-byte Folded Spill
	s_nop 0
	buffer_store_dword v7, off, s[68:71], 0 offset:508 ; 4-byte Folded Spill
	s_cbranch_vccnz .LBB128_132
; %bb.131:                              ;   in Loop: Header=BB128_86 Depth=1
	v_pk_mov_b32 v[124:125], v[2:3], v[2:3] op_sel:[0,1]
	s_branch .LBB128_86
.LBB128_132:
	buffer_load_dword v36, off, s[68:71], 0 offset:568 ; 4-byte Folded Reload
.LBB128_133:
	s_waitcnt vmcnt(0)
	v_bfe_u32 v0, v36, 10, 10
	v_and_b32_e32 v4, 0x3ff, v36
	s_movk_i32 s0, 0x41
	v_mad_u32_u24 v1, v0, s0, v4
	v_lshl_add_u32 v1, v1, 3, 0
	ds_write_b64 v1, v[2:3]
	v_mov_b32_e32 v2, 0
	v_mov_b32_e32 v3, v2
	ds_write_b64 v1, v[2:3] offset:8320
	v_lshrrev_b32_e32 v1, 6, v4
	v_add_u32_e32 v2, v1, v0
	s_mov_b32 s7, 0
	v_cmp_gt_u32_e32 vcc, 64, v2
	s_waitcnt lgkmcnt(0)
	s_barrier
	s_and_saveexec_b64 s[0:1], vcc
	s_cbranch_execz .LBB128_140
; %bb.134:
	v_mbcnt_lo_u32_b32 v5, -1, 0
	v_mbcnt_hi_u32_b32 v5, -1, v5
	v_and_b32_e32 v6, 64, v5
	v_and_b32_e32 v3, 63, v4
	v_add_u32_e32 v9, 64, v6
	v_cmp_ne_u32_e64 s[2:3], 0, v4
	v_xor_b32_e32 v4, 8, v5
	v_cmp_lt_i32_e32 vcc, v4, v9
	v_cndmask_b32_e32 v4, v5, v4, vcc
	v_lshlrev_b32_e32 v6, 2, v4
	v_xor_b32_e32 v4, 4, v5
	v_cmp_lt_i32_e32 vcc, v4, v9
	v_cndmask_b32_e32 v4, v5, v4, vcc
	v_lshlrev_b32_e32 v7, 2, v4
	;; [unrolled: 4-line block ×3, first 2 shown]
	v_xor_b32_e32 v4, 1, v5
	s_load_dwordx2 s[4:5], s[4:5], 0x30
	v_cmp_lt_i32_e32 vcc, v4, v9
	v_cmp_gt_u32_e64 s[0:1], 16, v3
	s_lshl_b64 s[6:7], s[6:7], 6
	v_mul_u32_u24_e32 v3, 0x208, v3
	v_cndmask_b32_e32 v4, v5, v4, vcc
	v_lshlrev_b32_e32 v2, 3, v2
	v_add_co_u32_e32 v0, vcc, v1, v0
	v_add3_u32 v10, v3, v2, 0
	v_addc_co_u32_e64 v1, s[12:13], 0, 0, vcc
	v_mov_b32_e32 v3, s7
	v_add_co_u32_e32 v2, vcc, s6, v0
	v_addc_co_u32_e32 v3, vcc, v1, v3, vcc
	v_lshlrev_b64 v[2:3], 3, v[2:3]
	s_waitcnt lgkmcnt(0)
	s_cmp_eq_u64 s[4:5], 0
	v_lshlrev_b32_e32 v9, 2, v4
	v_mov_b32_e32 v4, s5
	v_add_co_u32_e32 v2, vcc, s4, v2
	s_mov_b64 s[8:9], 0
	s_cselect_b64 s[10:11], -1, 0
	v_addc_co_u32_e32 v3, vcc, v4, v3, vcc
	v_mov_b32_e32 v11, s7
                                        ; implicit-def: $vgpr4_vgpr5
	s_branch .LBB128_136
.LBB128_135:                            ;   in Loop: Header=BB128_136 Depth=1
	s_or_b64 exec, exec, s[4:5]
	v_add_co_u32_e32 v0, vcc, 16, v0
	v_addc_co_u32_e32 v1, vcc, 0, v1, vcc
	v_add_u32_e32 v12, -16, v0
	v_add_co_u32_e32 v2, vcc, 0x80, v2
	v_cmp_lt_u32_e64 s[4:5], 47, v12
	v_add_u32_e32 v10, 0x80, v10
	s_or_b64 s[8:9], s[4:5], s[8:9]
	v_addc_co_u32_e32 v3, vcc, 0, v3, vcc
	s_andn2_b64 exec, exec, s[8:9]
	s_cbranch_execz .LBB128_140
.LBB128_136:                            ; =>This Inner Loop Header: Depth=1
	s_and_saveexec_b64 s[4:5], s[0:1]
	s_cbranch_execz .LBB128_138
; %bb.137:                              ;   in Loop: Header=BB128_136 Depth=1
	ds_read_b64 v[4:5], v10
.LBB128_138:                            ;   in Loop: Header=BB128_136 Depth=1
	s_or_b64 exec, exec, s[4:5]
	s_waitcnt lgkmcnt(0)
	ds_bpermute_b32 v12, v6, v4
	ds_bpermute_b32 v13, v6, v5
	v_add_co_u32_e32 v14, vcc, s6, v0
	v_addc_co_u32_e32 v15, vcc, v11, v1, vcc
	s_waitcnt lgkmcnt(0)
	v_add_f64 v[4:5], v[4:5], v[12:13]
	ds_bpermute_b32 v12, v7, v4
	ds_bpermute_b32 v13, v7, v5
	v_cmp_le_i64_e32 vcc, s[14:15], v[14:15]
	s_or_b64 s[4:5], s[2:3], vcc
	s_or_b64 s[4:5], s[10:11], s[4:5]
	s_xor_b64 s[12:13], s[4:5], -1
	s_waitcnt lgkmcnt(0)
	v_add_f64 v[4:5], v[4:5], v[12:13]
	ds_bpermute_b32 v12, v8, v4
	ds_bpermute_b32 v13, v8, v5
	s_waitcnt lgkmcnt(0)
	v_add_f64 v[4:5], v[4:5], v[12:13]
	ds_bpermute_b32 v12, v9, v4
	ds_bpermute_b32 v13, v9, v5
	s_waitcnt lgkmcnt(0)
	v_add_f64 v[4:5], v[4:5], v[12:13]
	s_and_saveexec_b64 s[4:5], s[12:13]
	s_cbranch_execz .LBB128_135
; %bb.139:                              ;   in Loop: Header=BB128_136 Depth=1
	global_store_dwordx2 v[2:3], v[4:5], off
	s_branch .LBB128_135
.LBB128_140:
	s_endpgm
	.section	.rodata,"a",@progbits
	.p2align	6, 0x0
	.amdhsa_kernel _ZN2at6native12_GLOBAL__N_135GammaBetaBackwardCUDAKernelTemplateIddLj64ELj16ELj256ELb0ELb0ELb1EEEvllPKT_S5_PKT0_S8_PS3_S9_
		.amdhsa_group_segment_fixed_size 0
		.amdhsa_private_segment_fixed_size 576
		.amdhsa_kernarg_size 320
		.amdhsa_user_sgpr_count 6
		.amdhsa_user_sgpr_private_segment_buffer 1
		.amdhsa_user_sgpr_dispatch_ptr 0
		.amdhsa_user_sgpr_queue_ptr 0
		.amdhsa_user_sgpr_kernarg_segment_ptr 1
		.amdhsa_user_sgpr_dispatch_id 0
		.amdhsa_user_sgpr_flat_scratch_init 0
		.amdhsa_user_sgpr_kernarg_preload_length 0
		.amdhsa_user_sgpr_kernarg_preload_offset 0
		.amdhsa_user_sgpr_private_segment_size 0
		.amdhsa_uses_dynamic_stack 0
		.amdhsa_system_sgpr_private_segment_wavefront_offset 1
		.amdhsa_system_sgpr_workgroup_id_x 1
		.amdhsa_system_sgpr_workgroup_id_y 1
		.amdhsa_system_sgpr_workgroup_id_z 0
		.amdhsa_system_sgpr_workgroup_info 0
		.amdhsa_system_vgpr_workitem_id 1
		.amdhsa_next_free_vgpr 128
		.amdhsa_next_free_sgpr 72
		.amdhsa_accum_offset 128
		.amdhsa_reserve_vcc 1
		.amdhsa_reserve_flat_scratch 0
		.amdhsa_float_round_mode_32 0
		.amdhsa_float_round_mode_16_64 0
		.amdhsa_float_denorm_mode_32 3
		.amdhsa_float_denorm_mode_16_64 3
		.amdhsa_dx10_clamp 1
		.amdhsa_ieee_mode 1
		.amdhsa_fp16_overflow 0
		.amdhsa_tg_split 0
		.amdhsa_exception_fp_ieee_invalid_op 0
		.amdhsa_exception_fp_denorm_src 0
		.amdhsa_exception_fp_ieee_div_zero 0
		.amdhsa_exception_fp_ieee_overflow 0
		.amdhsa_exception_fp_ieee_underflow 0
		.amdhsa_exception_fp_ieee_inexact 0
		.amdhsa_exception_int_div_zero 0
	.end_amdhsa_kernel
	.section	.text._ZN2at6native12_GLOBAL__N_135GammaBetaBackwardCUDAKernelTemplateIddLj64ELj16ELj256ELb0ELb0ELb1EEEvllPKT_S5_PKT0_S8_PS3_S9_,"axG",@progbits,_ZN2at6native12_GLOBAL__N_135GammaBetaBackwardCUDAKernelTemplateIddLj64ELj16ELj256ELb0ELb0ELb1EEEvllPKT_S5_PKT0_S8_PS3_S9_,comdat
.Lfunc_end128:
	.size	_ZN2at6native12_GLOBAL__N_135GammaBetaBackwardCUDAKernelTemplateIddLj64ELj16ELj256ELb0ELb0ELb1EEEvllPKT_S5_PKT0_S8_PS3_S9_, .Lfunc_end128-_ZN2at6native12_GLOBAL__N_135GammaBetaBackwardCUDAKernelTemplateIddLj64ELj16ELj256ELb0ELb0ELb1EEEvllPKT_S5_PKT0_S8_PS3_S9_
                                        ; -- End function
	.section	.AMDGPU.csdata,"",@progbits
; Kernel info:
; codeLenInByte = 20492
; NumSgprs: 76
; NumVgprs: 128
; NumAgprs: 0
; TotalNumVgprs: 128
; ScratchSize: 576
; MemoryBound: 0
; FloatMode: 240
; IeeeMode: 1
; LDSByteSize: 0 bytes/workgroup (compile time only)
; SGPRBlocks: 9
; VGPRBlocks: 15
; NumSGPRsForWavesPerEU: 76
; NumVGPRsForWavesPerEU: 128
; AccumOffset: 128
; Occupancy: 4
; WaveLimiterHint : 0
; COMPUTE_PGM_RSRC2:SCRATCH_EN: 1
; COMPUTE_PGM_RSRC2:USER_SGPR: 6
; COMPUTE_PGM_RSRC2:TRAP_HANDLER: 0
; COMPUTE_PGM_RSRC2:TGID_X_EN: 1
; COMPUTE_PGM_RSRC2:TGID_Y_EN: 1
; COMPUTE_PGM_RSRC2:TGID_Z_EN: 0
; COMPUTE_PGM_RSRC2:TIDIG_COMP_CNT: 1
; COMPUTE_PGM_RSRC3_GFX90A:ACCUM_OFFSET: 31
; COMPUTE_PGM_RSRC3_GFX90A:TG_SPLIT: 0
	.section	.text._ZN2at6native12_GLOBAL__N_135GammaBetaBackwardCUDAKernelTemplateIddLj32ELj1ELj32ELb1ELb1ELb1EEEvllPKT_S5_PKT0_S8_PS3_S9_,"axG",@progbits,_ZN2at6native12_GLOBAL__N_135GammaBetaBackwardCUDAKernelTemplateIddLj32ELj1ELj32ELb1ELb1ELb1EEEvllPKT_S5_PKT0_S8_PS3_S9_,comdat
	.globl	_ZN2at6native12_GLOBAL__N_135GammaBetaBackwardCUDAKernelTemplateIddLj32ELj1ELj32ELb1ELb1ELb1EEEvllPKT_S5_PKT0_S8_PS3_S9_ ; -- Begin function _ZN2at6native12_GLOBAL__N_135GammaBetaBackwardCUDAKernelTemplateIddLj32ELj1ELj32ELb1ELb1ELb1EEEvllPKT_S5_PKT0_S8_PS3_S9_
	.p2align	8
	.type	_ZN2at6native12_GLOBAL__N_135GammaBetaBackwardCUDAKernelTemplateIddLj32ELj1ELj32ELb1ELb1ELb1EEEvllPKT_S5_PKT0_S8_PS3_S9_,@function
_ZN2at6native12_GLOBAL__N_135GammaBetaBackwardCUDAKernelTemplateIddLj32ELj1ELj32ELb1ELb1ELb1EEEvllPKT_S5_PKT0_S8_PS3_S9_: ; @_ZN2at6native12_GLOBAL__N_135GammaBetaBackwardCUDAKernelTemplateIddLj32ELj1ELj32ELb1ELb1ELb1EEEvllPKT_S5_PKT0_S8_PS3_S9_
; %bb.0:
	s_load_dwordx4 s[8:11], s[4:5], 0x0
	s_load_dwordx2 s[16:17], s[4:5], 0x30
	s_lshl_b32 s18, s7, 5
	s_mov_b32 s19, 0
	s_mov_b32 s2, s7
	s_waitcnt lgkmcnt(0)
	v_pk_mov_b32 v[2:3], s[8:9], s[8:9] op_sel:[0,1]
	v_cmp_ge_i64_e32 vcc, s[18:19], v[2:3]
	v_pk_mov_b32 v[4:5], 0, 0
	v_bfe_u32 v2, v0, 10, 10
	s_cbranch_vccnz .LBB129_7
; %bb.1:
	s_load_dword s0, s[4:5], 0x4c
	s_load_dword s3, s[4:5], 0x44
	s_load_dwordx4 s[12:15], s[4:5], 0x10
	s_load_dwordx2 s[22:23], s[4:5], 0x28
	v_and_b32_e32 v1, 0x3ff, v0
	s_waitcnt lgkmcnt(0)
	s_and_b32 s0, s0, 0xffff
	v_mad_u32_u24 v3, v2, s0, v1
	v_lshl_or_b32 v4, s6, 5, v1
	v_mbcnt_lo_u32_b32 v1, -1, 0
	v_mbcnt_hi_u32_b32 v1, -1, v1
	v_lshlrev_b32_e32 v7, 5, v2
	v_lshlrev_b32_e32 v1, 2, v1
	v_and_b32_e32 v6, 63, v3
	v_and_b32_e32 v3, 0x100, v1
	v_mov_b32_e32 v1, s19
	v_add_co_u32_e32 v10, vcc, s18, v7
	v_addc_co_u32_e32 v1, vcc, 0, v1, vcc
	v_cmp_gt_u32_e64 s[0:1], 32, v6
	v_add_co_u32_e32 v6, vcc, v10, v6
	v_addc_co_u32_e32 v7, vcc, 0, v1, vcc
	v_lshlrev_b64 v[8:9], 3, v[6:7]
	v_mov_b32_e32 v12, s23
	v_add_co_u32_e32 v8, vcc, s22, v8
	v_addc_co_u32_e32 v9, vcc, v12, v9, vcc
	v_mul_lo_u32 v14, s11, v10
	v_mul_lo_u32 v1, s10, v1
	v_mad_u64_u32 v[12:13], s[24:25], s10, v10, 0
	v_mov_b32_e32 v5, 0
	v_add3_u32 v13, v13, v1, v14
	s_lshl_b32 s20, s3, 5
	v_lshlrev_b64 v[12:13], 3, v[12:13]
	v_lshlrev_b64 v[4:5], 3, v[4:5]
	v_add_co_u32_e32 v10, vcc, v12, v4
	s_mul_i32 s3, s11, s20
	s_mul_hi_u32 s7, s10, s20
	s_mov_b32 s21, s19
	v_addc_co_u32_e32 v1, vcc, v13, v5, vcc
	s_add_i32 s25, s7, s3
	s_mul_i32 s24, s10, s20
	v_pk_mov_b32 v[12:13], 0, 0
	v_or_b32_e32 v11, 4, v3
	v_or_b32_e32 v28, 8, v3
	v_or_b32_e32 v29, 12, v3
	v_or_b32_e32 v30, 16, v3
	v_or_b32_e32 v31, 20, v3
	v_or_b32_e32 v32, 24, v3
	v_or_b32_e32 v33, 28, v3
	v_or_b32_e32 v34, 32, v3
	v_or_b32_e32 v35, 36, v3
	v_or_b32_e32 v36, 40, v3
	v_or_b32_e32 v37, 44, v3
	v_or_b32_e32 v38, 48, v3
	v_or_b32_e32 v39, 52, v3
	v_or_b32_e32 v40, 56, v3
	v_or_b32_e32 v41, 60, v3
	v_or_b32_e32 v42, 64, v3
	v_or_b32_e32 v43, 0x44, v3
	v_or_b32_e32 v44, 0x48, v3
	v_or_b32_e32 v45, 0x4c, v3
	v_or_b32_e32 v46, 0x50, v3
	v_or_b32_e32 v47, 0x54, v3
	v_or_b32_e32 v48, 0x58, v3
	v_or_b32_e32 v49, 0x5c, v3
	v_or_b32_e32 v50, 0x60, v3
	v_or_b32_e32 v51, 0x64, v3
	v_or_b32_e32 v52, 0x68, v3
	v_or_b32_e32 v53, 0x6c, v3
	v_or_b32_e32 v54, 0x70, v3
	v_or_b32_e32 v55, 0x74, v3
	v_or_b32_e32 v56, 0x78, v3
	v_or_b32_e32 v57, 0x7c, v3
	s_lshl_b64 s[22:23], s[20:21], 3
	s_lshl_b64 s[24:25], s[24:25], 3
	;; [unrolled: 1-line block ×3, first 2 shown]
	v_pk_mov_b32 v[4:5], v[12:13], v[12:13] op_sel:[0,1]
	s_branch .LBB129_4
.LBB129_2:                              ;   in Loop: Header=BB129_4 Depth=1
	s_or_b64 exec, exec, s[30:31]
.LBB129_3:                              ;   in Loop: Header=BB129_4 Depth=1
	s_or_b64 exec, exec, s[28:29]
	v_mov_b32_e32 v16, s13
	v_add_co_u32_e32 v18, vcc, s12, v10
	v_addc_co_u32_e32 v19, vcc, v16, v1, vcc
	v_mov_b32_e32 v21, s15
	v_add_co_u32_e32 v20, vcc, s14, v10
	v_addc_co_u32_e32 v21, vcc, v21, v1, vcc
	global_load_dwordx2 v[16:17], v[18:19], off
	global_load_dwordx2 v[22:23], v[20:21], off
	v_mov_b32_e32 v58, s27
	v_add_co_u32_e32 v24, vcc, s26, v18
	v_addc_co_u32_e32 v25, vcc, v19, v58, vcc
	v_add_co_u32_e32 v26, vcc, s26, v20
	v_addc_co_u32_e32 v27, vcc, v21, v58, vcc
	global_load_dwordx2 v[18:19], v[24:25], off
	global_load_dwordx2 v[20:21], v[26:27], off
	s_waitcnt vmcnt(4)
	ds_bpermute_b32 v60, v3, v14
	ds_bpermute_b32 v61, v3, v15
	v_add_co_u32_e32 v24, vcc, s26, v24
	v_addc_co_u32_e32 v25, vcc, v25, v58, vcc
	v_add_co_u32_e32 v26, vcc, s26, v26
	v_addc_co_u32_e32 v27, vcc, v27, v58, vcc
	s_add_u32 s18, s18, s20
	s_addc_u32 s19, s19, 0
	s_waitcnt vmcnt(2)
	v_mul_f64 v[16:17], v[16:17], v[22:23]
	global_load_dwordx2 v[22:23], v[24:25], off
	s_waitcnt lgkmcnt(0)
	v_fmac_f64_e32 v[4:5], v[16:17], v[60:61]
	global_load_dwordx2 v[16:17], v[26:27], off
	ds_bpermute_b32 v60, v11, v14
	ds_bpermute_b32 v61, v11, v15
	v_add_co_u32_e32 v24, vcc, s26, v24
	v_addc_co_u32_e32 v25, vcc, v25, v58, vcc
	v_add_co_u32_e32 v26, vcc, s26, v26
	v_addc_co_u32_e32 v27, vcc, v27, v58, vcc
	s_waitcnt vmcnt(2)
	v_mul_f64 v[18:19], v[18:19], v[20:21]
	global_load_dwordx2 v[20:21], v[24:25], off
	s_waitcnt lgkmcnt(0)
	v_fmac_f64_e32 v[4:5], v[18:19], v[60:61]
	global_load_dwordx2 v[18:19], v[26:27], off
	ds_bpermute_b32 v60, v28, v14
	ds_bpermute_b32 v61, v28, v15
	v_add_co_u32_e32 v24, vcc, s26, v24
	v_addc_co_u32_e32 v25, vcc, v25, v58, vcc
	v_add_co_u32_e32 v26, vcc, s26, v26
	v_addc_co_u32_e32 v27, vcc, v27, v58, vcc
	;; [unrolled: 12-line block ×24, first 2 shown]
	s_waitcnt vmcnt(2)
	v_mul_f64 v[16:17], v[22:23], v[16:17]
	s_waitcnt lgkmcnt(0)
	v_fmac_f64_e32 v[4:5], v[16:17], v[60:61]
	ds_bpermute_b32 v60, v51, v14
	ds_bpermute_b32 v61, v51, v15
	global_load_dwordx2 v[22:23], v[24:25], off
	global_load_dwordx2 v[16:17], v[26:27], off
	v_add_co_u32_e32 v24, vcc, s26, v24
	v_addc_co_u32_e32 v25, vcc, v25, v58, vcc
	v_add_co_u32_e32 v26, vcc, s26, v26
	v_addc_co_u32_e32 v27, vcc, v27, v58, vcc
	s_waitcnt vmcnt(2)
	v_mul_f64 v[18:19], v[20:21], v[18:19]
	global_load_dwordx2 v[20:21], v[24:25], off
	s_waitcnt lgkmcnt(0)
	v_fmac_f64_e32 v[4:5], v[18:19], v[60:61]
	global_load_dwordx2 v[18:19], v[26:27], off
	v_add_co_u32_e32 v24, vcc, s26, v24
	ds_bpermute_b32 v60, v52, v14
	ds_bpermute_b32 v61, v52, v15
	v_addc_co_u32_e32 v25, vcc, v25, v58, vcc
	v_add_co_u32_e32 v26, vcc, s26, v26
	v_addc_co_u32_e32 v27, vcc, v27, v58, vcc
	s_waitcnt vmcnt(2)
	v_mul_f64 v[16:17], v[22:23], v[16:17]
	v_add_co_u32_e32 v22, vcc, s26, v24
	v_addc_co_u32_e32 v23, vcc, v25, v58, vcc
	s_waitcnt lgkmcnt(0)
	v_fmac_f64_e32 v[4:5], v[16:17], v[60:61]
	ds_bpermute_b32 v60, v53, v14
	ds_bpermute_b32 v61, v53, v15
	v_add_co_u32_e32 v16, vcc, s26, v26
	v_addc_co_u32_e32 v17, vcc, v27, v58, vcc
	s_waitcnt vmcnt(0)
	v_mul_f64 v[18:19], v[20:21], v[18:19]
	v_add_co_u32_e32 v20, vcc, s26, v22
	v_addc_co_u32_e32 v21, vcc, v23, v58, vcc
	s_waitcnt lgkmcnt(0)
	v_fmac_f64_e32 v[4:5], v[18:19], v[60:61]
	v_add_co_u32_e32 v18, vcc, s26, v16
	v_addc_co_u32_e32 v19, vcc, v17, v58, vcc
	v_add_co_u32_e32 v60, vcc, s26, v20
	v_addc_co_u32_e32 v61, vcc, v21, v58, vcc
	;; [unrolled: 2-line block ×3, first 2 shown]
	global_load_dwordx2 v[24:25], v[24:25], off
	s_nop 0
	global_load_dwordx2 v[26:27], v[26:27], off
	s_nop 0
	;; [unrolled: 2-line block ×7, first 2 shown]
	global_load_dwordx2 v[60:61], v[62:63], off
	v_add_co_u32_e32 v8, vcc, s22, v8
	s_waitcnt vmcnt(6)
	v_mul_f64 v[24:25], v[24:25], v[26:27]
	ds_bpermute_b32 v26, v54, v14
	ds_bpermute_b32 v27, v54, v15
	s_waitcnt vmcnt(4)
	v_mul_f64 v[16:17], v[22:23], v[16:17]
	ds_bpermute_b32 v22, v56, v14
	ds_bpermute_b32 v23, v56, v15
	s_waitcnt lgkmcnt(2)
	v_fmac_f64_e32 v[4:5], v[24:25], v[26:27]
	ds_bpermute_b32 v24, v55, v14
	ds_bpermute_b32 v25, v55, v15
	;; [unrolled: 1-line block ×4, first 2 shown]
	s_waitcnt lgkmcnt(2)
	v_fmac_f64_e32 v[4:5], v[16:17], v[24:25]
	s_waitcnt vmcnt(2)
	v_mul_f64 v[16:17], v[20:21], v[18:19]
	v_fmac_f64_e32 v[4:5], v[16:17], v[22:23]
	s_waitcnt vmcnt(0)
	v_mul_f64 v[16:17], v[58:59], v[60:61]
	s_waitcnt lgkmcnt(0)
	v_fmac_f64_e32 v[4:5], v[16:17], v[14:15]
	v_mov_b32_e32 v14, s23
	v_addc_co_u32_e32 v9, vcc, v9, v14, vcc
	v_mov_b32_e32 v14, s21
	v_add_co_u32_e32 v6, vcc, s20, v6
	v_addc_co_u32_e32 v7, vcc, v7, v14, vcc
	v_mov_b32_e32 v14, s25
	v_add_co_u32_e32 v10, vcc, s24, v10
	v_addc_co_u32_e32 v1, vcc, v1, v14, vcc
	v_pk_mov_b32 v[14:15], s[8:9], s[8:9] op_sel:[0,1]
	v_cmp_lt_i64_e32 vcc, s[18:19], v[14:15]
	s_cbranch_vccz .LBB129_7
.LBB129_4:                              ; =>This Inner Loop Header: Depth=1
	v_pk_mov_b32 v[14:15], v[12:13], v[12:13] op_sel:[0,1]
	s_and_saveexec_b64 s[28:29], s[0:1]
	s_cbranch_execz .LBB129_3
; %bb.5:                                ;   in Loop: Header=BB129_4 Depth=1
	v_cmp_gt_i64_e32 vcc, s[8:9], v[6:7]
	v_pk_mov_b32 v[14:15], 0, 0
	s_and_saveexec_b64 s[30:31], vcc
	s_cbranch_execz .LBB129_2
; %bb.6:                                ;   in Loop: Header=BB129_4 Depth=1
	global_load_dwordx2 v[14:15], v[8:9], off
	s_branch .LBB129_2
.LBB129_7:
	s_cmp_eq_u64 s[16:17], 0
	s_cbranch_scc1 .LBB129_9
; %bb.8:
	s_load_dword s0, s[4:5], 0x4c
	v_mov_b32_e32 v3, 0
	v_mov_b32_e32 v1, s2
	s_mov_b32 s7, 0
	v_and_b32_e32 v0, 0x3ff, v0
	s_waitcnt lgkmcnt(0)
	s_lshr_b32 s0, s0, 16
	v_mad_u64_u32 v[2:3], s[0:1], s0, v1, v[2:3]
	v_mul_lo_u32 v1, v3, s10
	v_mul_lo_u32 v6, v2, s11
	v_mad_u64_u32 v[2:3], s[0:1], v2, s10, 0
	s_lshl_b64 s[0:1], s[6:7], 8
	v_add3_u32 v3, v3, v6, v1
	s_add_u32 s0, s0, s16
	v_lshlrev_b64 v[2:3], 3, v[2:3]
	s_addc_u32 s1, s1, s17
	v_mov_b32_e32 v1, s1
	v_add_co_u32_e32 v2, vcc, s0, v2
	v_addc_co_u32_e32 v1, vcc, v1, v3, vcc
	v_lshlrev_b32_e32 v0, 3, v0
	v_add_co_u32_e32 v0, vcc, v2, v0
	v_addc_co_u32_e32 v1, vcc, 0, v1, vcc
	global_store_dwordx2 v[0:1], v[4:5], off
.LBB129_9:
	s_endpgm
	.section	.rodata,"a",@progbits
	.p2align	6, 0x0
	.amdhsa_kernel _ZN2at6native12_GLOBAL__N_135GammaBetaBackwardCUDAKernelTemplateIddLj32ELj1ELj32ELb1ELb1ELb1EEEvllPKT_S5_PKT0_S8_PS3_S9_
		.amdhsa_group_segment_fixed_size 0
		.amdhsa_private_segment_fixed_size 0
		.amdhsa_kernarg_size 320
		.amdhsa_user_sgpr_count 6
		.amdhsa_user_sgpr_private_segment_buffer 1
		.amdhsa_user_sgpr_dispatch_ptr 0
		.amdhsa_user_sgpr_queue_ptr 0
		.amdhsa_user_sgpr_kernarg_segment_ptr 1
		.amdhsa_user_sgpr_dispatch_id 0
		.amdhsa_user_sgpr_flat_scratch_init 0
		.amdhsa_user_sgpr_kernarg_preload_length 0
		.amdhsa_user_sgpr_kernarg_preload_offset 0
		.amdhsa_user_sgpr_private_segment_size 0
		.amdhsa_uses_dynamic_stack 0
		.amdhsa_system_sgpr_private_segment_wavefront_offset 0
		.amdhsa_system_sgpr_workgroup_id_x 1
		.amdhsa_system_sgpr_workgroup_id_y 1
		.amdhsa_system_sgpr_workgroup_id_z 0
		.amdhsa_system_sgpr_workgroup_info 0
		.amdhsa_system_vgpr_workitem_id 1
		.amdhsa_next_free_vgpr 64
		.amdhsa_next_free_sgpr 32
		.amdhsa_accum_offset 64
		.amdhsa_reserve_vcc 1
		.amdhsa_reserve_flat_scratch 0
		.amdhsa_float_round_mode_32 0
		.amdhsa_float_round_mode_16_64 0
		.amdhsa_float_denorm_mode_32 3
		.amdhsa_float_denorm_mode_16_64 3
		.amdhsa_dx10_clamp 1
		.amdhsa_ieee_mode 1
		.amdhsa_fp16_overflow 0
		.amdhsa_tg_split 0
		.amdhsa_exception_fp_ieee_invalid_op 0
		.amdhsa_exception_fp_denorm_src 0
		.amdhsa_exception_fp_ieee_div_zero 0
		.amdhsa_exception_fp_ieee_overflow 0
		.amdhsa_exception_fp_ieee_underflow 0
		.amdhsa_exception_fp_ieee_inexact 0
		.amdhsa_exception_int_div_zero 0
	.end_amdhsa_kernel
	.section	.text._ZN2at6native12_GLOBAL__N_135GammaBetaBackwardCUDAKernelTemplateIddLj32ELj1ELj32ELb1ELb1ELb1EEEvllPKT_S5_PKT0_S8_PS3_S9_,"axG",@progbits,_ZN2at6native12_GLOBAL__N_135GammaBetaBackwardCUDAKernelTemplateIddLj32ELj1ELj32ELb1ELb1ELb1EEEvllPKT_S5_PKT0_S8_PS3_S9_,comdat
.Lfunc_end129:
	.size	_ZN2at6native12_GLOBAL__N_135GammaBetaBackwardCUDAKernelTemplateIddLj32ELj1ELj32ELb1ELb1ELb1EEEvllPKT_S5_PKT0_S8_PS3_S9_, .Lfunc_end129-_ZN2at6native12_GLOBAL__N_135GammaBetaBackwardCUDAKernelTemplateIddLj32ELj1ELj32ELb1ELb1ELb1EEEvllPKT_S5_PKT0_S8_PS3_S9_
                                        ; -- End function
	.section	.AMDGPU.csdata,"",@progbits
; Kernel info:
; codeLenInByte = 2988
; NumSgprs: 36
; NumVgprs: 64
; NumAgprs: 0
; TotalNumVgprs: 64
; ScratchSize: 0
; MemoryBound: 0
; FloatMode: 240
; IeeeMode: 1
; LDSByteSize: 0 bytes/workgroup (compile time only)
; SGPRBlocks: 4
; VGPRBlocks: 7
; NumSGPRsForWavesPerEU: 36
; NumVGPRsForWavesPerEU: 64
; AccumOffset: 64
; Occupancy: 8
; WaveLimiterHint : 0
; COMPUTE_PGM_RSRC2:SCRATCH_EN: 0
; COMPUTE_PGM_RSRC2:USER_SGPR: 6
; COMPUTE_PGM_RSRC2:TRAP_HANDLER: 0
; COMPUTE_PGM_RSRC2:TGID_X_EN: 1
; COMPUTE_PGM_RSRC2:TGID_Y_EN: 1
; COMPUTE_PGM_RSRC2:TGID_Z_EN: 0
; COMPUTE_PGM_RSRC2:TIDIG_COMP_CNT: 1
; COMPUTE_PGM_RSRC3_GFX90A:ACCUM_OFFSET: 15
; COMPUTE_PGM_RSRC3_GFX90A:TG_SPLIT: 0
	.section	.text._ZN2at6native12_GLOBAL__N_135GammaBetaBackwardCUDAKernelTemplateIddLj32ELj1ELj32ELb1ELb0ELb1EEEvllPKT_S5_PKT0_S8_PS3_S9_,"axG",@progbits,_ZN2at6native12_GLOBAL__N_135GammaBetaBackwardCUDAKernelTemplateIddLj32ELj1ELj32ELb1ELb0ELb1EEEvllPKT_S5_PKT0_S8_PS3_S9_,comdat
	.globl	_ZN2at6native12_GLOBAL__N_135GammaBetaBackwardCUDAKernelTemplateIddLj32ELj1ELj32ELb1ELb0ELb1EEEvllPKT_S5_PKT0_S8_PS3_S9_ ; -- Begin function _ZN2at6native12_GLOBAL__N_135GammaBetaBackwardCUDAKernelTemplateIddLj32ELj1ELj32ELb1ELb0ELb1EEEvllPKT_S5_PKT0_S8_PS3_S9_
	.p2align	8
	.type	_ZN2at6native12_GLOBAL__N_135GammaBetaBackwardCUDAKernelTemplateIddLj32ELj1ELj32ELb1ELb0ELb1EEEvllPKT_S5_PKT0_S8_PS3_S9_,@function
_ZN2at6native12_GLOBAL__N_135GammaBetaBackwardCUDAKernelTemplateIddLj32ELj1ELj32ELb1ELb0ELb1EEEvllPKT_S5_PKT0_S8_PS3_S9_: ; @_ZN2at6native12_GLOBAL__N_135GammaBetaBackwardCUDAKernelTemplateIddLj32ELj1ELj32ELb1ELb0ELb1EEEvllPKT_S5_PKT0_S8_PS3_S9_
; %bb.0:
	s_load_dwordx8 s[12:19], s[4:5], 0x0
	s_load_dwordx2 s[20:21], s[4:5], 0x28
	s_mov_b32 s8, s7
	s_lshl_b32 s7, s6, 5
	v_mov_b32_e32 v132, v0
	s_or_b32 s22, s7, 31
	s_mov_b32 s23, 0
	s_waitcnt lgkmcnt(0)
	v_pk_mov_b32 v[0:1], s[14:15], s[14:15] op_sel:[0,1]
	v_cmp_ge_i64_e32 vcc, s[22:23], v[0:1]
	s_lshl_b32 s22, s8, 5
	v_pk_mov_b32 v[0:1], s[12:13], s[12:13] op_sel:[0,1]
	v_cmp_lt_i64_e64 s[0:1], s[22:23], v[0:1]
	v_cndmask_b32_e64 v0, 0, 1, s[0:1]
	v_cmp_ne_u32_e64 s[0:1], 1, v0
	s_cbranch_vccz .LBB130_145
; %bb.1:
	s_and_b64 vcc, exec, s[0:1]
	v_pk_mov_b32 v[134:135], 0, 0
	s_cbranch_vccnz .LBB130_147
; %bb.2:
	v_bfe_u32 v0, v132, 10, 10
	v_lshlrev_b32_e32 v2, 5, v0
	v_accvgpr_write_b32 a1, v0
	v_mov_b32_e32 v1, s23
	v_add_co_u32_e32 v0, vcc, s22, v2
	v_addc_co_u32_e32 v121, vcc, 0, v1, vcc
	v_add_co_u32_e32 v1, vcc, 31, v0
	v_addc_co_u32_e32 v3, vcc, 0, v121, vcc
	v_mul_lo_u32 v6, s15, v1
	v_mul_lo_u32 v3, s14, v3
	v_mad_u64_u32 v[4:5], s[2:3], s14, v1, 0
	v_add3_u32 v5, v5, v3, v6
	v_lshlrev_b64 v[6:7], 3, v[4:5]
	v_mov_b32_e32 v125, s17
	v_add_co_u32_e32 v4, vcc, s16, v6
	v_addc_co_u32_e32 v1, vcc, v125, v7, vcc
	v_mov_b32_e32 v127, s19
	v_add_co_u32_e32 v6, vcc, s18, v6
	v_addc_co_u32_e32 v3, vcc, v127, v7, vcc
	v_add_co_u32_e32 v5, vcc, 30, v0
	v_addc_co_u32_e32 v7, vcc, 0, v121, vcc
	v_mul_lo_u32 v10, s15, v5
	v_mul_lo_u32 v7, s14, v7
	v_mad_u64_u32 v[8:9], s[2:3], s14, v5, 0
	v_add3_u32 v9, v9, v7, v10
	v_lshlrev_b64 v[10:11], 3, v[8:9]
	v_add_co_u32_e32 v8, vcc, s16, v10
	v_addc_co_u32_e32 v5, vcc, v125, v11, vcc
	v_add_co_u32_e32 v10, vcc, s18, v10
	v_addc_co_u32_e32 v7, vcc, v127, v11, vcc
	v_add_co_u32_e32 v9, vcc, 29, v0
	v_addc_co_u32_e32 v11, vcc, 0, v121, vcc
	v_mul_lo_u32 v14, s15, v9
	v_mul_lo_u32 v11, s14, v11
	v_mad_u64_u32 v[12:13], s[2:3], s14, v9, 0
	v_add3_u32 v13, v13, v11, v14
	v_lshlrev_b64 v[14:15], 3, v[12:13]
	v_add_co_u32_e32 v12, vcc, s16, v14
	v_addc_co_u32_e32 v9, vcc, v125, v15, vcc
	;; [unrolled: 11-line block ×29, first 2 shown]
	v_add_co_u32_e32 v122, vcc, s18, v122
	v_pk_mov_b32 v[128:129], s[14:15], s[14:15] op_sel:[0,1]
	v_addc_co_u32_e32 v119, vcc, v127, v123, vcc
	v_mad_u64_u32 v[128:129], s[2:3], s14, v0, v[128:129]
	v_mul_lo_u32 v121, s14, v121
	v_mul_lo_u32 v123, s15, v0
	v_add3_u32 v129, v123, v129, v121
	v_lshlrev_b64 v[128:129], 3, v[128:129]
	v_mad_u64_u32 v[130:131], s[2:3], s14, v0, 0
	v_add_co_u32_e32 v124, vcc, s16, v128
	v_add3_u32 v131, v131, v121, v123
	v_addc_co_u32_e32 v121, vcc, v125, v129, vcc
	s_load_dword s10, s[4:5], 0x44
	v_add_co_u32_e32 v126, vcc, s18, v128
	v_addc_co_u32_e32 v123, vcc, v127, v129, vcc
	v_lshlrev_b64 v[130:131], 3, v[130:131]
	v_add_co_u32_e32 v128, vcc, s16, v130
	v_addc_co_u32_e32 v125, vcc, v125, v131, vcc
	s_add_u32 s24, s4, 64
	v_add_co_u32_e32 v130, vcc, s18, v130
	s_addc_u32 s25, s5, 0
	s_waitcnt lgkmcnt(0)
	s_lshl_b32 s33, s10, 5
	v_mbcnt_lo_u32_b32 v0, -1, 0
	v_addc_co_u32_e32 v127, vcc, v127, v131, vcc
	v_and_b32_e32 v131, 0x3ff, v132
	s_mul_i32 s10, s15, s33
	s_mul_hi_u32 s11, s14, s33
	v_mbcnt_hi_u32_b32 v0, -1, v0
	v_accvgpr_write_b32 a0, v132
	v_add_u32_e32 v132, s7, v131
	v_mov_b32_e32 v133, 0
	s_add_i32 s11, s11, s10
	s_mul_i32 s10, s14, s33
	v_lshlrev_b32_e32 v0, 2, v0
	s_mov_b32 s9, 0
	v_cmp_gt_i64_e64 s[2:3], s[14:15], v[132:133]
	s_mov_b64 s[26:27], 31
	s_lshl_b64 s[28:29], s[10:11], 3
	v_and_b32_e32 v0, 0x100, v0
	s_mov_b64 s[30:31], s[22:23]
	v_mov_b32_e32 v129, v133
	v_accvgpr_write_b32 a3, v133
	v_lshlrev_b64 v[136:137], 3, v[132:133]
	v_pk_mov_b32 v[138:139], 0, 0
.LBB130_3:                              ; =>This Inner Loop Header: Depth=1
	s_add_u32 s10, s22, s26
	s_addc_u32 s11, 0, s27
	v_pk_mov_b32 v[132:133], s[12:13], s[12:13] op_sel:[0,1]
	v_cmp_ge_i64_e32 vcc, s[10:11], v[132:133]
	v_mov_b32_e32 v132, s23
	v_add_co_u32_e64 v140, s[10:11], s22, v2
	v_addc_co_u32_e64 v141, s[10:11], v132, v129, s[10:11]
	s_cbranch_vccz .LBB130_73
; %bb.4:                                ;   in Loop: Header=BB130_3 Depth=1
	s_load_dword s10, s[24:25], 0xc
	v_accvgpr_read_b32 v132, a1
	v_pk_mov_b32 v[134:135], 0, 0
	v_pk_mov_b32 v[142:143], v[134:135], v[134:135] op_sel:[0,1]
	s_waitcnt lgkmcnt(0)
	s_and_b32 s10, s10, 0xffff
	v_mad_u32_u24 v132, v132, s10, v131
	v_and_b32_e32 v132, 63, v132
	v_cmp_gt_u32_e32 vcc, 32, v132
	s_and_saveexec_b64 s[10:11], vcc
	s_cbranch_execz .LBB130_8
; %bb.5:                                ;   in Loop: Header=BB130_3 Depth=1
	v_add_co_u32_e32 v132, vcc, v140, v132
	v_addc_co_u32_e32 v133, vcc, 0, v141, vcc
	v_cmp_gt_i64_e32 vcc, s[12:13], v[132:133]
	v_pk_mov_b32 v[142:143], 0, 0
	s_and_saveexec_b64 s[34:35], vcc
	s_cbranch_execz .LBB130_7
; %bb.6:                                ;   in Loop: Header=BB130_3 Depth=1
	v_lshlrev_b64 v[132:133], 3, v[132:133]
	v_mov_b32_e32 v142, s21
	v_add_co_u32_e32 v132, vcc, s20, v132
	v_addc_co_u32_e32 v133, vcc, v142, v133, vcc
	global_load_dwordx2 v[142:143], v[132:133], off
.LBB130_7:                              ;   in Loop: Header=BB130_3 Depth=1
	s_or_b64 exec, exec, s[34:35]
.LBB130_8:                              ;   in Loop: Header=BB130_3 Depth=1
	s_or_b64 exec, exec, s[10:11]
	v_cmp_gt_i64_e32 vcc, s[12:13], v[140:141]
	s_and_b64 s[34:35], s[2:3], vcc
	v_pk_mov_b32 v[160:161], v[134:135], v[134:135] op_sel:[0,1]
	s_and_saveexec_b64 s[10:11], s[34:35]
	s_cbranch_execz .LBB130_10
; %bb.9:                                ;   in Loop: Header=BB130_3 Depth=1
	v_add_co_u32_e32 v132, vcc, v128, v136
	v_addc_co_u32_e32 v133, vcc, v125, v137, vcc
	global_load_dwordx2 v[134:135], v[132:133], off
	v_add_co_u32_e32 v132, vcc, v130, v136
	v_addc_co_u32_e32 v133, vcc, v127, v137, vcc
	global_load_dwordx2 v[160:161], v[132:133], off
.LBB130_10:                             ;   in Loop: Header=BB130_3 Depth=1
	s_or_b64 exec, exec, s[10:11]
	v_add_co_u32_e32 v132, vcc, 1, v140
	v_addc_co_u32_e32 v133, vcc, 0, v141, vcc
	v_pk_mov_b32 v[144:145], 0, 0
	v_cmp_gt_i64_e32 vcc, s[12:13], v[132:133]
	v_accvgpr_write_b32 a6, v144
	s_and_b64 s[34:35], s[2:3], vcc
	v_pk_mov_b32 v[158:159], v[144:145], v[144:145] op_sel:[0,1]
	v_accvgpr_write_b32 a7, v145
	s_and_saveexec_b64 s[10:11], s[34:35]
	s_cbranch_execz .LBB130_12
; %bb.11:                               ;   in Loop: Header=BB130_3 Depth=1
	v_add_co_u32_e32 v132, vcc, v124, v136
	v_addc_co_u32_e32 v133, vcc, v121, v137, vcc
	global_load_dwordx2 v[158:159], v[132:133], off
	v_add_co_u32_e32 v132, vcc, v126, v136
	v_addc_co_u32_e32 v133, vcc, v123, v137, vcc
	global_load_dwordx2 a[6:7], v[132:133], off
.LBB130_12:                             ;   in Loop: Header=BB130_3 Depth=1
	s_or_b64 exec, exec, s[10:11]
	v_add_co_u32_e32 v132, vcc, 2, v140
	v_addc_co_u32_e32 v133, vcc, 0, v141, vcc
	v_cmp_gt_i64_e32 vcc, s[12:13], v[132:133]
	s_and_b64 s[34:35], s[2:3], vcc
	v_pk_mov_b32 v[164:165], v[144:145], v[144:145] op_sel:[0,1]
	s_and_saveexec_b64 s[10:11], s[34:35]
	s_cbranch_execz .LBB130_14
; %bb.13:                               ;   in Loop: Header=BB130_3 Depth=1
	v_add_co_u32_e32 v132, vcc, v120, v136
	v_addc_co_u32_e32 v133, vcc, v117, v137, vcc
	global_load_dwordx2 v[144:145], v[132:133], off
	v_add_co_u32_e32 v132, vcc, v122, v136
	v_addc_co_u32_e32 v133, vcc, v119, v137, vcc
	global_load_dwordx2 v[164:165], v[132:133], off
.LBB130_14:                             ;   in Loop: Header=BB130_3 Depth=1
	s_or_b64 exec, exec, s[10:11]
	v_add_co_u32_e32 v132, vcc, 3, v140
	v_addc_co_u32_e32 v133, vcc, 0, v141, vcc
	v_pk_mov_b32 v[152:153], 0, 0
	v_cmp_gt_i64_e32 vcc, s[12:13], v[132:133]
	v_accvgpr_write_b32 a12, v152
	s_and_b64 s[34:35], s[2:3], vcc
	v_pk_mov_b32 v[166:167], v[152:153], v[152:153] op_sel:[0,1]
	v_accvgpr_write_b32 a13, v153
	s_and_saveexec_b64 s[10:11], s[34:35]
	s_cbranch_execz .LBB130_16
; %bb.15:                               ;   in Loop: Header=BB130_3 Depth=1
	v_add_co_u32_e32 v132, vcc, v116, v136
	v_addc_co_u32_e32 v133, vcc, v113, v137, vcc
	global_load_dwordx2 v[166:167], v[132:133], off
	v_add_co_u32_e32 v132, vcc, v118, v136
	v_addc_co_u32_e32 v133, vcc, v115, v137, vcc
	global_load_dwordx2 a[12:13], v[132:133], off
.LBB130_16:                             ;   in Loop: Header=BB130_3 Depth=1
	s_or_b64 exec, exec, s[10:11]
	v_add_co_u32_e32 v132, vcc, 4, v140
	v_addc_co_u32_e32 v133, vcc, 0, v141, vcc
	v_cmp_gt_i64_e32 vcc, s[12:13], v[132:133]
	v_accvgpr_write_b32 a14, v152
	s_and_b64 s[34:35], s[2:3], vcc
	v_accvgpr_write_b32 a15, v153
	s_and_saveexec_b64 s[10:11], s[34:35]
	s_cbranch_execz .LBB130_18
; %bb.17:                               ;   in Loop: Header=BB130_3 Depth=1
	v_add_co_u32_e32 v132, vcc, v112, v136
	v_addc_co_u32_e32 v133, vcc, v109, v137, vcc
	global_load_dwordx2 v[152:153], v[132:133], off
	v_add_co_u32_e32 v132, vcc, v114, v136
	v_addc_co_u32_e32 v133, vcc, v111, v137, vcc
	global_load_dwordx2 a[14:15], v[132:133], off
.LBB130_18:                             ;   in Loop: Header=BB130_3 Depth=1
	s_or_b64 exec, exec, s[10:11]
	v_add_co_u32_e32 v132, vcc, 5, v140
	v_addc_co_u32_e32 v133, vcc, 0, v141, vcc
	v_pk_mov_b32 v[162:163], 0, 0
	v_cmp_gt_i64_e32 vcc, s[12:13], v[132:133]
	v_accvgpr_write_b32 a16, v162
	s_and_b64 s[34:35], s[2:3], vcc
	v_accvgpr_write_b32 a17, v163
	v_pk_mov_b32 v[168:169], v[162:163], v[162:163] op_sel:[0,1]
	s_and_saveexec_b64 s[10:11], s[34:35]
	s_cbranch_execz .LBB130_20
; %bb.19:                               ;   in Loop: Header=BB130_3 Depth=1
	v_add_co_u32_e32 v132, vcc, v108, v136
	v_addc_co_u32_e32 v133, vcc, v105, v137, vcc
	global_load_dwordx2 a[16:17], v[132:133], off
	v_add_co_u32_e32 v132, vcc, v110, v136
	v_addc_co_u32_e32 v133, vcc, v107, v137, vcc
	global_load_dwordx2 v[168:169], v[132:133], off
.LBB130_20:                             ;   in Loop: Header=BB130_3 Depth=1
	s_or_b64 exec, exec, s[10:11]
	v_add_co_u32_e32 v132, vcc, 6, v140
	v_addc_co_u32_e32 v133, vcc, 0, v141, vcc
	v_cmp_gt_i64_e32 vcc, s[12:13], v[132:133]
	s_and_b64 s[34:35], s[2:3], vcc
	v_pk_mov_b32 v[172:173], v[162:163], v[162:163] op_sel:[0,1]
	s_and_saveexec_b64 s[10:11], s[34:35]
	s_cbranch_execz .LBB130_22
; %bb.21:                               ;   in Loop: Header=BB130_3 Depth=1
	v_add_co_u32_e32 v132, vcc, v104, v136
	v_addc_co_u32_e32 v133, vcc, v101, v137, vcc
	global_load_dwordx2 v[162:163], v[132:133], off
	v_add_co_u32_e32 v132, vcc, v106, v136
	v_addc_co_u32_e32 v133, vcc, v103, v137, vcc
	global_load_dwordx2 v[172:173], v[132:133], off
.LBB130_22:                             ;   in Loop: Header=BB130_3 Depth=1
	s_or_b64 exec, exec, s[10:11]
	v_add_co_u32_e32 v132, vcc, 7, v140
	v_addc_co_u32_e32 v133, vcc, 0, v141, vcc
	v_cmp_gt_i64_e32 vcc, s[12:13], v[132:133]
	v_pk_mov_b32 v[170:171], 0, 0
	s_and_b64 s[34:35], s[2:3], vcc
	v_pk_mov_b32 v[174:175], v[170:171], v[170:171] op_sel:[0,1]
	v_pk_mov_b32 v[176:177], v[170:171], v[170:171] op_sel:[0,1]
	s_and_saveexec_b64 s[10:11], s[34:35]
	s_cbranch_execz .LBB130_24
; %bb.23:                               ;   in Loop: Header=BB130_3 Depth=1
	v_add_co_u32_e32 v132, vcc, v100, v136
	v_addc_co_u32_e32 v133, vcc, v97, v137, vcc
	global_load_dwordx2 v[174:175], v[132:133], off
	v_add_co_u32_e32 v132, vcc, v102, v136
	v_addc_co_u32_e32 v133, vcc, v99, v137, vcc
	global_load_dwordx2 v[176:177], v[132:133], off
.LBB130_24:                             ;   in Loop: Header=BB130_3 Depth=1
	s_or_b64 exec, exec, s[10:11]
	v_add_co_u32_e32 v132, vcc, 8, v140
	v_addc_co_u32_e32 v133, vcc, 0, v141, vcc
	v_cmp_gt_i64_e32 vcc, s[12:13], v[132:133]
	s_and_b64 s[34:35], s[2:3], vcc
	v_pk_mov_b32 v[180:181], v[170:171], v[170:171] op_sel:[0,1]
	s_and_saveexec_b64 s[10:11], s[34:35]
	s_cbranch_execz .LBB130_26
; %bb.25:                               ;   in Loop: Header=BB130_3 Depth=1
	v_add_co_u32_e32 v132, vcc, v96, v136
	v_addc_co_u32_e32 v133, vcc, v93, v137, vcc
	global_load_dwordx2 v[170:171], v[132:133], off
	v_add_co_u32_e32 v132, vcc, v98, v136
	v_addc_co_u32_e32 v133, vcc, v95, v137, vcc
	global_load_dwordx2 v[180:181], v[132:133], off
.LBB130_26:                             ;   in Loop: Header=BB130_3 Depth=1
	s_or_b64 exec, exec, s[10:11]
	v_add_co_u32_e32 v132, vcc, 9, v140
	v_addc_co_u32_e32 v133, vcc, 0, v141, vcc
	v_cmp_gt_i64_e32 vcc, s[12:13], v[132:133]
	v_pk_mov_b32 v[178:179], 0, 0
	s_and_b64 s[34:35], s[2:3], vcc
	v_pk_mov_b32 v[182:183], v[178:179], v[178:179] op_sel:[0,1]
	;; [unrolled: 34-line block ×12, first 2 shown]
	v_pk_mov_b32 v[154:155], v[148:149], v[148:149] op_sel:[0,1]
	s_and_saveexec_b64 s[10:11], s[34:35]
	s_cbranch_execz .LBB130_68
; %bb.67:                               ;   in Loop: Header=BB130_3 Depth=1
	v_add_co_u32_e32 v150, vcc, v12, v136
	v_addc_co_u32_e32 v151, vcc, v9, v137, vcc
	v_add_co_u32_e32 v154, vcc, v14, v136
	v_addc_co_u32_e32 v155, vcc, v11, v137, vcc
	global_load_dwordx2 v[150:151], v[150:151], off
	s_nop 0
	global_load_dwordx2 v[154:155], v[154:155], off
.LBB130_68:                             ;   in Loop: Header=BB130_3 Depth=1
	s_or_b64 exec, exec, s[10:11]
	v_add_co_u32_e32 v156, vcc, 30, v140
	v_addc_co_u32_e32 v157, vcc, 0, v141, vcc
	v_cmp_gt_i64_e32 vcc, s[12:13], v[156:157]
	s_and_b64 s[34:35], s[2:3], vcc
	v_pk_mov_b32 v[156:157], v[148:149], v[148:149] op_sel:[0,1]
	s_and_saveexec_b64 s[10:11], s[34:35]
	s_cbranch_execz .LBB130_70
; %bb.69:                               ;   in Loop: Header=BB130_3 Depth=1
	v_add_co_u32_e32 v148, vcc, v8, v136
	v_addc_co_u32_e32 v149, vcc, v5, v137, vcc
	v_add_co_u32_e32 v156, vcc, v10, v136
	v_addc_co_u32_e32 v157, vcc, v7, v137, vcc
	global_load_dwordx2 v[148:149], v[148:149], off
	s_nop 0
	global_load_dwordx2 v[156:157], v[156:157], off
.LBB130_70:                             ;   in Loop: Header=BB130_3 Depth=1
	s_or_b64 exec, exec, s[10:11]
	s_waitcnt vmcnt(0)
	v_accvgpr_write_b32 a8, v164
	v_accvgpr_write_b32 a9, v165
	v_add_co_u32_e32 v164, vcc, 31, v140
	v_addc_co_u32_e32 v165, vcc, 0, v141, vcc
	v_accvgpr_write_b32 a10, v166
	v_accvgpr_write_b32 a4, v158
	v_cmp_gt_i64_e32 vcc, s[12:13], v[164:165]
	v_accvgpr_write_b32 a11, v167
	v_accvgpr_write_b32 a5, v159
	s_and_b64 s[34:35], s[2:3], vcc
	v_pk_mov_b32 v[164:165], 0, 0
	s_and_saveexec_b64 s[10:11], s[34:35]
	s_cbranch_execz .LBB130_72
; %bb.71:                               ;   in Loop: Header=BB130_3 Depth=1
	v_add_co_u32_e32 v164, vcc, v4, v136
	v_addc_co_u32_e32 v165, vcc, v1, v137, vcc
	v_add_co_u32_e32 v158, vcc, v6, v136
	v_addc_co_u32_e32 v159, vcc, v3, v137, vcc
	global_load_dwordx2 v[164:165], v[164:165], off
	s_nop 0
	global_load_dwordx2 v[158:159], v[158:159], off
	s_waitcnt vmcnt(0)
	v_mul_f64 v[164:165], v[164:165], v[158:159]
.LBB130_72:                             ;   in Loop: Header=BB130_3 Depth=1
	s_or_b64 exec, exec, s[10:11]
	ds_bpermute_b32 v158, v0, v142
	ds_bpermute_b32 v159, v0, v143
	v_mul_f64 v[134:135], v[134:135], v[160:161]
	v_accvgpr_read_b32 v161, a5
	v_accvgpr_read_b32 v167, a7
	;; [unrolled: 1-line block ×3, first 2 shown]
	s_waitcnt lgkmcnt(0)
	v_fma_f64 v[134:135], v[134:135], v[158:159], v[138:139]
	ds_bpermute_b32 v158, v0, v142 offset:4
	ds_bpermute_b32 v159, v0, v143 offset:4
	v_accvgpr_read_b32 v166, a6
	v_mul_f64 v[160:161], v[160:161], v[166:167]
	v_mul_f64 v[132:133], v[254:255], v[132:133]
	s_waitcnt lgkmcnt(0)
	v_fmac_f64_e32 v[134:135], v[160:161], v[158:159]
	ds_bpermute_b32 v158, v0, v142 offset:8
	ds_bpermute_b32 v159, v0, v143 offset:8
	v_accvgpr_read_b32 v161, a9
	v_accvgpr_read_b32 v160, a8
	v_mul_f64 v[144:145], v[144:145], v[160:161]
	v_accvgpr_read_b32 v161, a13
	s_waitcnt lgkmcnt(0)
	v_fmac_f64_e32 v[134:135], v[144:145], v[158:159]
	ds_bpermute_b32 v144, v0, v142 offset:12
	ds_bpermute_b32 v145, v0, v143 offset:12
	v_accvgpr_read_b32 v159, a11
	v_accvgpr_read_b32 v158, a10
	;; [unrolled: 1-line block ×3, first 2 shown]
	v_mul_f64 v[158:159], v[158:159], v[160:161]
	s_waitcnt lgkmcnt(0)
	v_fmac_f64_e32 v[134:135], v[158:159], v[144:145]
	ds_bpermute_b32 v144, v0, v142 offset:16
	ds_bpermute_b32 v145, v0, v143 offset:16
	v_accvgpr_read_b32 v159, a15
	v_accvgpr_read_b32 v158, a14
	v_mul_f64 v[152:153], v[152:153], v[158:159]
	s_waitcnt lgkmcnt(0)
	v_fmac_f64_e32 v[134:135], v[152:153], v[144:145]
	ds_bpermute_b32 v144, v0, v142 offset:20
	ds_bpermute_b32 v145, v0, v143 offset:20
	v_accvgpr_read_b32 v153, a17
	v_accvgpr_read_b32 v152, a16
	v_mul_f64 v[152:153], v[152:153], v[168:169]
	s_waitcnt lgkmcnt(0)
	v_fmac_f64_e32 v[134:135], v[152:153], v[144:145]
	ds_bpermute_b32 v144, v0, v142 offset:24
	ds_bpermute_b32 v145, v0, v143 offset:24
	v_mul_f64 v[152:153], v[162:163], v[172:173]
	s_waitcnt lgkmcnt(0)
	v_fmac_f64_e32 v[134:135], v[152:153], v[144:145]
	ds_bpermute_b32 v144, v0, v142 offset:28
	ds_bpermute_b32 v145, v0, v143 offset:28
	;; [unrolled: 5-line block ×22, first 2 shown]
	s_waitcnt lgkmcnt(0)
	v_fmac_f64_e32 v[134:135], v[132:133], v[144:145]
	ds_bpermute_b32 v132, v0, v142 offset:112
	ds_bpermute_b32 v133, v0, v143 offset:112
	v_mul_f64 v[144:145], v[250:251], v[146:147]
	s_waitcnt lgkmcnt(0)
	v_fmac_f64_e32 v[134:135], v[144:145], v[132:133]
	ds_bpermute_b32 v132, v0, v142 offset:116
	ds_bpermute_b32 v133, v0, v143 offset:116
	v_mul_f64 v[144:145], v[150:151], v[154:155]
	;; [unrolled: 5-line block ×3, first 2 shown]
	s_waitcnt lgkmcnt(0)
	v_fmac_f64_e32 v[134:135], v[144:145], v[132:133]
	ds_bpermute_b32 v132, v0, v142 offset:124
	ds_bpermute_b32 v133, v0, v143 offset:124
	s_branch .LBB130_143
.LBB130_73:                             ;   in Loop: Header=BB130_3 Depth=1
                                        ; implicit-def: $vgpr134_vgpr135
                                        ; implicit-def: $vgpr164_vgpr165
                                        ; implicit-def: $vgpr132
	s_cbranch_execz .LBB130_143
; %bb.74:                               ;   in Loop: Header=BB130_3 Depth=1
	s_load_dword s10, s[24:25], 0x0
	s_waitcnt lgkmcnt(0)
	v_accvgpr_read_b32 v133, a3
	v_pk_mov_b32 v[142:143], 0, 0
	v_pk_mov_b32 v[134:135], v[142:143], v[142:143] op_sel:[0,1]
	s_cmp_lt_u32 s6, s10
	s_cselect_b32 s10, 12, 18
	s_add_u32 s10, s24, s10
	s_addc_u32 s11, s25, 0
	global_load_ushort v132, v133, s[10:11]
	v_accvgpr_read_b32 v133, a1
	s_waitcnt vmcnt(0)
	v_mad_u32_u24 v132, v133, v132, v131
	v_and_b32_e32 v132, 63, v132
	v_cmp_gt_u32_e32 vcc, 32, v132
	s_and_saveexec_b64 s[10:11], vcc
	s_cbranch_execz .LBB130_78
; %bb.75:                               ;   in Loop: Header=BB130_3 Depth=1
	v_add_co_u32_e32 v132, vcc, v140, v132
	v_addc_co_u32_e32 v133, vcc, 0, v141, vcc
	v_cmp_gt_i64_e32 vcc, s[12:13], v[132:133]
	v_pk_mov_b32 v[134:135], 0, 0
	s_and_saveexec_b64 s[34:35], vcc
	s_cbranch_execz .LBB130_77
; %bb.76:                               ;   in Loop: Header=BB130_3 Depth=1
	v_lshlrev_b64 v[132:133], 3, v[132:133]
	v_mov_b32_e32 v134, s21
	v_add_co_u32_e32 v132, vcc, s20, v132
	v_addc_co_u32_e32 v133, vcc, v134, v133, vcc
	global_load_dwordx2 v[134:135], v[132:133], off
.LBB130_77:                             ;   in Loop: Header=BB130_3 Depth=1
	s_or_b64 exec, exec, s[34:35]
.LBB130_78:                             ;   in Loop: Header=BB130_3 Depth=1
	s_or_b64 exec, exec, s[10:11]
	v_accvgpr_write_b32 a6, v142
	v_accvgpr_write_b32 a7, v143
	s_and_saveexec_b64 s[10:11], s[2:3]
	s_cbranch_execz .LBB130_80
; %bb.79:                               ;   in Loop: Header=BB130_3 Depth=1
	v_add_co_u32_e32 v132, vcc, v128, v136
	v_addc_co_u32_e32 v133, vcc, v125, v137, vcc
	global_load_dwordx2 v[142:143], v[132:133], off
	v_add_co_u32_e32 v132, vcc, v130, v136
	v_addc_co_u32_e32 v133, vcc, v127, v137, vcc
	global_load_dwordx2 a[6:7], v[132:133], off
.LBB130_80:                             ;   in Loop: Header=BB130_3 Depth=1
	s_or_b64 exec, exec, s[10:11]
	v_pk_mov_b32 v[140:141], 0, 0
	v_pk_mov_b32 v[154:155], v[140:141], v[140:141] op_sel:[0,1]
	v_pk_mov_b32 v[156:157], v[140:141], v[140:141] op_sel:[0,1]
	s_and_saveexec_b64 s[10:11], s[2:3]
	s_cbranch_execz .LBB130_82
; %bb.81:                               ;   in Loop: Header=BB130_3 Depth=1
	v_add_co_u32_e32 v132, vcc, v124, v136
	v_addc_co_u32_e32 v133, vcc, v121, v137, vcc
	global_load_dwordx2 v[154:155], v[132:133], off
	v_add_co_u32_e32 v132, vcc, v126, v136
	v_addc_co_u32_e32 v133, vcc, v123, v137, vcc
	global_load_dwordx2 v[156:157], v[132:133], off
.LBB130_82:                             ;   in Loop: Header=BB130_3 Depth=1
	s_or_b64 exec, exec, s[10:11]
	v_accvgpr_write_b32 a10, v140
	v_accvgpr_write_b32 a11, v141
	s_and_saveexec_b64 s[10:11], s[2:3]
	s_cbranch_execz .LBB130_84
; %bb.83:                               ;   in Loop: Header=BB130_3 Depth=1
	v_add_co_u32_e32 v132, vcc, v120, v136
	v_addc_co_u32_e32 v133, vcc, v117, v137, vcc
	global_load_dwordx2 v[140:141], v[132:133], off
	v_add_co_u32_e32 v132, vcc, v122, v136
	v_addc_co_u32_e32 v133, vcc, v119, v137, vcc
	global_load_dwordx2 a[10:11], v[132:133], off
.LBB130_84:                             ;   in Loop: Header=BB130_3 Depth=1
	s_or_b64 exec, exec, s[10:11]
	v_pk_mov_b32 v[150:151], 0, 0
	v_accvgpr_write_b32 a12, v150
	v_accvgpr_write_b32 a14, v150
	;; [unrolled: 1-line block ×4, first 2 shown]
	s_and_saveexec_b64 s[10:11], s[2:3]
	s_cbranch_execz .LBB130_86
; %bb.85:                               ;   in Loop: Header=BB130_3 Depth=1
	v_add_co_u32_e32 v132, vcc, v116, v136
	v_addc_co_u32_e32 v133, vcc, v113, v137, vcc
	global_load_dwordx2 a[12:13], v[132:133], off
	v_add_co_u32_e32 v132, vcc, v118, v136
	v_addc_co_u32_e32 v133, vcc, v115, v137, vcc
	global_load_dwordx2 a[14:15], v[132:133], off
.LBB130_86:                             ;   in Loop: Header=BB130_3 Depth=1
	s_or_b64 exec, exec, s[10:11]
	v_pk_mov_b32 v[158:159], v[150:151], v[150:151] op_sel:[0,1]
	s_and_saveexec_b64 s[10:11], s[2:3]
	s_cbranch_execz .LBB130_88
; %bb.87:                               ;   in Loop: Header=BB130_3 Depth=1
	v_add_co_u32_e32 v132, vcc, v112, v136
	v_addc_co_u32_e32 v133, vcc, v109, v137, vcc
	global_load_dwordx2 v[150:151], v[132:133], off
	v_add_co_u32_e32 v132, vcc, v114, v136
	v_addc_co_u32_e32 v133, vcc, v111, v137, vcc
	global_load_dwordx2 v[158:159], v[132:133], off
.LBB130_88:                             ;   in Loop: Header=BB130_3 Depth=1
	s_or_b64 exec, exec, s[10:11]
	v_pk_mov_b32 v[160:161], 0, 0
	v_pk_mov_b32 v[162:163], v[160:161], v[160:161] op_sel:[0,1]
	v_pk_mov_b32 v[166:167], v[160:161], v[160:161] op_sel:[0,1]
	s_and_saveexec_b64 s[10:11], s[2:3]
	s_cbranch_execz .LBB130_90
; %bb.89:                               ;   in Loop: Header=BB130_3 Depth=1
	v_add_co_u32_e32 v132, vcc, v108, v136
	v_addc_co_u32_e32 v133, vcc, v105, v137, vcc
	global_load_dwordx2 v[162:163], v[132:133], off
	v_add_co_u32_e32 v132, vcc, v110, v136
	v_addc_co_u32_e32 v133, vcc, v107, v137, vcc
	global_load_dwordx2 v[166:167], v[132:133], off
.LBB130_90:                             ;   in Loop: Header=BB130_3 Depth=1
	s_or_b64 exec, exec, s[10:11]
	v_pk_mov_b32 v[172:173], v[160:161], v[160:161] op_sel:[0,1]
	s_and_saveexec_b64 s[10:11], s[2:3]
	s_cbranch_execz .LBB130_92
; %bb.91:                               ;   in Loop: Header=BB130_3 Depth=1
	v_add_co_u32_e32 v132, vcc, v104, v136
	v_addc_co_u32_e32 v133, vcc, v101, v137, vcc
	global_load_dwordx2 v[160:161], v[132:133], off
	v_add_co_u32_e32 v132, vcc, v106, v136
	v_addc_co_u32_e32 v133, vcc, v103, v137, vcc
	global_load_dwordx2 v[172:173], v[132:133], off
.LBB130_92:                             ;   in Loop: Header=BB130_3 Depth=1
	s_or_b64 exec, exec, s[10:11]
	v_pk_mov_b32 v[168:169], 0, 0
	v_pk_mov_b32 v[170:171], v[168:169], v[168:169] op_sel:[0,1]
	v_pk_mov_b32 v[174:175], v[168:169], v[168:169] op_sel:[0,1]
	;; [unrolled: 26-line block ×3, first 2 shown]
	s_and_saveexec_b64 s[10:11], s[2:3]
	s_cbranch_execz .LBB130_98
; %bb.97:                               ;   in Loop: Header=BB130_3 Depth=1
	v_add_co_u32_e32 v132, vcc, v92, v136
	v_addc_co_u32_e32 v133, vcc, v89, v137, vcc
	global_load_dwordx2 v[180:181], v[132:133], off
	v_add_co_u32_e32 v132, vcc, v94, v136
	v_addc_co_u32_e32 v133, vcc, v91, v137, vcc
	global_load_dwordx2 v[182:183], v[132:133], off
.LBB130_98:                             ;   in Loop: Header=BB130_3 Depth=1
	s_or_b64 exec, exec, s[10:11]
	v_pk_mov_b32 v[184:185], v[176:177], v[176:177] op_sel:[0,1]
	s_and_saveexec_b64 s[10:11], s[2:3]
	s_cbranch_execz .LBB130_100
; %bb.99:                               ;   in Loop: Header=BB130_3 Depth=1
	v_add_co_u32_e32 v132, vcc, v88, v136
	v_addc_co_u32_e32 v133, vcc, v85, v137, vcc
	global_load_dwordx2 v[176:177], v[132:133], off
	v_add_co_u32_e32 v132, vcc, v90, v136
	v_addc_co_u32_e32 v133, vcc, v87, v137, vcc
	global_load_dwordx2 v[184:185], v[132:133], off
.LBB130_100:                            ;   in Loop: Header=BB130_3 Depth=1
	s_or_b64 exec, exec, s[10:11]
	v_pk_mov_b32 v[186:187], 0, 0
	v_pk_mov_b32 v[188:189], v[186:187], v[186:187] op_sel:[0,1]
	v_pk_mov_b32 v[190:191], v[186:187], v[186:187] op_sel:[0,1]
	s_and_saveexec_b64 s[10:11], s[2:3]
	s_cbranch_execz .LBB130_102
; %bb.101:                              ;   in Loop: Header=BB130_3 Depth=1
	v_add_co_u32_e32 v132, vcc, v84, v136
	v_addc_co_u32_e32 v133, vcc, v81, v137, vcc
	global_load_dwordx2 v[188:189], v[132:133], off
	v_add_co_u32_e32 v132, vcc, v86, v136
	v_addc_co_u32_e32 v133, vcc, v83, v137, vcc
	global_load_dwordx2 v[190:191], v[132:133], off
.LBB130_102:                            ;   in Loop: Header=BB130_3 Depth=1
	s_or_b64 exec, exec, s[10:11]
	v_pk_mov_b32 v[196:197], v[186:187], v[186:187] op_sel:[0,1]
	s_and_saveexec_b64 s[10:11], s[2:3]
	s_cbranch_execz .LBB130_104
; %bb.103:                              ;   in Loop: Header=BB130_3 Depth=1
	v_add_co_u32_e32 v132, vcc, v80, v136
	v_addc_co_u32_e32 v133, vcc, v77, v137, vcc
	global_load_dwordx2 v[186:187], v[132:133], off
	v_add_co_u32_e32 v132, vcc, v82, v136
	v_addc_co_u32_e32 v133, vcc, v79, v137, vcc
	global_load_dwordx2 v[196:197], v[132:133], off
.LBB130_104:                            ;   in Loop: Header=BB130_3 Depth=1
	s_or_b64 exec, exec, s[10:11]
	v_pk_mov_b32 v[192:193], 0, 0
	v_pk_mov_b32 v[194:195], v[192:193], v[192:193] op_sel:[0,1]
	v_pk_mov_b32 v[198:199], v[192:193], v[192:193] op_sel:[0,1]
	s_and_saveexec_b64 s[10:11], s[2:3]
	s_cbranch_execz .LBB130_106
; %bb.105:                              ;   in Loop: Header=BB130_3 Depth=1
	v_add_co_u32_e32 v132, vcc, v76, v136
	v_addc_co_u32_e32 v133, vcc, v73, v137, vcc
	global_load_dwordx2 v[194:195], v[132:133], off
	v_add_co_u32_e32 v132, vcc, v78, v136
	v_addc_co_u32_e32 v133, vcc, v75, v137, vcc
	global_load_dwordx2 v[198:199], v[132:133], off
.LBB130_106:                            ;   in Loop: Header=BB130_3 Depth=1
	s_or_b64 exec, exec, s[10:11]
	v_pk_mov_b32 v[202:203], v[192:193], v[192:193] op_sel:[0,1]
	s_and_saveexec_b64 s[10:11], s[2:3]
	s_cbranch_execz .LBB130_108
; %bb.107:                              ;   in Loop: Header=BB130_3 Depth=1
	v_add_co_u32_e32 v132, vcc, v72, v136
	v_addc_co_u32_e32 v133, vcc, v69, v137, vcc
	global_load_dwordx2 v[192:193], v[132:133], off
	v_add_co_u32_e32 v132, vcc, v74, v136
	v_addc_co_u32_e32 v133, vcc, v71, v137, vcc
	global_load_dwordx2 v[202:203], v[132:133], off
.LBB130_108:                            ;   in Loop: Header=BB130_3 Depth=1
	;; [unrolled: 26-line block ×9, first 2 shown]
	s_or_b64 exec, exec, s[10:11]
	v_pk_mov_b32 v[144:145], 0, 0
	v_pk_mov_b32 v[146:147], v[144:145], v[144:145] op_sel:[0,1]
	v_pk_mov_b32 v[148:149], v[144:145], v[144:145] op_sel:[0,1]
	s_and_saveexec_b64 s[10:11], s[2:3]
	s_cbranch_execz .LBB130_138
; %bb.137:                              ;   in Loop: Header=BB130_3 Depth=1
	v_add_co_u32_e32 v146, vcc, v12, v136
	v_addc_co_u32_e32 v147, vcc, v9, v137, vcc
	v_add_co_u32_e32 v148, vcc, v14, v136
	v_addc_co_u32_e32 v149, vcc, v11, v137, vcc
	global_load_dwordx2 v[146:147], v[146:147], off
	s_nop 0
	global_load_dwordx2 v[148:149], v[148:149], off
.LBB130_138:                            ;   in Loop: Header=BB130_3 Depth=1
	s_or_b64 exec, exec, s[10:11]
	v_pk_mov_b32 v[152:153], v[144:145], v[144:145] op_sel:[0,1]
	s_and_saveexec_b64 s[10:11], s[2:3]
	s_cbranch_execz .LBB130_140
; %bb.139:                              ;   in Loop: Header=BB130_3 Depth=1
	v_add_co_u32_e32 v144, vcc, v8, v136
	v_addc_co_u32_e32 v145, vcc, v5, v137, vcc
	v_add_co_u32_e32 v152, vcc, v10, v136
	v_addc_co_u32_e32 v153, vcc, v7, v137, vcc
	global_load_dwordx2 v[144:145], v[144:145], off
	s_nop 0
	global_load_dwordx2 v[152:153], v[152:153], off
.LBB130_140:                            ;   in Loop: Header=BB130_3 Depth=1
	s_or_b64 exec, exec, s[10:11]
	s_waitcnt vmcnt(0)
	v_accvgpr_write_b32 a8, v156
	v_accvgpr_write_b32 a4, v154
	;; [unrolled: 1-line block ×4, first 2 shown]
	v_pk_mov_b32 v[164:165], 0, 0
	s_and_saveexec_b64 s[10:11], s[2:3]
	s_cbranch_execz .LBB130_142
; %bb.141:                              ;   in Loop: Header=BB130_3 Depth=1
	v_add_co_u32_e32 v164, vcc, v4, v136
	v_addc_co_u32_e32 v165, vcc, v1, v137, vcc
	v_add_co_u32_e32 v154, vcc, v6, v136
	v_addc_co_u32_e32 v155, vcc, v3, v137, vcc
	global_load_dwordx2 v[164:165], v[164:165], off
	s_nop 0
	global_load_dwordx2 v[154:155], v[154:155], off
	s_waitcnt vmcnt(0)
	v_mul_f64 v[164:165], v[164:165], v[154:155]
.LBB130_142:                            ;   in Loop: Header=BB130_3 Depth=1
	s_or_b64 exec, exec, s[10:11]
	ds_bpermute_b32 v154, v0, v134
	ds_bpermute_b32 v155, v0, v135
	v_accvgpr_read_b32 v157, a7
	v_accvgpr_read_b32 v156, a6
	v_mul_f64 v[142:143], v[142:143], v[156:157]
	v_accvgpr_read_b32 v157, a9
	s_waitcnt lgkmcnt(0)
	v_fmac_f64_e32 v[138:139], v[142:143], v[154:155]
	ds_bpermute_b32 v142, v0, v134 offset:4
	ds_bpermute_b32 v143, v0, v135 offset:4
	v_accvgpr_read_b32 v155, a5
	v_accvgpr_read_b32 v154, a4
	;; [unrolled: 1-line block ×3, first 2 shown]
	v_mul_f64 v[154:155], v[154:155], v[156:157]
	s_waitcnt lgkmcnt(0)
	v_fmac_f64_e32 v[138:139], v[154:155], v[142:143]
	ds_bpermute_b32 v142, v0, v134 offset:8
	ds_bpermute_b32 v143, v0, v135 offset:8
	v_accvgpr_read_b32 v155, a11
	v_accvgpr_read_b32 v154, a10
	v_mul_f64 v[140:141], v[140:141], v[154:155]
	v_accvgpr_read_b32 v155, a15
	s_waitcnt lgkmcnt(0)
	v_fmac_f64_e32 v[138:139], v[140:141], v[142:143]
	ds_bpermute_b32 v140, v0, v134 offset:12
	ds_bpermute_b32 v141, v0, v135 offset:12
	v_accvgpr_read_b32 v143, a13
	v_accvgpr_read_b32 v142, a12
	;; [unrolled: 1-line block ×3, first 2 shown]
	v_mul_f64 v[142:143], v[142:143], v[154:155]
	s_waitcnt lgkmcnt(0)
	v_fmac_f64_e32 v[138:139], v[142:143], v[140:141]
	ds_bpermute_b32 v140, v0, v134 offset:16
	ds_bpermute_b32 v141, v0, v135 offset:16
	v_mul_f64 v[142:143], v[150:151], v[158:159]
	v_mul_f64 v[132:133], v[240:241], v[132:133]
	s_waitcnt lgkmcnt(0)
	v_fmac_f64_e32 v[138:139], v[142:143], v[140:141]
	ds_bpermute_b32 v140, v0, v134 offset:20
	ds_bpermute_b32 v141, v0, v135 offset:20
	v_mul_f64 v[142:143], v[162:163], v[166:167]
	s_waitcnt lgkmcnt(0)
	v_fmac_f64_e32 v[138:139], v[142:143], v[140:141]
	ds_bpermute_b32 v140, v0, v134 offset:24
	ds_bpermute_b32 v141, v0, v135 offset:24
	;; [unrolled: 5-line block ×22, first 2 shown]
	s_waitcnt lgkmcnt(0)
	v_fmac_f64_e32 v[138:139], v[132:133], v[140:141]
	ds_bpermute_b32 v132, v0, v134 offset:108
	ds_bpermute_b32 v133, v0, v135 offset:108
	v_mul_f64 v[140:141], v[250:251], v[252:253]
	s_waitcnt lgkmcnt(0)
	v_fmac_f64_e32 v[138:139], v[140:141], v[132:133]
	ds_bpermute_b32 v132, v0, v134 offset:112
	ds_bpermute_b32 v133, v0, v135 offset:112
	v_mul_f64 v[140:141], v[248:249], v[254:255]
	;; [unrolled: 5-line block ×4, first 2 shown]
	s_waitcnt lgkmcnt(0)
	v_fmac_f64_e32 v[138:139], v[140:141], v[132:133]
	ds_bpermute_b32 v132, v0, v134 offset:124
	ds_bpermute_b32 v133, v0, v135 offset:124
	v_pk_mov_b32 v[134:135], v[138:139], v[138:139] op_sel:[0,1]
.LBB130_143:                            ;   in Loop: Header=BB130_3 Depth=1
	s_add_u32 s30, s30, s33
	s_waitcnt lgkmcnt(0)
	v_fmac_f64_e32 v[134:135], v[164:165], v[132:133]
	s_addc_u32 s31, s31, 0
	v_pk_mov_b32 v[132:133], s[12:13], s[12:13] op_sel:[0,1]
	v_cmp_lt_i64_e32 vcc, s[30:31], v[132:133]
	v_mov_b32_e32 v132, s9
	v_add_co_u32_e64 v2, s[10:11], s33, v2
	v_addc_co_u32_e64 v129, s[10:11], v129, v132, s[10:11]
	v_mov_b32_e32 v132, s29
	v_add_co_u32_e64 v4, s[10:11], s28, v4
	v_addc_co_u32_e64 v1, s[10:11], v1, v132, s[10:11]
	v_add_co_u32_e64 v6, s[10:11], s28, v6
	v_addc_co_u32_e64 v3, s[10:11], v3, v132, s[10:11]
	;; [unrolled: 2-line block ×63, first 2 shown]
	v_add_co_u32_e64 v130, s[10:11], s28, v130
	s_add_u32 s26, s26, s33
	v_addc_co_u32_e64 v127, s[10:11], v127, v132, s[10:11]
	s_addc_u32 s27, s27, 0
	s_cbranch_vccz .LBB130_146
; %bb.144:                              ;   in Loop: Header=BB130_3 Depth=1
	v_pk_mov_b32 v[138:139], v[134:135], v[134:135] op_sel:[0,1]
	s_branch .LBB130_3
.LBB130_145:
                                        ; implicit-def: $vgpr134_vgpr135
	s_load_dwordx2 s[2:3], s[4:5], 0x30
	s_branch .LBB130_148
.LBB130_146:
	v_accvgpr_read_b32 v132, a0
.LBB130_147:
	s_load_dwordx2 s[2:3], s[4:5], 0x30
	s_cbranch_execnz .LBB130_229
.LBB130_148:
	s_and_b64 vcc, exec, s[0:1]
	v_pk_mov_b32 v[134:135], 0, 0
	s_cbranch_vccnz .LBB130_229
; %bb.149:
	v_bfe_u32 v128, v132, 10, 10
	s_add_u32 s10, s4, 64
	s_addc_u32 s11, s5, 0
	v_lshlrev_b32_e32 v0, 8, v128
	s_lshl_b64 s[0:1], s[22:23], 3
	v_mov_b32_e32 v1, s1
	v_add_co_u32_e32 v0, vcc, s0, v0
	v_addc_co_u32_e32 v1, vcc, 0, v1, vcc
	v_add_co_u32_e32 v22, vcc, 8, v0
	v_addc_co_u32_e32 v4, vcc, 0, v1, vcc
	v_add_co_u32_e32 v26, vcc, 16, v0
	v_addc_co_u32_e32 v6, vcc, 0, v1, vcc
	v_add_co_u32_e32 v29, vcc, 24, v0
	v_addc_co_u32_e32 v8, vcc, 0, v1, vcc
	v_add_co_u32_e32 v32, vcc, 32, v0
	v_addc_co_u32_e32 v10, vcc, 0, v1, vcc
	v_add_co_u32_e32 v35, vcc, 40, v0
	v_addc_co_u32_e32 v12, vcc, 0, v1, vcc
	v_add_co_u32_e32 v38, vcc, 48, v0
	v_addc_co_u32_e32 v14, vcc, 0, v1, vcc
	v_add_co_u32_e32 v41, vcc, 56, v0
	v_addc_co_u32_e32 v16, vcc, 0, v1, vcc
	v_pk_mov_b32 v[122:123], s[16:17], s[16:17] op_sel:[0,1]
	v_add_co_u32_e32 v44, vcc, 64, v0
	v_mad_u64_u32 v[2:3], s[0:1], s14, v22, v[122:123]
	v_mul_lo_u32 v24, s14, v4
	v_mad_u64_u32 v[4:5], s[0:1], s14, v26, v[122:123]
	v_mul_lo_u32 v27, s14, v6
	;; [unrolled: 2-line block ×7, first 2 shown]
	v_mad_u64_u32 v[16:17], s[0:1], s14, v44, v[122:123]
	v_addc_co_u32_e32 v18, vcc, 0, v1, vcc
	s_movk_i32 s0, 0x48
	v_add_co_u32_e32 v47, vcc, s0, v0
	v_mul_lo_u32 v45, s14, v18
	v_mad_u64_u32 v[18:19], s[0:1], s14, v47, v[122:123]
	v_addc_co_u32_e32 v20, vcc, 0, v1, vcc
	s_movk_i32 s0, 0x50
	v_add_co_u32_e32 v50, vcc, s0, v0
	v_mul_lo_u32 v48, s14, v20
	v_addc_co_u32_e32 v23, vcc, 0, v1, vcc
	v_mad_u64_u32 v[20:21], s[0:1], s14, v50, v[122:123]
	v_pk_mov_b32 v[124:125], s[18:19], s[18:19] op_sel:[0,1]
	v_mul_lo_u32 v25, s15, v22
	v_mul_lo_u32 v51, s14, v23
	s_movk_i32 s0, 0x58
	v_mad_u64_u32 v[22:23], s[24:25], s14, v22, v[124:125]
	v_add3_u32 v3, v25, v3, v24
	v_mul_lo_u32 v28, s15, v26
	v_add3_u32 v23, v25, v23, v24
	v_add_co_u32_e32 v53, vcc, s0, v0
	v_mad_u64_u32 v[24:25], s[0:1], s14, v26, v[124:125]
	v_add3_u32 v5, v28, v5, v27
	v_mul_lo_u32 v31, s15, v29
	v_add3_u32 v25, v28, v25, v27
	v_mad_u64_u32 v[26:27], s[0:1], s14, v29, v[124:125]
	v_add3_u32 v7, v31, v7, v30
	v_mul_lo_u32 v34, s15, v32
	v_add3_u32 v27, v31, v27, v30
	v_mad_u64_u32 v[30:31], s[0:1], s14, v32, v[124:125]
	v_add3_u32 v9, v34, v9, v33
	v_mul_lo_u32 v37, s15, v35
	v_mul_lo_u32 v40, s15, v38
	v_addc_co_u32_e32 v54, vcc, 0, v1, vcc
	v_add3_u32 v31, v34, v31, v33
	s_movk_i32 s9, 0x60
	v_mad_u64_u32 v[32:33], s[0:1], s14, v35, v[124:125]
	v_mad_u64_u32 v[34:35], s[0:1], s14, v38, v[124:125]
	v_add3_u32 v13, v40, v13, v39
	v_mul_lo_u32 v46, s15, v44
	v_add3_u32 v35, v40, v35, v39
	v_add_co_u32_e32 v56, vcc, s9, v0
	v_mad_u64_u32 v[38:39], s[0:1], s14, v44, v[124:125]
	v_add3_u32 v17, v46, v17, v45
	v_mul_lo_u32 v52, s15, v50
	v_addc_co_u32_e32 v57, vcc, 0, v1, vcc
	v_add3_u32 v39, v46, v39, v45
	s_movk_i32 s9, 0x68
	v_mad_u64_u32 v[44:45], s[0:1], s14, v50, v[124:125]
	v_add3_u32 v11, v37, v11, v36
	v_mul_lo_u32 v43, s15, v41
	v_add3_u32 v21, v52, v21, v51
	v_add3_u32 v33, v37, v33, v36
	v_mad_u64_u32 v[36:37], s[0:1], s14, v41, v[124:125]
	v_add3_u32 v45, v52, v45, v51
	v_add_co_u32_e32 v52, vcc, s9, v0
	v_add3_u32 v15, v43, v15, v42
	v_mul_lo_u32 v49, s15, v47
	v_mad_u64_u32 v[28:29], s[0:1], s14, v53, v[122:123]
	v_mul_lo_u32 v54, s14, v54
	v_mul_lo_u32 v55, s15, v53
	v_add3_u32 v37, v43, v37, v42
	v_mad_u64_u32 v[42:43], s[0:1], s14, v47, v[124:125]
	v_mad_u64_u32 v[46:47], s[0:1], s14, v53, v[124:125]
	v_addc_co_u32_e32 v53, vcc, 0, v1, vcc
	v_add3_u32 v19, v49, v19, v48
	v_add3_u32 v29, v55, v29, v54
	v_mad_u64_u32 v[40:41], s[0:1], s14, v56, v[122:123]
	v_add3_u32 v43, v49, v43, v48
	v_add3_u32 v47, v55, v47, v54
	v_mad_u64_u32 v[48:49], s[0:1], s14, v56, v[124:125]
	v_mad_u64_u32 v[50:51], s[0:1], s14, v52, v[122:123]
	v_mul_lo_u32 v54, s14, v53
	v_mul_lo_u32 v55, s15, v52
	v_mad_u64_u32 v[52:53], s[0:1], s14, v52, v[124:125]
	s_movk_i32 s0, 0x70
	v_mul_lo_u32 v58, s15, v56
	v_add_co_u32_e32 v56, vcc, s0, v0
	v_mul_lo_u32 v57, s14, v57
	v_add3_u32 v51, v55, v51, v54
	v_add3_u32 v53, v55, v53, v54
	v_addc_co_u32_e32 v54, vcc, 0, v1, vcc
	v_add3_u32 v41, v58, v41, v57
	v_add3_u32 v49, v58, v49, v57
	v_mul_lo_u32 v58, s14, v54
	v_mul_lo_u32 v59, s15, v56
	v_mad_u64_u32 v[54:55], s[0:1], s14, v56, v[122:123]
	v_mad_u64_u32 v[56:57], s[0:1], s14, v56, v[124:125]
	s_movk_i32 s0, 0x78
	v_add_co_u32_e32 v60, vcc, s0, v0
	v_add3_u32 v55, v59, v55, v58
	v_add3_u32 v57, v59, v57, v58
	v_addc_co_u32_e32 v58, vcc, 0, v1, vcc
	v_mul_lo_u32 v62, s14, v58
	v_mul_lo_u32 v63, s15, v60
	v_mad_u64_u32 v[58:59], s[0:1], s14, v60, v[122:123]
	v_mad_u64_u32 v[60:61], s[0:1], s14, v60, v[124:125]
	s_movk_i32 s0, 0x80
	v_add_co_u32_e32 v64, vcc, s0, v0
	v_add3_u32 v59, v63, v59, v62
	v_add3_u32 v61, v63, v61, v62
	v_addc_co_u32_e32 v62, vcc, 0, v1, vcc
	v_mul_lo_u32 v66, s14, v62
	v_mul_lo_u32 v67, s15, v64
	v_mad_u64_u32 v[62:63], s[0:1], s14, v64, v[122:123]
	v_mad_u64_u32 v[64:65], s[0:1], s14, v64, v[124:125]
	s_movk_i32 s0, 0x88
	v_add_co_u32_e32 v68, vcc, s0, v0
	v_add3_u32 v63, v67, v63, v66
	v_add3_u32 v65, v67, v65, v66
	v_addc_co_u32_e32 v66, vcc, 0, v1, vcc
	v_mul_lo_u32 v70, s14, v66
	v_mul_lo_u32 v71, s15, v68
	v_mad_u64_u32 v[66:67], s[0:1], s14, v68, v[122:123]
	v_mad_u64_u32 v[68:69], s[0:1], s14, v68, v[124:125]
	s_movk_i32 s0, 0x90
	v_add_co_u32_e32 v72, vcc, s0, v0
	v_add3_u32 v67, v71, v67, v70
	v_add3_u32 v69, v71, v69, v70
	v_addc_co_u32_e32 v70, vcc, 0, v1, vcc
	v_mul_lo_u32 v74, s14, v70
	v_mul_lo_u32 v75, s15, v72
	v_mad_u64_u32 v[70:71], s[0:1], s14, v72, v[122:123]
	v_mad_u64_u32 v[72:73], s[0:1], s14, v72, v[124:125]
	s_movk_i32 s0, 0x98
	v_add_co_u32_e32 v76, vcc, s0, v0
	v_add3_u32 v71, v75, v71, v74
	v_add3_u32 v73, v75, v73, v74
	v_addc_co_u32_e32 v74, vcc, 0, v1, vcc
	v_mul_lo_u32 v78, s14, v74
	v_mul_lo_u32 v79, s15, v76
	v_mad_u64_u32 v[74:75], s[0:1], s14, v76, v[122:123]
	v_mad_u64_u32 v[76:77], s[0:1], s14, v76, v[124:125]
	s_movk_i32 s0, 0xa0
	v_add_co_u32_e32 v80, vcc, s0, v0
	v_add3_u32 v75, v79, v75, v78
	v_add3_u32 v77, v79, v77, v78
	v_addc_co_u32_e32 v78, vcc, 0, v1, vcc
	v_mul_lo_u32 v82, s14, v78
	v_mul_lo_u32 v83, s15, v80
	v_mad_u64_u32 v[78:79], s[0:1], s14, v80, v[122:123]
	v_mad_u64_u32 v[80:81], s[0:1], s14, v80, v[124:125]
	s_movk_i32 s0, 0xa8
	v_add_co_u32_e32 v84, vcc, s0, v0
	v_add3_u32 v79, v83, v79, v82
	v_add3_u32 v81, v83, v81, v82
	v_addc_co_u32_e32 v82, vcc, 0, v1, vcc
	v_mul_lo_u32 v86, s14, v82
	v_mul_lo_u32 v87, s15, v84
	v_mad_u64_u32 v[82:83], s[0:1], s14, v84, v[122:123]
	v_mad_u64_u32 v[84:85], s[0:1], s14, v84, v[124:125]
	s_movk_i32 s0, 0xb0
	v_add_co_u32_e32 v88, vcc, s0, v0
	v_add3_u32 v83, v87, v83, v86
	v_add3_u32 v85, v87, v85, v86
	v_addc_co_u32_e32 v86, vcc, 0, v1, vcc
	v_mul_lo_u32 v90, s14, v86
	v_mul_lo_u32 v91, s15, v88
	v_mad_u64_u32 v[86:87], s[0:1], s14, v88, v[122:123]
	v_mad_u64_u32 v[88:89], s[0:1], s14, v88, v[124:125]
	s_movk_i32 s0, 0xb8
	v_add_co_u32_e32 v92, vcc, s0, v0
	v_add3_u32 v87, v91, v87, v90
	v_add3_u32 v89, v91, v89, v90
	v_addc_co_u32_e32 v90, vcc, 0, v1, vcc
	v_mul_lo_u32 v94, s14, v90
	v_mul_lo_u32 v95, s15, v92
	v_mad_u64_u32 v[90:91], s[0:1], s14, v92, v[122:123]
	v_mad_u64_u32 v[92:93], s[0:1], s14, v92, v[124:125]
	s_movk_i32 s0, 0xc0
	v_add_co_u32_e32 v96, vcc, s0, v0
	v_add3_u32 v91, v95, v91, v94
	v_add3_u32 v93, v95, v93, v94
	v_addc_co_u32_e32 v94, vcc, 0, v1, vcc
	v_mul_lo_u32 v98, s14, v94
	v_mul_lo_u32 v99, s15, v96
	v_mad_u64_u32 v[94:95], s[0:1], s14, v96, v[122:123]
	v_mad_u64_u32 v[96:97], s[0:1], s14, v96, v[124:125]
	s_movk_i32 s0, 0xc8
	v_add_co_u32_e32 v100, vcc, s0, v0
	v_add3_u32 v95, v99, v95, v98
	v_add3_u32 v97, v99, v97, v98
	v_addc_co_u32_e32 v98, vcc, 0, v1, vcc
	v_mul_lo_u32 v102, s14, v98
	v_mul_lo_u32 v103, s15, v100
	v_mad_u64_u32 v[98:99], s[0:1], s14, v100, v[122:123]
	v_mad_u64_u32 v[100:101], s[0:1], s14, v100, v[124:125]
	s_movk_i32 s0, 0xd0
	v_add_co_u32_e32 v104, vcc, s0, v0
	v_add3_u32 v99, v103, v99, v102
	v_add3_u32 v101, v103, v101, v102
	v_addc_co_u32_e32 v102, vcc, 0, v1, vcc
	v_mul_lo_u32 v106, s14, v102
	v_mul_lo_u32 v107, s15, v104
	v_mad_u64_u32 v[102:103], s[0:1], s14, v104, v[122:123]
	v_mad_u64_u32 v[104:105], s[0:1], s14, v104, v[124:125]
	s_movk_i32 s0, 0xd8
	v_add_co_u32_e32 v108, vcc, s0, v0
	v_add3_u32 v103, v107, v103, v106
	v_add3_u32 v105, v107, v105, v106
	v_addc_co_u32_e32 v106, vcc, 0, v1, vcc
	v_mul_lo_u32 v110, s14, v106
	v_mul_lo_u32 v111, s15, v108
	v_mad_u64_u32 v[106:107], s[0:1], s14, v108, v[122:123]
	v_mad_u64_u32 v[108:109], s[0:1], s14, v108, v[124:125]
	s_movk_i32 s0, 0xe0
	v_add_co_u32_e32 v112, vcc, s0, v0
	v_add3_u32 v107, v111, v107, v110
	v_add3_u32 v109, v111, v109, v110
	v_addc_co_u32_e32 v110, vcc, 0, v1, vcc
	v_mul_lo_u32 v114, s14, v110
	v_mul_lo_u32 v115, s15, v112
	v_mad_u64_u32 v[110:111], s[0:1], s14, v112, v[122:123]
	v_mad_u64_u32 v[112:113], s[0:1], s14, v112, v[124:125]
	s_movk_i32 s0, 0xe8
	v_add_co_u32_e32 v116, vcc, s0, v0
	v_add3_u32 v111, v115, v111, v114
	v_add3_u32 v113, v115, v113, v114
	v_addc_co_u32_e32 v114, vcc, 0, v1, vcc
	v_mul_lo_u32 v118, s14, v114
	v_mul_lo_u32 v119, s15, v116
	v_mad_u64_u32 v[114:115], s[0:1], s14, v116, v[122:123]
	v_mad_u64_u32 v[116:117], s[0:1], s14, v116, v[124:125]
	s_movk_i32 s0, 0xf0
	v_add_co_u32_e32 v120, vcc, s0, v0
	v_add3_u32 v115, v119, v115, v118
	v_add3_u32 v117, v119, v117, v118
	v_addc_co_u32_e32 v118, vcc, 0, v1, vcc
	v_mul_lo_u32 v126, s14, v118
	v_mul_lo_u32 v127, s15, v120
	v_mad_u64_u32 v[118:119], s[0:1], s14, v120, v[122:123]
	v_mad_u64_u32 v[120:121], s[0:1], s14, v120, v[124:125]
	s_movk_i32 s0, 0xf8
	v_add_co_u32_e32 v0, vcc, s0, v0
	v_addc_co_u32_e32 v1, vcc, 0, v1, vcc
	v_mad_u64_u32 v[122:123], s[0:1], s14, v0, v[122:123]
	v_mul_lo_u32 v1, s14, v1
	v_mad_u64_u32 v[124:125], s[0:1], s14, v0, v[124:125]
	v_mul_lo_u32 v0, s15, v0
	v_add3_u32 v123, v0, v123, v1
	v_add3_u32 v125, v0, v125, v1
	v_lshlrev_b32_e32 v0, 5, v128
	v_mov_b32_e32 v1, s23
	v_accvgpr_write_b32 a128, v0
	v_add_co_u32_e32 v0, vcc, s22, v0
	v_addc_co_u32_e32 v1, vcc, 0, v1, vcc
	v_add3_u32 v119, v127, v119, v126
	v_add3_u32 v121, v127, v121, v126
	v_add_co_u32_e32 v127, vcc, 31, v0
	v_accvgpr_write_b32 a1, v128
	v_addc_co_u32_e32 v128, vcc, 0, v1, vcc
	v_mul_lo_u32 v128, s14, v128
	v_mul_lo_u32 v129, s15, v127
	v_mov_b32_e32 v194, v132
	v_mad_u64_u32 v[132:133], s[0:1], s14, v127, 0
	v_add_co_u32_e32 v127, vcc, 30, v0
	v_add3_u32 v133, v133, v128, v129
	v_addc_co_u32_e32 v128, vcc, 0, v1, vcc
	v_mul_lo_u32 v128, s14, v128
	v_mul_lo_u32 v129, s15, v127
	v_mad_u64_u32 v[134:135], s[0:1], s14, v127, 0
	v_add_co_u32_e32 v127, vcc, 29, v0
	v_add3_u32 v135, v135, v128, v129
	v_addc_co_u32_e32 v128, vcc, 0, v1, vcc
	v_mul_lo_u32 v128, s14, v128
	v_mul_lo_u32 v129, s15, v127
	;; [unrolled: 6-line block ×29, first 2 shown]
	v_mad_u64_u32 v[190:191], s[0:1], s14, v127, 0
	v_add3_u32 v191, v191, v128, v129
	v_pk_mov_b32 v[128:129], s[14:15], s[14:15] op_sel:[0,1]
	v_mul_lo_u32 v127, s14, v1
	v_mad_u64_u32 v[192:193], s[0:1], s14, v0, v[128:129]
	v_mul_lo_u32 v128, s15, v0
	v_mad_u64_u32 v[0:1], s[0:1], s14, v0, 0
	v_add3_u32 v1, v1, v127, v128
	v_lshlrev_b64 v[130:131], 3, v[0:1]
	v_mov_b32_e32 v0, s17
	v_add_co_u32_e32 v196, vcc, s16, v130
	v_addc_co_u32_e32 v1, vcc, v0, v131, vcc
	v_add3_u32 v193, v128, v193, v127
	v_mov_b32_e32 v128, s19
	v_add_co_u32_e32 v130, vcc, s18, v130
	v_addc_co_u32_e32 v127, vcc, v128, v131, vcc
	v_lshlrev_b64 v[132:133], 3, v[132:133]
	v_accvgpr_write_b32 a4, v130
	v_add_co_u32_e32 v130, vcc, s16, v132
	v_addc_co_u32_e32 v129, vcc, v0, v133, vcc
	v_accvgpr_write_b32 a6, v130
	v_add_co_u32_e32 v130, vcc, s18, v132
	v_accvgpr_write_b32 a3, v129
	v_addc_co_u32_e32 v129, vcc, v128, v133, vcc
	v_lshlrev_b64 v[132:133], 3, v[134:135]
	v_accvgpr_write_b32 a8, v130
	v_add_co_u32_e32 v130, vcc, s16, v132
	v_accvgpr_write_b32 a5, v129
	v_addc_co_u32_e32 v129, vcc, v0, v133, vcc
	v_accvgpr_write_b32 a10, v130
	v_add_co_u32_e32 v130, vcc, s18, v132
	v_accvgpr_write_b32 a7, v129
	v_addc_co_u32_e32 v129, vcc, v128, v133, vcc
	v_lshlrev_b64 v[132:133], 3, v[136:137]
	v_accvgpr_write_b32 a12, v130
	v_add_co_u32_e32 v130, vcc, s16, v132
	v_accvgpr_write_b32 a9, v129
	;; [unrolled: 9-line block ×29, first 2 shown]
	v_addc_co_u32_e32 v129, vcc, v0, v133, vcc
	v_accvgpr_write_b32 a122, v130
	v_add_co_u32_e32 v130, vcc, s18, v132
	v_accvgpr_write_b32 a119, v129
	v_addc_co_u32_e32 v129, vcc, v128, v133, vcc
	v_lshlrev_b64 v[132:133], 3, v[192:193]
	s_load_dword s0, s[4:5], 0x44
	v_add_co_u32_e32 v252, vcc, s16, v132
	v_accvgpr_write_b32 a121, v129
	v_addc_co_u32_e32 v129, vcc, v0, v133, vcc
	v_add_co_u32_e32 v0, vcc, s18, v132
	v_accvgpr_write_b32 a126, v0
	v_and_b32_e32 v0, 0x3ff, v194
	v_accvgpr_write_b32 a123, v129
	v_addc_co_u32_e32 v129, vcc, v128, v133, vcc
	v_accvgpr_write_b32 a127, v0
	v_add_u32_e32 v128, s7, v0
	s_waitcnt lgkmcnt(0)
	s_lshl_b32 s7, s0, 5
	v_mbcnt_lo_u32_b32 v0, -1, 0
	s_mul_i32 s0, s15, s7
	s_mul_hi_u32 s1, s14, s7
	v_mbcnt_hi_u32_b32 v0, -1, v0
	v_accvgpr_write_b32 a125, v129
	v_mov_b32_e32 v129, 0
	s_add_i32 s1, s1, s0
	s_mul_i32 s0, s14, s7
	v_lshlrev_b32_e32 v0, 2, v0
	v_accvgpr_write_b32 a2, v196
	v_accvgpr_write_b32 a135, v127
	;; [unrolled: 1-line block ×3, first 2 shown]
	s_mov_b32 s9, 0
	v_accvgpr_write_b32 a0, v194
	s_lshl_b64 s[16:17], s[0:1], 3
	s_mov_b64 s[18:19], 31
	v_and_b32_e32 v0, 0x100, v0
	s_mov_b64 s[24:25], s[22:23]
	v_mov_b32_e32 v253, v129
	v_accvgpr_write_b32 a129, v129
	v_lshlrev_b64 v[132:133], 3, v[128:129]
	v_pk_mov_b32 v[136:137], 0, 0
.LBB130_150:                            ; =>This Inner Loop Header: Depth=1
	s_add_u32 s0, s22, s18
	s_addc_u32 s1, 0, s19
	v_pk_mov_b32 v[134:135], s[12:13], s[12:13] op_sel:[0,1]
	v_accvgpr_read_b32 v126, a128
	v_cmp_ge_i64_e32 vcc, s[0:1], v[134:135]
	v_mov_b32_e32 v128, s23
	v_add_co_u32_e64 v138, s[0:1], s22, v126
	v_addc_co_u32_e64 v139, s[0:1], v128, v253, s[0:1]
	s_cbranch_vccz .LBB130_220
; %bb.151:                              ;   in Loop: Header=BB130_150 Depth=1
	s_load_dword s0, s[10:11], 0xc
	v_accvgpr_read_b32 v128, a1
	v_accvgpr_read_b32 v129, a127
	v_pk_mov_b32 v[134:135], 0, 0
	v_pk_mov_b32 v[140:141], v[134:135], v[134:135] op_sel:[0,1]
	s_waitcnt lgkmcnt(0)
	s_and_b32 s0, s0, 0xffff
	v_mad_u32_u24 v128, v128, s0, v129
	v_and_b32_e32 v142, 63, v128
	v_cmp_gt_u32_e32 vcc, 32, v142
	s_and_saveexec_b64 s[0:1], vcc
	s_cbranch_execz .LBB130_155
; %bb.152:                              ;   in Loop: Header=BB130_150 Depth=1
	v_add_co_u32_e32 v142, vcc, v138, v142
	v_addc_co_u32_e32 v143, vcc, 0, v139, vcc
	v_cmp_gt_i64_e32 vcc, s[12:13], v[142:143]
	v_pk_mov_b32 v[140:141], 0, 0
	s_and_saveexec_b64 s[26:27], vcc
	s_cbranch_execz .LBB130_154
; %bb.153:                              ;   in Loop: Header=BB130_150 Depth=1
	v_lshlrev_b64 v[140:141], 3, v[142:143]
	v_mov_b32_e32 v128, s21
	v_add_co_u32_e32 v140, vcc, s20, v140
	v_addc_co_u32_e32 v141, vcc, v128, v141, vcc
	global_load_dwordx2 v[140:141], v[140:141], off
.LBB130_154:                            ;   in Loop: Header=BB130_150 Depth=1
	s_or_b64 exec, exec, s[26:27]
.LBB130_155:                            ;   in Loop: Header=BB130_150 Depth=1
	s_or_b64 exec, exec, s[0:1]
	v_cmp_gt_i64_e32 vcc, s[12:13], v[138:139]
	v_pk_mov_b32 v[130:131], v[134:135], v[134:135] op_sel:[0,1]
	s_and_saveexec_b64 s[0:1], vcc
	s_cbranch_execz .LBB130_157
; %bb.156:                              ;   in Loop: Header=BB130_150 Depth=1
	v_accvgpr_read_b32 v128, a2
	v_add_co_u32_e32 v134, vcc, v128, v132
	v_addc_co_u32_e32 v135, vcc, v1, v133, vcc
	v_accvgpr_read_b32 v128, a4
	v_add_co_u32_e32 v142, vcc, v128, v132
	v_accvgpr_read_b32 v127, a135
	v_addc_co_u32_e32 v143, vcc, v127, v133, vcc
	global_load_dwordx2 v[134:135], v[134:135], off
	s_nop 0
	global_load_dwordx2 v[130:131], v[142:143], off
.LBB130_157:                            ;   in Loop: Header=BB130_150 Depth=1
	s_or_b64 exec, exec, s[0:1]
	v_add_co_u32_e32 v142, vcc, 1, v138
	v_addc_co_u32_e32 v143, vcc, 0, v139, vcc
	v_cmp_gt_i64_e32 vcc, s[12:13], v[142:143]
	v_pk_mov_b32 v[142:143], 0, 0
	v_accvgpr_write_b32 a130, v142
	v_accvgpr_write_b32 a131, v143
	v_pk_mov_b32 v[128:129], v[142:143], v[142:143] op_sel:[0,1]
	s_and_saveexec_b64 s[0:1], vcc
	s_cbranch_execz .LBB130_159
; %bb.158:                              ;   in Loop: Header=BB130_150 Depth=1
	v_add_co_u32_e32 v144, vcc, v252, v132
	v_accvgpr_read_b32 v129, a123
	v_addc_co_u32_e32 v145, vcc, v129, v133, vcc
	v_accvgpr_read_b32 v128, a126
	global_load_dwordx2 a[130:131], v[144:145], off
	v_add_co_u32_e32 v144, vcc, v128, v132
	v_accvgpr_read_b32 v129, a125
	v_addc_co_u32_e32 v145, vcc, v129, v133, vcc
	global_load_dwordx2 v[128:129], v[144:145], off
.LBB130_159:                            ;   in Loop: Header=BB130_150 Depth=1
	s_or_b64 exec, exec, s[0:1]
	v_add_co_u32_e32 v144, vcc, 2, v138
	s_waitcnt vmcnt(0)
	v_accvgpr_write_b32 a133, v129
	v_addc_co_u32_e32 v145, vcc, 0, v139, vcc
	v_accvgpr_write_b32 a132, v128
	v_cmp_gt_i64_e32 vcc, s[12:13], v[144:145]
	v_pk_mov_b32 v[126:127], v[142:143], v[142:143] op_sel:[0,1]
	s_and_saveexec_b64 s[0:1], vcc
	s_cbranch_execz .LBB130_161
; %bb.160:                              ;   in Loop: Header=BB130_150 Depth=1
	v_accvgpr_read_b32 v128, a122
	v_add_co_u32_e32 v142, vcc, v128, v132
	v_accvgpr_read_b32 v129, a119
	v_addc_co_u32_e32 v143, vcc, v129, v133, vcc
	v_accvgpr_read_b32 v128, a124
	v_add_co_u32_e32 v144, vcc, v128, v132
	v_accvgpr_read_b32 v129, a121
	v_addc_co_u32_e32 v145, vcc, v129, v133, vcc
	global_load_dwordx2 v[142:143], v[142:143], off
	s_nop 0
	global_load_dwordx2 v[126:127], v[144:145], off
.LBB130_161:                            ;   in Loop: Header=BB130_150 Depth=1
	s_or_b64 exec, exec, s[0:1]
	v_add_co_u32_e32 v144, vcc, 3, v138
	v_pk_mov_b32 v[150:151], 0, 0
	v_addc_co_u32_e32 v145, vcc, 0, v139, vcc
	v_accvgpr_write_b32 a138, v150
	v_cmp_gt_i64_e32 vcc, s[12:13], v[144:145]
	v_accvgpr_write_b32 a139, v151
	v_pk_mov_b32 v[128:129], v[150:151], v[150:151] op_sel:[0,1]
	s_and_saveexec_b64 s[0:1], vcc
	s_cbranch_execz .LBB130_163
; %bb.162:                              ;   in Loop: Header=BB130_150 Depth=1
	v_accvgpr_read_b32 v128, a118
	v_add_co_u32_e32 v144, vcc, v128, v132
	v_accvgpr_read_b32 v129, a115
	v_addc_co_u32_e32 v145, vcc, v129, v133, vcc
	v_accvgpr_read_b32 v128, a120
	global_load_dwordx2 a[138:139], v[144:145], off
	v_add_co_u32_e32 v144, vcc, v128, v132
	v_accvgpr_read_b32 v129, a117
	v_addc_co_u32_e32 v145, vcc, v129, v133, vcc
	global_load_dwordx2 v[128:129], v[144:145], off
.LBB130_163:                            ;   in Loop: Header=BB130_150 Depth=1
	s_or_b64 exec, exec, s[0:1]
	v_add_co_u32_e32 v144, vcc, 4, v138
	s_waitcnt vmcnt(0)
	v_accvgpr_write_b32 a141, v129
	v_addc_co_u32_e32 v145, vcc, 0, v139, vcc
	v_accvgpr_write_b32 a140, v128
	v_cmp_gt_i64_e32 vcc, s[12:13], v[144:145]
	v_pk_mov_b32 v[158:159], v[150:151], v[150:151] op_sel:[0,1]
	s_and_saveexec_b64 s[0:1], vcc
	s_cbranch_execz .LBB130_165
; %bb.164:                              ;   in Loop: Header=BB130_150 Depth=1
	v_accvgpr_read_b32 v128, a114
	v_add_co_u32_e32 v144, vcc, v128, v132
	v_accvgpr_read_b32 v129, a111
	v_addc_co_u32_e32 v145, vcc, v129, v133, vcc
	v_accvgpr_read_b32 v128, a116
	global_load_dwordx2 v[150:151], v[144:145], off
	v_add_co_u32_e32 v144, vcc, v128, v132
	v_accvgpr_read_b32 v129, a113
	v_addc_co_u32_e32 v145, vcc, v129, v133, vcc
	global_load_dwordx2 v[158:159], v[144:145], off
.LBB130_165:                            ;   in Loop: Header=BB130_150 Depth=1
	s_or_b64 exec, exec, s[0:1]
	v_add_co_u32_e32 v144, vcc, 5, v138
	v_addc_co_u32_e32 v145, vcc, 0, v139, vcc
	v_pk_mov_b32 v[160:161], 0, 0
	v_cmp_gt_i64_e32 vcc, s[12:13], v[144:145]
	v_pk_mov_b32 v[162:163], v[160:161], v[160:161] op_sel:[0,1]
	v_pk_mov_b32 v[164:165], v[160:161], v[160:161] op_sel:[0,1]
	s_and_saveexec_b64 s[0:1], vcc
	s_cbranch_execz .LBB130_167
; %bb.166:                              ;   in Loop: Header=BB130_150 Depth=1
	v_accvgpr_read_b32 v128, a110
	v_add_co_u32_e32 v144, vcc, v128, v132
	v_accvgpr_read_b32 v129, a107
	v_addc_co_u32_e32 v145, vcc, v129, v133, vcc
	v_accvgpr_read_b32 v128, a112
	global_load_dwordx2 v[162:163], v[144:145], off
	v_add_co_u32_e32 v144, vcc, v128, v132
	v_accvgpr_read_b32 v129, a109
	v_addc_co_u32_e32 v145, vcc, v129, v133, vcc
	global_load_dwordx2 v[164:165], v[144:145], off
.LBB130_167:                            ;   in Loop: Header=BB130_150 Depth=1
	s_or_b64 exec, exec, s[0:1]
	v_add_co_u32_e32 v144, vcc, 6, v138
	v_addc_co_u32_e32 v145, vcc, 0, v139, vcc
	v_cmp_gt_i64_e32 vcc, s[12:13], v[144:145]
	v_pk_mov_b32 v[168:169], v[160:161], v[160:161] op_sel:[0,1]
	s_and_saveexec_b64 s[0:1], vcc
	s_cbranch_execz .LBB130_169
; %bb.168:                              ;   in Loop: Header=BB130_150 Depth=1
	v_accvgpr_read_b32 v128, a106
	v_add_co_u32_e32 v144, vcc, v128, v132
	v_accvgpr_read_b32 v129, a103
	v_addc_co_u32_e32 v145, vcc, v129, v133, vcc
	v_accvgpr_read_b32 v128, a108
	global_load_dwordx2 v[160:161], v[144:145], off
	v_add_co_u32_e32 v144, vcc, v128, v132
	v_accvgpr_read_b32 v129, a105
	v_addc_co_u32_e32 v145, vcc, v129, v133, vcc
	global_load_dwordx2 v[168:169], v[144:145], off
.LBB130_169:                            ;   in Loop: Header=BB130_150 Depth=1
	s_or_b64 exec, exec, s[0:1]
	v_add_co_u32_e32 v144, vcc, 7, v138
	v_addc_co_u32_e32 v145, vcc, 0, v139, vcc
	v_pk_mov_b32 v[166:167], 0, 0
	v_cmp_gt_i64_e32 vcc, s[12:13], v[144:145]
	v_pk_mov_b32 v[170:171], v[166:167], v[166:167] op_sel:[0,1]
	v_pk_mov_b32 v[172:173], v[166:167], v[166:167] op_sel:[0,1]
	s_and_saveexec_b64 s[0:1], vcc
	s_cbranch_execz .LBB130_171
; %bb.170:                              ;   in Loop: Header=BB130_150 Depth=1
	v_accvgpr_read_b32 v128, a102
	v_add_co_u32_e32 v144, vcc, v128, v132
	v_accvgpr_read_b32 v129, a99
	v_addc_co_u32_e32 v145, vcc, v129, v133, vcc
	v_accvgpr_read_b32 v128, a104
	global_load_dwordx2 v[170:171], v[144:145], off
	v_add_co_u32_e32 v144, vcc, v128, v132
	v_accvgpr_read_b32 v129, a101
	v_addc_co_u32_e32 v145, vcc, v129, v133, vcc
	global_load_dwordx2 v[172:173], v[144:145], off
.LBB130_171:                            ;   in Loop: Header=BB130_150 Depth=1
	s_or_b64 exec, exec, s[0:1]
	v_add_co_u32_e32 v144, vcc, 8, v138
	v_addc_co_u32_e32 v145, vcc, 0, v139, vcc
	v_cmp_gt_i64_e32 vcc, s[12:13], v[144:145]
	v_pk_mov_b32 v[176:177], v[166:167], v[166:167] op_sel:[0,1]
	s_and_saveexec_b64 s[0:1], vcc
	s_cbranch_execz .LBB130_173
; %bb.172:                              ;   in Loop: Header=BB130_150 Depth=1
	v_accvgpr_read_b32 v128, a98
	v_add_co_u32_e32 v144, vcc, v128, v132
	v_accvgpr_read_b32 v129, a95
	v_addc_co_u32_e32 v145, vcc, v129, v133, vcc
	v_accvgpr_read_b32 v128, a100
	global_load_dwordx2 v[166:167], v[144:145], off
	v_add_co_u32_e32 v144, vcc, v128, v132
	v_accvgpr_read_b32 v129, a97
	v_addc_co_u32_e32 v145, vcc, v129, v133, vcc
	global_load_dwordx2 v[176:177], v[144:145], off
.LBB130_173:                            ;   in Loop: Header=BB130_150 Depth=1
	s_or_b64 exec, exec, s[0:1]
	v_add_co_u32_e32 v144, vcc, 9, v138
	v_addc_co_u32_e32 v145, vcc, 0, v139, vcc
	v_pk_mov_b32 v[174:175], 0, 0
	v_cmp_gt_i64_e32 vcc, s[12:13], v[144:145]
	v_pk_mov_b32 v[144:145], v[174:175], v[174:175] op_sel:[0,1]
	v_pk_mov_b32 v[178:179], v[174:175], v[174:175] op_sel:[0,1]
	s_and_saveexec_b64 s[0:1], vcc
	s_cbranch_execz .LBB130_175
; %bb.174:                              ;   in Loop: Header=BB130_150 Depth=1
	v_accvgpr_read_b32 v128, a94
	v_add_co_u32_e32 v144, vcc, v128, v132
	v_accvgpr_read_b32 v129, a91
	v_addc_co_u32_e32 v145, vcc, v129, v133, vcc
	v_accvgpr_read_b32 v128, a96
	v_add_co_u32_e32 v146, vcc, v128, v132
	v_accvgpr_read_b32 v129, a93
	v_addc_co_u32_e32 v147, vcc, v129, v133, vcc
	global_load_dwordx2 v[144:145], v[144:145], off
	s_nop 0
	global_load_dwordx2 v[178:179], v[146:147], off
.LBB130_175:                            ;   in Loop: Header=BB130_150 Depth=1
	s_or_b64 exec, exec, s[0:1]
	v_add_co_u32_e32 v146, vcc, 10, v138
	v_addc_co_u32_e32 v147, vcc, 0, v139, vcc
	v_cmp_gt_i64_e32 vcc, s[12:13], v[146:147]
	v_pk_mov_b32 v[180:181], v[174:175], v[174:175] op_sel:[0,1]
	s_and_saveexec_b64 s[0:1], vcc
	s_cbranch_execz .LBB130_177
; %bb.176:                              ;   in Loop: Header=BB130_150 Depth=1
	v_accvgpr_read_b32 v128, a90
	v_add_co_u32_e32 v146, vcc, v128, v132
	v_accvgpr_read_b32 v129, a87
	v_addc_co_u32_e32 v147, vcc, v129, v133, vcc
	v_accvgpr_read_b32 v128, a92
	global_load_dwordx2 v[174:175], v[146:147], off
	v_add_co_u32_e32 v146, vcc, v128, v132
	v_accvgpr_read_b32 v129, a89
	v_addc_co_u32_e32 v147, vcc, v129, v133, vcc
	global_load_dwordx2 v[180:181], v[146:147], off
.LBB130_177:                            ;   in Loop: Header=BB130_150 Depth=1
	s_or_b64 exec, exec, s[0:1]
	v_add_co_u32_e32 v146, vcc, 11, v138
	v_addc_co_u32_e32 v147, vcc, 0, v139, vcc
	v_pk_mov_b32 v[182:183], 0, 0
	v_cmp_gt_i64_e32 vcc, s[12:13], v[146:147]
	v_pk_mov_b32 v[184:185], v[182:183], v[182:183] op_sel:[0,1]
	v_pk_mov_b32 v[186:187], v[182:183], v[182:183] op_sel:[0,1]
	s_and_saveexec_b64 s[0:1], vcc
	s_cbranch_execz .LBB130_179
; %bb.178:                              ;   in Loop: Header=BB130_150 Depth=1
	v_accvgpr_read_b32 v128, a86
	v_add_co_u32_e32 v146, vcc, v128, v132
	v_accvgpr_read_b32 v129, a83
	v_addc_co_u32_e32 v147, vcc, v129, v133, vcc
	v_accvgpr_read_b32 v128, a88
	global_load_dwordx2 v[184:185], v[146:147], off
	v_add_co_u32_e32 v146, vcc, v128, v132
	v_accvgpr_read_b32 v129, a85
	v_addc_co_u32_e32 v147, vcc, v129, v133, vcc
	global_load_dwordx2 v[186:187], v[146:147], off
.LBB130_179:                            ;   in Loop: Header=BB130_150 Depth=1
	s_or_b64 exec, exec, s[0:1]
	v_add_co_u32_e32 v146, vcc, 12, v138
	v_addc_co_u32_e32 v147, vcc, 0, v139, vcc
	v_cmp_gt_i64_e32 vcc, s[12:13], v[146:147]
	v_pk_mov_b32 v[190:191], v[182:183], v[182:183] op_sel:[0,1]
	s_and_saveexec_b64 s[0:1], vcc
	s_cbranch_execz .LBB130_181
; %bb.180:                              ;   in Loop: Header=BB130_150 Depth=1
	v_accvgpr_read_b32 v128, a82
	v_add_co_u32_e32 v146, vcc, v128, v132
	v_accvgpr_read_b32 v129, a79
	v_addc_co_u32_e32 v147, vcc, v129, v133, vcc
	v_accvgpr_read_b32 v128, a84
	global_load_dwordx2 v[182:183], v[146:147], off
	v_add_co_u32_e32 v146, vcc, v128, v132
	v_accvgpr_read_b32 v129, a81
	v_addc_co_u32_e32 v147, vcc, v129, v133, vcc
	global_load_dwordx2 v[190:191], v[146:147], off
.LBB130_181:                            ;   in Loop: Header=BB130_150 Depth=1
	s_or_b64 exec, exec, s[0:1]
	v_add_co_u32_e32 v146, vcc, 13, v138
	v_addc_co_u32_e32 v147, vcc, 0, v139, vcc
	v_pk_mov_b32 v[188:189], 0, 0
	v_cmp_gt_i64_e32 vcc, s[12:13], v[146:147]
	v_pk_mov_b32 v[192:193], v[188:189], v[188:189] op_sel:[0,1]
	v_pk_mov_b32 v[146:147], v[188:189], v[188:189] op_sel:[0,1]
	s_and_saveexec_b64 s[0:1], vcc
	s_cbranch_execz .LBB130_183
; %bb.182:                              ;   in Loop: Header=BB130_150 Depth=1
	v_accvgpr_read_b32 v128, a78
	v_add_co_u32_e32 v146, vcc, v128, v132
	v_accvgpr_read_b32 v129, a75
	v_addc_co_u32_e32 v147, vcc, v129, v133, vcc
	v_accvgpr_read_b32 v128, a80
	global_load_dwordx2 v[192:193], v[146:147], off
	v_add_co_u32_e32 v146, vcc, v128, v132
	v_accvgpr_read_b32 v129, a77
	v_addc_co_u32_e32 v147, vcc, v129, v133, vcc
	global_load_dwordx2 v[146:147], v[146:147], off
.LBB130_183:                            ;   in Loop: Header=BB130_150 Depth=1
	;; [unrolled: 40-line block ×5, first 2 shown]
	s_or_b64 exec, exec, s[0:1]
	v_add_co_u32_e32 v148, vcc, 20, v138
	v_addc_co_u32_e32 v149, vcc, 0, v139, vcc
	v_cmp_gt_i64_e32 vcc, s[12:13], v[148:149]
	v_pk_mov_b32 v[218:219], v[210:211], v[210:211] op_sel:[0,1]
	s_and_saveexec_b64 s[0:1], vcc
	s_cbranch_execz .LBB130_197
; %bb.196:                              ;   in Loop: Header=BB130_150 Depth=1
	v_accvgpr_read_b32 v128, a50
	v_add_co_u32_e32 v148, vcc, v128, v132
	v_accvgpr_read_b32 v129, a47
	v_addc_co_u32_e32 v149, vcc, v129, v133, vcc
	v_accvgpr_read_b32 v128, a52
	global_load_dwordx2 v[210:211], v[148:149], off
	v_add_co_u32_e32 v148, vcc, v128, v132
	v_accvgpr_read_b32 v129, a49
	v_addc_co_u32_e32 v149, vcc, v129, v133, vcc
	global_load_dwordx2 v[218:219], v[148:149], off
.LBB130_197:                            ;   in Loop: Header=BB130_150 Depth=1
	s_or_b64 exec, exec, s[0:1]
	v_add_co_u32_e32 v148, vcc, 21, v138
	v_addc_co_u32_e32 v149, vcc, 0, v139, vcc
	v_cmp_gt_i64_e32 vcc, s[12:13], v[148:149]
	v_pk_mov_b32 v[148:149], 0, 0
	v_pk_mov_b32 v[220:221], v[148:149], v[148:149] op_sel:[0,1]
	v_pk_mov_b32 v[222:223], v[148:149], v[148:149] op_sel:[0,1]
	s_and_saveexec_b64 s[0:1], vcc
	s_cbranch_execz .LBB130_199
; %bb.198:                              ;   in Loop: Header=BB130_150 Depth=1
	v_accvgpr_read_b32 v128, a46
	v_add_co_u32_e32 v152, vcc, v128, v132
	v_accvgpr_read_b32 v129, a43
	v_addc_co_u32_e32 v153, vcc, v129, v133, vcc
	v_accvgpr_read_b32 v128, a48
	global_load_dwordx2 v[220:221], v[152:153], off
	v_add_co_u32_e32 v152, vcc, v128, v132
	v_accvgpr_read_b32 v129, a45
	v_addc_co_u32_e32 v153, vcc, v129, v133, vcc
	global_load_dwordx2 v[222:223], v[152:153], off
.LBB130_199:                            ;   in Loop: Header=BB130_150 Depth=1
	s_or_b64 exec, exec, s[0:1]
	v_add_co_u32_e32 v152, vcc, 22, v138
	v_addc_co_u32_e32 v153, vcc, 0, v139, vcc
	v_cmp_gt_i64_e32 vcc, s[12:13], v[152:153]
	v_pk_mov_b32 v[224:225], v[148:149], v[148:149] op_sel:[0,1]
	s_and_saveexec_b64 s[0:1], vcc
	s_cbranch_execz .LBB130_201
; %bb.200:                              ;   in Loop: Header=BB130_150 Depth=1
	v_accvgpr_read_b32 v128, a42
	v_add_co_u32_e32 v148, vcc, v128, v132
	v_accvgpr_read_b32 v129, a39
	v_addc_co_u32_e32 v149, vcc, v129, v133, vcc
	v_accvgpr_read_b32 v128, a44
	v_add_co_u32_e32 v152, vcc, v128, v132
	v_accvgpr_read_b32 v129, a41
	v_addc_co_u32_e32 v153, vcc, v129, v133, vcc
	global_load_dwordx2 v[148:149], v[148:149], off
	s_nop 0
	global_load_dwordx2 v[224:225], v[152:153], off
.LBB130_201:                            ;   in Loop: Header=BB130_150 Depth=1
	s_or_b64 exec, exec, s[0:1]
	v_add_co_u32_e32 v152, vcc, 23, v138
	v_addc_co_u32_e32 v153, vcc, 0, v139, vcc
	v_pk_mov_b32 v[226:227], 0, 0
	v_cmp_gt_i64_e32 vcc, s[12:13], v[152:153]
	v_pk_mov_b32 v[228:229], v[226:227], v[226:227] op_sel:[0,1]
	v_pk_mov_b32 v[230:231], v[226:227], v[226:227] op_sel:[0,1]
	s_and_saveexec_b64 s[0:1], vcc
	s_cbranch_execz .LBB130_203
; %bb.202:                              ;   in Loop: Header=BB130_150 Depth=1
	v_accvgpr_read_b32 v128, a38
	v_add_co_u32_e32 v152, vcc, v128, v132
	v_accvgpr_read_b32 v129, a35
	v_addc_co_u32_e32 v153, vcc, v129, v133, vcc
	v_accvgpr_read_b32 v128, a40
	global_load_dwordx2 v[228:229], v[152:153], off
	v_add_co_u32_e32 v152, vcc, v128, v132
	v_accvgpr_read_b32 v129, a37
	v_addc_co_u32_e32 v153, vcc, v129, v133, vcc
	global_load_dwordx2 v[230:231], v[152:153], off
.LBB130_203:                            ;   in Loop: Header=BB130_150 Depth=1
	s_or_b64 exec, exec, s[0:1]
	v_add_co_u32_e32 v152, vcc, 24, v138
	v_addc_co_u32_e32 v153, vcc, 0, v139, vcc
	v_cmp_gt_i64_e32 vcc, s[12:13], v[152:153]
	v_pk_mov_b32 v[234:235], v[226:227], v[226:227] op_sel:[0,1]
	s_and_saveexec_b64 s[0:1], vcc
	s_cbranch_execz .LBB130_205
; %bb.204:                              ;   in Loop: Header=BB130_150 Depth=1
	v_accvgpr_read_b32 v128, a34
	v_add_co_u32_e32 v152, vcc, v128, v132
	v_accvgpr_read_b32 v129, a31
	v_addc_co_u32_e32 v153, vcc, v129, v133, vcc
	v_accvgpr_read_b32 v128, a36
	global_load_dwordx2 v[226:227], v[152:153], off
	v_add_co_u32_e32 v152, vcc, v128, v132
	v_accvgpr_read_b32 v129, a33
	v_addc_co_u32_e32 v153, vcc, v129, v133, vcc
	global_load_dwordx2 v[234:235], v[152:153], off
.LBB130_205:                            ;   in Loop: Header=BB130_150 Depth=1
	s_or_b64 exec, exec, s[0:1]
	v_add_co_u32_e32 v152, vcc, 25, v138
	v_addc_co_u32_e32 v153, vcc, 0, v139, vcc
	v_pk_mov_b32 v[232:233], 0, 0
	v_cmp_gt_i64_e32 vcc, s[12:13], v[152:153]
	v_pk_mov_b32 v[236:237], v[232:233], v[232:233] op_sel:[0,1]
	v_pk_mov_b32 v[238:239], v[232:233], v[232:233] op_sel:[0,1]
	s_and_saveexec_b64 s[0:1], vcc
	s_cbranch_execz .LBB130_207
; %bb.206:                              ;   in Loop: Header=BB130_150 Depth=1
	v_accvgpr_read_b32 v128, a30
	v_add_co_u32_e32 v152, vcc, v128, v132
	v_accvgpr_read_b32 v129, a27
	v_addc_co_u32_e32 v153, vcc, v129, v133, vcc
	v_accvgpr_read_b32 v128, a32
	global_load_dwordx2 v[236:237], v[152:153], off
	v_add_co_u32_e32 v152, vcc, v128, v132
	v_accvgpr_read_b32 v129, a29
	v_addc_co_u32_e32 v153, vcc, v129, v133, vcc
	global_load_dwordx2 v[238:239], v[152:153], off
.LBB130_207:                            ;   in Loop: Header=BB130_150 Depth=1
	s_or_b64 exec, exec, s[0:1]
	v_add_co_u32_e32 v152, vcc, 26, v138
	v_addc_co_u32_e32 v153, vcc, 0, v139, vcc
	v_cmp_gt_i64_e32 vcc, s[12:13], v[152:153]
	v_pk_mov_b32 v[242:243], v[232:233], v[232:233] op_sel:[0,1]
	s_and_saveexec_b64 s[0:1], vcc
	s_cbranch_execz .LBB130_209
; %bb.208:                              ;   in Loop: Header=BB130_150 Depth=1
	v_accvgpr_read_b32 v128, a26
	v_add_co_u32_e32 v152, vcc, v128, v132
	v_accvgpr_read_b32 v129, a23
	v_addc_co_u32_e32 v153, vcc, v129, v133, vcc
	v_accvgpr_read_b32 v128, a28
	global_load_dwordx2 v[232:233], v[152:153], off
	v_add_co_u32_e32 v152, vcc, v128, v132
	v_accvgpr_read_b32 v129, a25
	v_addc_co_u32_e32 v153, vcc, v129, v133, vcc
	global_load_dwordx2 v[242:243], v[152:153], off
.LBB130_209:                            ;   in Loop: Header=BB130_150 Depth=1
	;; [unrolled: 40-line block ×4, first 2 shown]
	s_or_b64 exec, exec, s[0:1]
	v_add_co_u32_e32 v156, vcc, 31, v138
	v_accvgpr_write_b32 a137, v127
	v_addc_co_u32_e32 v157, vcc, 0, v139, vcc
	v_accvgpr_write_b32 a136, v126
	v_cmp_gt_i64_e32 vcc, s[12:13], v[156:157]
	v_pk_mov_b32 v[156:157], 0, 0
	s_and_saveexec_b64 s[0:1], vcc
	s_cbranch_execz .LBB130_219
; %bb.218:                              ;   in Loop: Header=BB130_150 Depth=1
	v_accvgpr_read_b32 v128, a6
	v_add_co_u32_e32 v156, vcc, v128, v132
	v_accvgpr_read_b32 v129, a3
	v_addc_co_u32_e32 v157, vcc, v129, v133, vcc
	v_accvgpr_read_b32 v128, a8
	v_add_co_u32_e32 v128, vcc, v128, v132
	v_accvgpr_read_b32 v129, a5
	v_addc_co_u32_e32 v129, vcc, v129, v133, vcc
	global_load_dwordx2 v[156:157], v[156:157], off
	s_nop 0
	global_load_dwordx2 v[128:129], v[128:129], off
	s_waitcnt vmcnt(0)
	v_mul_f64 v[156:157], v[156:157], v[128:129]
.LBB130_219:                            ;   in Loop: Header=BB130_150 Depth=1
	s_or_b64 exec, exec, s[0:1]
	ds_bpermute_b32 v128, v0, v140
	ds_bpermute_b32 v129, v0, v141
	v_mul_f64 v[134:135], v[134:135], v[130:131]
	v_accvgpr_read_b32 v130, a130
	v_accvgpr_read_b32 v126, a132
	;; [unrolled: 1-line block ×3, first 2 shown]
	s_waitcnt lgkmcnt(0)
	v_fma_f64 v[134:135], v[134:135], v[128:129], v[136:137]
	ds_bpermute_b32 v128, v0, v140 offset:4
	ds_bpermute_b32 v129, v0, v141 offset:4
	v_accvgpr_read_b32 v127, a133
	v_mul_f64 v[130:131], v[130:131], v[126:127]
	v_accvgpr_read_b32 v126, a136
	v_accvgpr_read_b32 v127, a137
	s_waitcnt lgkmcnt(0)
	v_fmac_f64_e32 v[134:135], v[130:131], v[128:129]
	ds_bpermute_b32 v128, v0, v140 offset:8
	ds_bpermute_b32 v129, v0, v141 offset:8
	v_mul_f64 v[130:131], v[142:143], v[126:127]
	v_accvgpr_read_b32 v126, a138
	v_accvgpr_read_b32 v127, a139
	s_waitcnt lgkmcnt(0)
	v_fmac_f64_e32 v[134:135], v[130:131], v[128:129]
	ds_bpermute_b32 v128, v0, v140 offset:12
	ds_bpermute_b32 v129, v0, v141 offset:12
	v_accvgpr_read_b32 v130, a140
	v_accvgpr_read_b32 v131, a141
	v_mul_f64 v[130:131], v[126:127], v[130:131]
	s_waitcnt lgkmcnt(0)
	v_fmac_f64_e32 v[134:135], v[130:131], v[128:129]
	ds_bpermute_b32 v128, v0, v140 offset:16
	ds_bpermute_b32 v129, v0, v141 offset:16
	s_waitcnt vmcnt(0)
	v_mul_f64 v[130:131], v[150:151], v[158:159]
	s_waitcnt lgkmcnt(0)
	v_fmac_f64_e32 v[134:135], v[130:131], v[128:129]
	ds_bpermute_b32 v128, v0, v140 offset:20
	ds_bpermute_b32 v129, v0, v141 offset:20
	v_mul_f64 v[130:131], v[162:163], v[164:165]
	s_waitcnt lgkmcnt(0)
	v_fmac_f64_e32 v[134:135], v[130:131], v[128:129]
	ds_bpermute_b32 v128, v0, v140 offset:24
	ds_bpermute_b32 v129, v0, v141 offset:24
	;; [unrolled: 5-line block ×27, first 2 shown]
	s_waitcnt lgkmcnt(0)
	v_fmac_f64_e32 v[134:135], v[156:157], v[128:129]
	s_branch .LBB130_226
.LBB130_220:                            ;   in Loop: Header=BB130_150 Depth=1
                                        ; implicit-def: $vgpr134_vgpr135
	s_cbranch_execz .LBB130_226
; %bb.221:                              ;   in Loop: Header=BB130_150 Depth=1
	s_load_dword s0, s[10:11], 0x0
	v_accvgpr_read_b32 v129, a129
	v_accvgpr_read_b32 v130, a127
	v_pk_mov_b32 v[134:135], 0, 0
	s_waitcnt lgkmcnt(0)
	s_cmp_lt_u32 s6, s0
	s_cselect_b32 s0, 12, 18
	s_add_u32 s0, s10, s0
	s_addc_u32 s1, s11, 0
	global_load_ushort v128, v129, s[0:1]
	v_accvgpr_read_b32 v129, a1
	s_waitcnt vmcnt(0)
	v_mad_u32_u24 v128, v129, v128, v130
	v_and_b32_e32 v140, 63, v128
	v_cmp_gt_u32_e32 vcc, 32, v140
	s_and_saveexec_b64 s[0:1], vcc
	s_cbranch_execz .LBB130_225
; %bb.222:                              ;   in Loop: Header=BB130_150 Depth=1
	v_add_co_u32_e32 v138, vcc, v138, v140
	v_addc_co_u32_e32 v139, vcc, 0, v139, vcc
	v_cmp_gt_i64_e32 vcc, s[12:13], v[138:139]
	v_pk_mov_b32 v[134:135], 0, 0
	s_and_saveexec_b64 s[26:27], vcc
	s_cbranch_execz .LBB130_224
; %bb.223:                              ;   in Loop: Header=BB130_150 Depth=1
	v_lshlrev_b64 v[134:135], 3, v[138:139]
	v_mov_b32_e32 v128, s21
	v_add_co_u32_e32 v134, vcc, s20, v134
	v_addc_co_u32_e32 v135, vcc, v128, v135, vcc
	global_load_dwordx2 v[134:135], v[134:135], off
.LBB130_224:                            ;   in Loop: Header=BB130_150 Depth=1
	s_or_b64 exec, exec, s[26:27]
.LBB130_225:                            ;   in Loop: Header=BB130_150 Depth=1
	s_or_b64 exec, exec, s[0:1]
	v_accvgpr_read_b32 v128, a2
	v_add_co_u32_e32 v138, vcc, v128, v132
	v_addc_co_u32_e32 v139, vcc, v1, v133, vcc
	v_accvgpr_read_b32 v128, a4
	global_load_dwordx2 v[238:239], v[138:139], off
	v_add_co_u32_e32 v138, vcc, v128, v132
	v_accvgpr_read_b32 v127, a135
	v_addc_co_u32_e32 v139, vcc, v127, v133, vcc
	global_load_dwordx2 v[240:241], v[138:139], off
	v_add_co_u32_e32 v138, vcc, v2, v132
	v_addc_co_u32_e32 v139, vcc, v3, v133, vcc
	global_load_dwordx2 v[232:233], v[138:139], off
	v_add_co_u32_e32 v138, vcc, v22, v132
	v_addc_co_u32_e32 v139, vcc, v23, v133, vcc
	global_load_dwordx2 v[236:237], v[138:139], off
	v_add_co_u32_e32 v138, vcc, v4, v132
	v_addc_co_u32_e32 v139, vcc, v5, v133, vcc
	global_load_dwordx2 v[216:217], v[138:139], off
	v_add_co_u32_e32 v138, vcc, v24, v132
	v_addc_co_u32_e32 v139, vcc, v25, v133, vcc
	global_load_dwordx2 v[228:229], v[138:139], off
	v_add_co_u32_e32 v138, vcc, v6, v132
	v_addc_co_u32_e32 v139, vcc, v7, v133, vcc
	global_load_dwordx2 v[192:193], v[138:139], off
	v_add_co_u32_e32 v138, vcc, v26, v132
	v_addc_co_u32_e32 v139, vcc, v27, v133, vcc
	global_load_dwordx2 v[206:207], v[138:139], off
	v_add_co_u32_e32 v138, vcc, v8, v132
	v_addc_co_u32_e32 v139, vcc, v9, v133, vcc
	global_load_dwordx2 v[172:173], v[138:139], off
	v_add_co_u32_e32 v138, vcc, v30, v132
	v_addc_co_u32_e32 v139, vcc, v31, v133, vcc
	global_load_dwordx2 v[186:187], v[138:139], off
	v_add_co_u32_e32 v138, vcc, v10, v132
	v_addc_co_u32_e32 v139, vcc, v11, v133, vcc
	global_load_dwordx2 v[156:157], v[138:139], off
	v_add_co_u32_e32 v138, vcc, v32, v132
	v_addc_co_u32_e32 v139, vcc, v33, v133, vcc
	global_load_dwordx2 v[170:171], v[138:139], off
	v_add_co_u32_e32 v138, vcc, v12, v132
	v_addc_co_u32_e32 v139, vcc, v13, v133, vcc
	v_add_co_u32_e32 v140, vcc, v34, v132
	v_addc_co_u32_e32 v141, vcc, v35, v133, vcc
	global_load_dwordx2 v[146:147], v[140:141], off
	v_add_co_u32_e32 v140, vcc, v14, v132
	v_addc_co_u32_e32 v141, vcc, v15, v133, vcc
	v_add_co_u32_e32 v142, vcc, v36, v132
	v_addc_co_u32_e32 v143, vcc, v37, v133, vcc
	global_load_dwordx2 v[148:149], v[142:143], off
	v_add_co_u32_e32 v142, vcc, v16, v132
	v_addc_co_u32_e32 v143, vcc, v17, v133, vcc
	global_load_dwordx2 v[144:145], v[142:143], off
	v_add_co_u32_e32 v142, vcc, v38, v132
	v_addc_co_u32_e32 v143, vcc, v39, v133, vcc
	global_load_dwordx2 v[158:159], v[142:143], off
	v_add_co_u32_e32 v142, vcc, v18, v132
	v_addc_co_u32_e32 v143, vcc, v19, v133, vcc
	v_add_co_u32_e32 v150, vcc, v42, v132
	v_addc_co_u32_e32 v151, vcc, v43, v133, vcc
	v_add_co_u32_e32 v152, vcc, v20, v132
	v_addc_co_u32_e32 v153, vcc, v21, v133, vcc
	v_add_co_u32_e32 v154, vcc, v44, v132
	v_addc_co_u32_e32 v155, vcc, v45, v133, vcc
	global_load_dwordx2 v[162:163], v[154:155], off
	v_add_co_u32_e32 v154, vcc, v28, v132
	v_addc_co_u32_e32 v155, vcc, v29, v133, vcc
	global_load_dwordx2 v[160:161], v[154:155], off
	v_add_co_u32_e32 v154, vcc, v46, v132
	v_addc_co_u32_e32 v155, vcc, v47, v133, vcc
	global_load_dwordx2 v[174:175], v[154:155], off
	v_add_co_u32_e32 v154, vcc, v40, v132
	v_addc_co_u32_e32 v155, vcc, v41, v133, vcc
	v_add_co_u32_e32 v164, vcc, v48, v132
	v_addc_co_u32_e32 v165, vcc, v49, v133, vcc
	;; [unrolled: 15-line block ×3, first 2 shown]
	v_add_co_u32_e32 v182, vcc, v62, v132
	v_addc_co_u32_e32 v183, vcc, v63, v133, vcc
	v_add_co_u32_e32 v184, vcc, v64, v132
	v_addc_co_u32_e32 v185, vcc, v65, v133, vcc
	global_load_dwordx2 v[138:139], v[138:139], off
	s_waitcnt vmcnt(23)
	ds_bpermute_b32 v242, v0, v134
	global_load_dwordx2 v[194:195], v[184:185], off
	v_add_co_u32_e32 v184, vcc, v66, v132
	v_addc_co_u32_e32 v185, vcc, v67, v133, vcc
	global_load_dwordx2 v[190:191], v[184:185], off
	v_add_co_u32_e32 v184, vcc, v68, v132
	v_addc_co_u32_e32 v185, vcc, v69, v133, vcc
	global_load_dwordx2 v[140:141], v[140:141], off
	ds_bpermute_b32 v243, v0, v135
	global_load_dwordx2 v[202:203], v[184:185], off
	v_add_co_u32_e32 v184, vcc, v70, v132
	v_addc_co_u32_e32 v185, vcc, v71, v133, vcc
	v_add_co_u32_e32 v196, vcc, v72, v132
	v_addc_co_u32_e32 v197, vcc, v73, v133, vcc
	;; [unrolled: 2-line block ×3, first 2 shown]
	global_load_dwordx2 v[142:143], v[142:143], off
	v_add_co_u32_e32 v200, vcc, v76, v132
	global_load_dwordx2 v[150:151], v[150:151], off
	v_addc_co_u32_e32 v201, vcc, v77, v133, vcc
	global_load_dwordx2 v[152:153], v[152:153], off
	s_waitcnt vmcnt(28)
	v_mul_f64 v[240:241], v[238:239], v[240:241]
	global_load_dwordx2 v[208:209], v[200:201], off
	v_add_co_u32_e32 v200, vcc, v78, v132
	v_addc_co_u32_e32 v201, vcc, v79, v133, vcc
	global_load_dwordx2 v[204:205], v[200:201], off
	v_add_co_u32_e32 v200, vcc, v80, v132
	v_addc_co_u32_e32 v201, vcc, v81, v133, vcc
	global_load_dwordx2 v[218:219], v[200:201], off
	v_add_co_u32_e32 v200, vcc, v82, v132
	global_load_dwordx2 v[154:155], v[154:155], off
	v_addc_co_u32_e32 v201, vcc, v83, v133, vcc
	global_load_dwordx2 v[164:165], v[164:165], off
	v_add_co_u32_e32 v210, vcc, v84, v132
	global_load_dwordx2 v[166:167], v[166:167], off
	v_addc_co_u32_e32 v211, vcc, v85, v133, vcc
	v_add_co_u32_e32 v212, vcc, v86, v132
	v_addc_co_u32_e32 v213, vcc, v87, v133, vcc
	v_add_co_u32_e32 v214, vcc, v88, v132
	v_addc_co_u32_e32 v215, vcc, v89, v133, vcc
	global_load_dwordx2 v[168:169], v[168:169], off
	s_waitcnt lgkmcnt(0)
	v_fmac_f64_e32 v[136:137], v[240:241], v[242:243]
	global_load_dwordx2 v[180:181], v[180:181], off
	ds_bpermute_b32 v242, v0, v134 offset:4
	global_load_dwordx2 v[222:223], v[214:215], off
	v_add_co_u32_e32 v214, vcc, v90, v132
	global_load_dwordx2 v[182:183], v[182:183], off
	v_addc_co_u32_e32 v215, vcc, v91, v133, vcc
	global_load_dwordx2 v[220:221], v[214:215], off
	v_add_co_u32_e32 v214, vcc, v92, v132
	v_addc_co_u32_e32 v215, vcc, v93, v133, vcc
	global_load_dwordx2 v[230:231], v[214:215], off
	v_add_co_u32_e32 v214, vcc, v94, v132
	v_addc_co_u32_e32 v215, vcc, v95, v133, vcc
	v_add_co_u32_e32 v224, vcc, v96, v132
	global_load_dwordx2 v[184:185], v[184:185], off
	v_addc_co_u32_e32 v225, vcc, v97, v133, vcc
	global_load_dwordx2 v[196:197], v[196:197], off
	v_add_co_u32_e32 v226, vcc, v98, v132
	global_load_dwordx2 v[198:199], v[198:199], off
	v_addc_co_u32_e32 v227, vcc, v99, v133, vcc
	ds_bpermute_b32 v243, v0, v135 offset:4
	v_add_co_u32_e32 v234, vcc, v100, v132
	v_addc_co_u32_e32 v235, vcc, v101, v133, vcc
	v_add_co_u32_e32 v238, vcc, v102, v132
	v_addc_co_u32_e32 v239, vcc, v103, v133, vcc
	s_waitcnt vmcnt(41)
	v_mul_f64 v[236:237], v[232:233], v[236:237]
	global_load_dwordx2 v[200:201], v[200:201], off
	v_add_co_u32_e32 v240, vcc, v104, v132
	global_load_dwordx2 v[210:211], v[210:211], off
	s_waitcnt lgkmcnt(0)
	v_fmac_f64_e32 v[136:137], v[236:237], v[242:243]
	ds_bpermute_b32 v242, v0, v134 offset:8
	ds_bpermute_b32 v243, v0, v135 offset:8
	global_load_dwordx2 v[212:213], v[212:213], off
	v_addc_co_u32_e32 v241, vcc, v105, v133, vcc
	v_add_co_u32_e32 v232, vcc, v106, v132
	v_addc_co_u32_e32 v233, vcc, v107, v133, vcc
	v_add_co_u32_e32 v236, vcc, v108, v132
	s_waitcnt vmcnt(42)
	v_mul_f64 v[216:217], v[216:217], v[228:229]
	v_addc_co_u32_e32 v237, vcc, v109, v133, vcc
	s_waitcnt lgkmcnt(0)
	v_fmac_f64_e32 v[136:137], v[216:217], v[242:243]
	ds_bpermute_b32 v242, v0, v134 offset:12
	ds_bpermute_b32 v243, v0, v135 offset:12
	v_add_co_u32_e32 v228, vcc, v110, v132
	global_load_dwordx2 v[214:215], v[214:215], off
	v_addc_co_u32_e32 v229, vcc, v111, v133, vcc
	global_load_dwordx2 v[224:225], v[224:225], off
	v_add_co_u32_e32 v216, vcc, v112, v132
	global_load_dwordx2 v[226:227], v[226:227], off
	v_addc_co_u32_e32 v217, vcc, v113, v133, vcc
	global_load_dwordx2 v[234:235], v[234:235], off
	s_waitcnt vmcnt(44)
	v_mul_f64 v[192:193], v[192:193], v[206:207]
	v_add_co_u32_e32 v206, vcc, v114, v132
	s_waitcnt lgkmcnt(0)
	v_fmac_f64_e32 v[136:137], v[192:193], v[242:243]
	ds_bpermute_b32 v242, v0, v134 offset:16
	ds_bpermute_b32 v243, v0, v135 offset:16
	v_addc_co_u32_e32 v207, vcc, v115, v133, vcc
	v_add_co_u32_e32 v192, vcc, v116, v132
	global_load_dwordx2 v[238:239], v[238:239], off
	v_addc_co_u32_e32 v193, vcc, v117, v133, vcc
	global_load_dwordx2 v[240:241], v[240:241], off
	s_waitcnt vmcnt(44)
	v_mul_f64 v[172:173], v[172:173], v[186:187]
	global_load_dwordx2 v[232:233], v[232:233], off
	v_add_co_u32_e32 v186, vcc, v118, v132
	global_load_dwordx2 v[236:237], v[236:237], off
	v_addc_co_u32_e32 v187, vcc, v119, v133, vcc
	global_load_dwordx2 v[228:229], v[228:229], off
	s_waitcnt lgkmcnt(0)
	v_fmac_f64_e32 v[136:137], v[172:173], v[242:243]
	global_load_dwordx2 v[216:217], v[216:217], off
	ds_bpermute_b32 v242, v0, v134 offset:20
	ds_bpermute_b32 v243, v0, v135 offset:20
	v_add_co_u32_e32 v172, vcc, v120, v132
	v_addc_co_u32_e32 v173, vcc, v121, v133, vcc
	s_waitcnt vmcnt(46)
	v_mul_f64 v[156:157], v[156:157], v[170:171]
	v_add_co_u32_e32 v170, vcc, v122, v132
	v_addc_co_u32_e32 v171, vcc, v123, v133, vcc
	global_load_dwordx2 v[206:207], v[206:207], off
	s_waitcnt lgkmcnt(0)
	v_fmac_f64_e32 v[136:137], v[156:157], v[242:243]
	global_load_dwordx2 v[192:193], v[192:193], off
	v_add_co_u32_e32 v242, vcc, v124, v132
	global_load_dwordx2 v[186:187], v[186:187], off
	v_addc_co_u32_e32 v243, vcc, v125, v133, vcc
	global_load_dwordx2 v[172:173], v[172:173], off
	ds_bpermute_b32 v156, v0, v134 offset:24
	global_load_dwordx2 v[170:171], v[170:171], off
	ds_bpermute_b32 v157, v0, v135 offset:24
	global_load_dwordx2 v[242:243], v[242:243], off
	s_waitcnt vmcnt(41)
	v_mul_f64 v[138:139], v[138:139], v[146:147]
	ds_bpermute_b32 v146, v0, v134 offset:28
	ds_bpermute_b32 v147, v0, v135 offset:28
	s_waitcnt lgkmcnt(2)
	v_fmac_f64_e32 v[136:137], v[138:139], v[156:157]
	s_waitcnt vmcnt(38)
	v_mul_f64 v[138:139], v[140:141], v[148:149]
	v_mul_f64 v[140:141], v[144:145], v[158:159]
	ds_bpermute_b32 v144, v0, v134 offset:36
	s_waitcnt lgkmcnt(1)
	v_fmac_f64_e32 v[136:137], v[138:139], v[146:147]
	ds_bpermute_b32 v138, v0, v134 offset:32
	ds_bpermute_b32 v139, v0, v135 offset:32
	;; [unrolled: 1-line block ×5, first 2 shown]
	s_waitcnt lgkmcnt(3)
	v_fmac_f64_e32 v[136:137], v[140:141], v[138:139]
	s_waitcnt vmcnt(35)
	v_mul_f64 v[138:139], v[142:143], v[150:151]
	s_waitcnt lgkmcnt(2)
	v_fmac_f64_e32 v[136:137], v[138:139], v[144:145]
	s_waitcnt vmcnt(34)
	v_mul_f64 v[138:139], v[152:153], v[162:163]
	s_waitcnt lgkmcnt(0)
	v_fmac_f64_e32 v[136:137], v[138:139], v[146:147]
	ds_bpermute_b32 v138, v0, v134 offset:44
	ds_bpermute_b32 v139, v0, v135 offset:44
	ds_bpermute_b32 v142, v0, v134 offset:48
	ds_bpermute_b32 v143, v0, v135 offset:48
	ds_bpermute_b32 v144, v0, v134 offset:52
	ds_bpermute_b32 v145, v0, v135 offset:52
	v_mul_f64 v[140:141], v[160:161], v[174:175]
	s_waitcnt lgkmcnt(4)
	v_fmac_f64_e32 v[136:137], v[140:141], v[138:139]
	s_waitcnt vmcnt(29)
	v_mul_f64 v[138:139], v[154:155], v[164:165]
	s_waitcnt lgkmcnt(2)
	v_fmac_f64_e32 v[136:137], v[138:139], v[142:143]
	s_waitcnt vmcnt(28)
	v_mul_f64 v[138:139], v[166:167], v[178:179]
	s_waitcnt lgkmcnt(0)
	v_fmac_f64_e32 v[136:137], v[138:139], v[144:145]
	ds_bpermute_b32 v138, v0, v134 offset:56
	ds_bpermute_b32 v139, v0, v135 offset:56
	ds_bpermute_b32 v142, v0, v134 offset:60
	ds_bpermute_b32 v143, v0, v135 offset:60
	ds_bpermute_b32 v144, v0, v134 offset:64
	ds_bpermute_b32 v145, v0, v135 offset:64
	v_mul_f64 v[140:141], v[176:177], v[188:189]
	;; [unrolled: 17-line block ×5, first 2 shown]
	s_waitcnt lgkmcnt(4)
	v_fmac_f64_e32 v[136:137], v[140:141], v[138:139]
	s_waitcnt vmcnt(14)
	v_mul_f64 v[138:139], v[214:215], v[224:225]
	s_waitcnt lgkmcnt(2)
	v_fmac_f64_e32 v[136:137], v[138:139], v[142:143]
	s_waitcnt vmcnt(12)
	v_mul_f64 v[138:139], v[226:227], v[234:235]
	s_waitcnt lgkmcnt(0)
	v_fmac_f64_e32 v[136:137], v[138:139], v[144:145]
	ds_bpermute_b32 v138, v0, v134 offset:104
	ds_bpermute_b32 v139, v0, v135 offset:104
	;; [unrolled: 1-line block ×6, first 2 shown]
	s_waitcnt vmcnt(10)
	v_mul_f64 v[140:141], v[238:239], v[240:241]
	s_waitcnt lgkmcnt(4)
	v_fmac_f64_e32 v[136:137], v[140:141], v[138:139]
	s_waitcnt vmcnt(8)
	v_mul_f64 v[138:139], v[232:233], v[236:237]
	s_waitcnt lgkmcnt(2)
	v_fmac_f64_e32 v[136:137], v[138:139], v[142:143]
	s_waitcnt vmcnt(6)
	v_mul_f64 v[138:139], v[228:229], v[216:217]
	s_waitcnt lgkmcnt(0)
	v_fmac_f64_e32 v[136:137], v[138:139], v[144:145]
	ds_bpermute_b32 v138, v0, v134 offset:116
	ds_bpermute_b32 v139, v0, v135 offset:116
	;; [unrolled: 1-line block ×6, first 2 shown]
	s_waitcnt vmcnt(4)
	v_mul_f64 v[140:141], v[206:207], v[192:193]
	s_waitcnt lgkmcnt(4)
	v_fmac_f64_e32 v[136:137], v[140:141], v[138:139]
	s_waitcnt vmcnt(2)
	v_mul_f64 v[138:139], v[186:187], v[172:173]
	s_waitcnt lgkmcnt(2)
	v_fmac_f64_e32 v[136:137], v[138:139], v[142:143]
	;; [unrolled: 4-line block ×3, first 2 shown]
	v_pk_mov_b32 v[134:135], v[136:137], v[136:137] op_sel:[0,1]
.LBB130_226:                            ;   in Loop: Header=BB130_150 Depth=1
	v_accvgpr_read_b32 v126, a128
	v_add_co_u32_e32 v126, vcc, s7, v126
	v_mov_b32_e32 v128, s9
	v_addc_co_u32_e32 v253, vcc, v253, v128, vcc
	v_add_co_u32_e32 v2, vcc, s16, v2
	v_mov_b32_e32 v128, s17
	v_addc_co_u32_e32 v3, vcc, v3, v128, vcc
	v_add_co_u32_e32 v4, vcc, s16, v4
	v_addc_co_u32_e32 v5, vcc, v5, v128, vcc
	v_add_co_u32_e32 v6, vcc, s16, v6
	;; [unrolled: 2-line block ×30, first 2 shown]
	v_addc_co_u32_e32 v123, vcc, v123, v128, vcc
	v_accvgpr_read_b32 v130, a2
	v_add_co_u32_e32 v130, vcc, s16, v130
	v_addc_co_u32_e32 v1, vcc, v1, v128, vcc
	v_add_co_u32_e32 v22, vcc, s16, v22
	v_addc_co_u32_e32 v23, vcc, v23, v128, vcc
	;; [unrolled: 2-line block ×31, first 2 shown]
	v_add_co_u32_e32 v124, vcc, s16, v124
	v_accvgpr_write_b32 a2, v130
	v_addc_co_u32_e32 v125, vcc, v125, v128, vcc
	v_accvgpr_read_b32 v130, a4
	v_add_co_u32_e32 v130, vcc, s16, v130
	v_accvgpr_read_b32 v127, a135
	v_accvgpr_write_b32 a4, v130
	v_addc_co_u32_e32 v127, vcc, v127, v128, vcc
	v_accvgpr_read_b32 v130, a6
	v_add_co_u32_e32 v130, vcc, s16, v130
	v_accvgpr_read_b32 v129, a3
	v_accvgpr_write_b32 a6, v130
	v_addc_co_u32_e32 v129, vcc, v129, v128, vcc
	v_accvgpr_read_b32 v130, a8
	v_accvgpr_write_b32 a3, v129
	v_add_co_u32_e32 v130, vcc, s16, v130
	v_accvgpr_read_b32 v129, a5
	v_accvgpr_write_b32 a8, v130
	v_addc_co_u32_e32 v129, vcc, v129, v128, vcc
	v_accvgpr_read_b32 v130, a10
	v_accvgpr_write_b32 a5, v129
	;; [unrolled: 6-line block ×59, first 2 shown]
	v_add_co_u32_e32 v130, vcc, s16, v130
	v_accvgpr_read_b32 v129, a121
	v_addc_co_u32_e32 v129, vcc, v129, v128, vcc
	v_accvgpr_write_b32 a121, v129
	v_add_co_u32_e32 v252, vcc, s16, v252
	v_accvgpr_read_b32 v129, a123
	v_accvgpr_write_b32 a124, v130
	v_addc_co_u32_e32 v129, vcc, v129, v128, vcc
	v_accvgpr_read_b32 v130, a126
	v_accvgpr_write_b32 a123, v129
	v_add_co_u32_e32 v130, vcc, s16, v130
	v_accvgpr_read_b32 v129, a125
	s_add_u32 s24, s24, s7
	v_addc_co_u32_e32 v129, vcc, v129, v128, vcc
	s_addc_u32 s25, s25, 0
	v_accvgpr_write_b32 a125, v129
	v_pk_mov_b32 v[128:129], s[12:13], s[12:13] op_sel:[0,1]
	s_add_u32 s18, s18, s7
	v_cmp_ge_i64_e32 vcc, s[24:25], v[128:129]
	s_addc_u32 s19, s19, 0
	s_cbranch_vccnz .LBB130_228
; %bb.227:                              ;   in Loop: Header=BB130_150 Depth=1
	v_accvgpr_write_b32 a128, v126
	v_accvgpr_write_b32 a135, v127
	;; [unrolled: 1-line block ×3, first 2 shown]
	v_pk_mov_b32 v[136:137], v[134:135], v[134:135] op_sel:[0,1]
	s_branch .LBB130_150
.LBB130_228:
	v_accvgpr_read_b32 v132, a0
.LBB130_229:
	s_mov_b32 s7, 0
	s_lshl_b64 s[0:1], s[6:7], 5
	v_and_b32_e32 v0, 0x3ff, v132
	v_or_b32_e32 v2, s0, v0
	v_mov_b32_e32 v3, s1
	s_waitcnt lgkmcnt(0)
	s_cmp_lg_u64 s[2:3], 0
	v_cmp_gt_i64_e32 vcc, s[14:15], v[2:3]
	s_cselect_b64 s[0:1], -1, 0
	s_and_b64 s[0:1], vcc, s[0:1]
	s_and_saveexec_b64 s[6:7], s[0:1]
	s_cbranch_execz .LBB130_231
; %bb.230:
	s_load_dword s0, s[4:5], 0x4c
	v_bfe_u32 v0, v132, 10, 10
	v_mov_b32_e32 v1, 0
	v_mov_b32_e32 v4, s8
	s_waitcnt lgkmcnt(0)
	s_lshr_b32 s0, s0, 16
	v_mad_u64_u32 v[0:1], s[0:1], s0, v4, v[0:1]
	v_mul_lo_u32 v4, v1, s14
	v_mul_lo_u32 v5, v0, s15
	v_mad_u64_u32 v[0:1], s[0:1], v0, s14, 0
	v_add3_u32 v1, v1, v5, v4
	v_lshlrev_b64 v[0:1], 3, v[0:1]
	v_mov_b32_e32 v4, s3
	v_add_co_u32_e32 v5, vcc, s2, v0
	v_addc_co_u32_e32 v4, vcc, v4, v1, vcc
	v_lshlrev_b64 v[0:1], 3, v[2:3]
	v_add_co_u32_e32 v0, vcc, v5, v0
	v_addc_co_u32_e32 v1, vcc, v4, v1, vcc
	global_store_dwordx2 v[0:1], v[134:135], off
.LBB130_231:
	s_endpgm
	.section	.rodata,"a",@progbits
	.p2align	6, 0x0
	.amdhsa_kernel _ZN2at6native12_GLOBAL__N_135GammaBetaBackwardCUDAKernelTemplateIddLj32ELj1ELj32ELb1ELb0ELb1EEEvllPKT_S5_PKT0_S8_PS3_S9_
		.amdhsa_group_segment_fixed_size 0
		.amdhsa_private_segment_fixed_size 0
		.amdhsa_kernarg_size 320
		.amdhsa_user_sgpr_count 6
		.amdhsa_user_sgpr_private_segment_buffer 1
		.amdhsa_user_sgpr_dispatch_ptr 0
		.amdhsa_user_sgpr_queue_ptr 0
		.amdhsa_user_sgpr_kernarg_segment_ptr 1
		.amdhsa_user_sgpr_dispatch_id 0
		.amdhsa_user_sgpr_flat_scratch_init 0
		.amdhsa_user_sgpr_kernarg_preload_length 0
		.amdhsa_user_sgpr_kernarg_preload_offset 0
		.amdhsa_user_sgpr_private_segment_size 0
		.amdhsa_uses_dynamic_stack 0
		.amdhsa_system_sgpr_private_segment_wavefront_offset 0
		.amdhsa_system_sgpr_workgroup_id_x 1
		.amdhsa_system_sgpr_workgroup_id_y 1
		.amdhsa_system_sgpr_workgroup_id_z 0
		.amdhsa_system_sgpr_workgroup_info 0
		.amdhsa_system_vgpr_workitem_id 1
		.amdhsa_next_free_vgpr 398
		.amdhsa_next_free_sgpr 36
		.amdhsa_accum_offset 256
		.amdhsa_reserve_vcc 1
		.amdhsa_reserve_flat_scratch 0
		.amdhsa_float_round_mode_32 0
		.amdhsa_float_round_mode_16_64 0
		.amdhsa_float_denorm_mode_32 3
		.amdhsa_float_denorm_mode_16_64 3
		.amdhsa_dx10_clamp 1
		.amdhsa_ieee_mode 1
		.amdhsa_fp16_overflow 0
		.amdhsa_tg_split 0
		.amdhsa_exception_fp_ieee_invalid_op 0
		.amdhsa_exception_fp_denorm_src 0
		.amdhsa_exception_fp_ieee_div_zero 0
		.amdhsa_exception_fp_ieee_overflow 0
		.amdhsa_exception_fp_ieee_underflow 0
		.amdhsa_exception_fp_ieee_inexact 0
		.amdhsa_exception_int_div_zero 0
	.end_amdhsa_kernel
	.section	.text._ZN2at6native12_GLOBAL__N_135GammaBetaBackwardCUDAKernelTemplateIddLj32ELj1ELj32ELb1ELb0ELb1EEEvllPKT_S5_PKT0_S8_PS3_S9_,"axG",@progbits,_ZN2at6native12_GLOBAL__N_135GammaBetaBackwardCUDAKernelTemplateIddLj32ELj1ELj32ELb1ELb0ELb1EEEvllPKT_S5_PKT0_S8_PS3_S9_,comdat
.Lfunc_end130:
	.size	_ZN2at6native12_GLOBAL__N_135GammaBetaBackwardCUDAKernelTemplateIddLj32ELj1ELj32ELb1ELb0ELb1EEEvllPKT_S5_PKT0_S8_PS3_S9_, .Lfunc_end130-_ZN2at6native12_GLOBAL__N_135GammaBetaBackwardCUDAKernelTemplateIddLj32ELj1ELj32ELb1ELb0ELb1EEEvllPKT_S5_PKT0_S8_PS3_S9_
                                        ; -- End function
	.section	.AMDGPU.csdata,"",@progbits
; Kernel info:
; codeLenInByte = 25972
; NumSgprs: 40
; NumVgprs: 256
; NumAgprs: 142
; TotalNumVgprs: 398
; ScratchSize: 0
; MemoryBound: 1
; FloatMode: 240
; IeeeMode: 1
; LDSByteSize: 0 bytes/workgroup (compile time only)
; SGPRBlocks: 4
; VGPRBlocks: 49
; NumSGPRsForWavesPerEU: 40
; NumVGPRsForWavesPerEU: 398
; AccumOffset: 256
; Occupancy: 1
; WaveLimiterHint : 0
; COMPUTE_PGM_RSRC2:SCRATCH_EN: 0
; COMPUTE_PGM_RSRC2:USER_SGPR: 6
; COMPUTE_PGM_RSRC2:TRAP_HANDLER: 0
; COMPUTE_PGM_RSRC2:TGID_X_EN: 1
; COMPUTE_PGM_RSRC2:TGID_Y_EN: 1
; COMPUTE_PGM_RSRC2:TGID_Z_EN: 0
; COMPUTE_PGM_RSRC2:TIDIG_COMP_CNT: 1
; COMPUTE_PGM_RSRC3_GFX90A:ACCUM_OFFSET: 63
; COMPUTE_PGM_RSRC3_GFX90A:TG_SPLIT: 0
	.section	.text._ZN2at6native12_GLOBAL__N_135GammaBetaBackwardCUDAKernelTemplateIddLj32ELj1ELj8ELb1ELb1ELb1EEEvllPKT_S5_PKT0_S8_PS3_S9_,"axG",@progbits,_ZN2at6native12_GLOBAL__N_135GammaBetaBackwardCUDAKernelTemplateIddLj32ELj1ELj8ELb1ELb1ELb1EEEvllPKT_S5_PKT0_S8_PS3_S9_,comdat
	.globl	_ZN2at6native12_GLOBAL__N_135GammaBetaBackwardCUDAKernelTemplateIddLj32ELj1ELj8ELb1ELb1ELb1EEEvllPKT_S5_PKT0_S8_PS3_S9_ ; -- Begin function _ZN2at6native12_GLOBAL__N_135GammaBetaBackwardCUDAKernelTemplateIddLj32ELj1ELj8ELb1ELb1ELb1EEEvllPKT_S5_PKT0_S8_PS3_S9_
	.p2align	8
	.type	_ZN2at6native12_GLOBAL__N_135GammaBetaBackwardCUDAKernelTemplateIddLj32ELj1ELj8ELb1ELb1ELb1EEEvllPKT_S5_PKT0_S8_PS3_S9_,@function
_ZN2at6native12_GLOBAL__N_135GammaBetaBackwardCUDAKernelTemplateIddLj32ELj1ELj8ELb1ELb1ELb1EEEvllPKT_S5_PKT0_S8_PS3_S9_: ; @_ZN2at6native12_GLOBAL__N_135GammaBetaBackwardCUDAKernelTemplateIddLj32ELj1ELj8ELb1ELb1ELb1EEEvllPKT_S5_PKT0_S8_PS3_S9_
; %bb.0:
	s_load_dwordx4 s[8:11], s[4:5], 0x0
	s_load_dwordx2 s[16:17], s[4:5], 0x30
	s_lshl_b32 s18, s7, 3
	s_mov_b32 s19, 0
	s_mov_b32 s2, s7
	s_waitcnt lgkmcnt(0)
	v_pk_mov_b32 v[2:3], s[8:9], s[8:9] op_sel:[0,1]
	v_cmp_ge_i64_e32 vcc, s[18:19], v[2:3]
	v_pk_mov_b32 v[4:5], 0, 0
	v_bfe_u32 v2, v0, 10, 10
	s_cbranch_vccnz .LBB131_7
; %bb.1:
	s_load_dword s0, s[4:5], 0x4c
	s_load_dword s3, s[4:5], 0x44
	s_load_dwordx4 s[12:15], s[4:5], 0x10
	s_load_dwordx2 s[22:23], s[4:5], 0x28
	v_and_b32_e32 v1, 0x3ff, v0
	s_waitcnt lgkmcnt(0)
	s_and_b32 s0, s0, 0xffff
	v_mad_u32_u24 v3, v2, s0, v1
	v_lshl_or_b32 v4, s6, 5, v1
	v_mbcnt_lo_u32_b32 v1, -1, 0
	v_mbcnt_hi_u32_b32 v1, -1, v1
	v_lshlrev_b32_e32 v7, 3, v2
	v_lshlrev_b32_e32 v1, 2, v1
	v_and_b32_e32 v6, 63, v3
	v_and_b32_e32 v3, 0x100, v1
	v_mov_b32_e32 v1, s19
	v_add_co_u32_e32 v10, vcc, s18, v7
	v_addc_co_u32_e32 v1, vcc, 0, v1, vcc
	v_cmp_gt_u32_e64 s[0:1], 8, v6
	v_add_co_u32_e32 v6, vcc, v10, v6
	v_addc_co_u32_e32 v7, vcc, 0, v1, vcc
	v_lshlrev_b64 v[8:9], 3, v[6:7]
	v_mov_b32_e32 v12, s23
	v_add_co_u32_e32 v8, vcc, s22, v8
	v_addc_co_u32_e32 v9, vcc, v12, v9, vcc
	v_mul_lo_u32 v14, s11, v10
	v_mul_lo_u32 v1, s10, v1
	v_mad_u64_u32 v[12:13], s[24:25], s10, v10, 0
	v_mov_b32_e32 v5, 0
	s_lshl_b32 s20, s3, 3
	v_add3_u32 v13, v13, v1, v14
	v_lshlrev_b64 v[12:13], 3, v[12:13]
	v_lshlrev_b64 v[4:5], 3, v[4:5]
	s_mul_i32 s3, s11, s20
	s_mul_hi_u32 s7, s10, s20
	s_mov_b32 s21, s19
	v_add_co_u32_e32 v10, vcc, v12, v4
	s_add_i32 s25, s7, s3
	s_mul_i32 s24, s10, s20
	s_lshl_b64 s[22:23], s[20:21], 3
	v_addc_co_u32_e32 v1, vcc, v13, v5, vcc
	s_lshl_b64 s[24:25], s[24:25], 3
	s_lshl_b64 s[26:27], s[10:11], 3
	v_pk_mov_b32 v[12:13], 0, 0
	v_or_b32_e32 v11, 4, v3
	v_or_b32_e32 v18, 8, v3
	;; [unrolled: 1-line block ×7, first 2 shown]
	v_mov_b32_e32 v24, s13
	v_mov_b32_e32 v25, s15
	;; [unrolled: 1-line block ×6, first 2 shown]
	v_pk_mov_b32 v[14:15], s[8:9], s[8:9] op_sel:[0,1]
	v_pk_mov_b32 v[4:5], v[12:13], v[12:13] op_sel:[0,1]
	s_branch .LBB131_4
.LBB131_2:                              ;   in Loop: Header=BB131_4 Depth=1
	s_or_b64 exec, exec, s[30:31]
.LBB131_3:                              ;   in Loop: Header=BB131_4 Depth=1
	s_or_b64 exec, exec, s[28:29]
	v_add_co_u32_e32 v30, vcc, s12, v10
	v_addc_co_u32_e32 v31, vcc, v24, v1, vcc
	v_add_co_u32_e32 v34, vcc, s14, v10
	v_addc_co_u32_e32 v35, vcc, v25, v1, vcc
	global_load_dwordx2 v[32:33], v[30:31], off
	v_add_co_u32_e32 v30, vcc, s26, v30
	v_addc_co_u32_e32 v31, vcc, v31, v26, vcc
	global_load_dwordx2 v[36:37], v[34:35], off
	;; [unrolled: 3-line block ×13, first 2 shown]
	v_add_co_u32_e32 v30, vcc, s26, v30
	v_addc_co_u32_e32 v31, vcc, v31, v26, vcc
	v_add_co_u32_e32 v60, vcc, s26, v34
	v_addc_co_u32_e32 v61, vcc, v35, v26, vcc
	global_load_dwordx2 v[34:35], v[34:35], off
	s_nop 0
	global_load_dwordx2 v[30:31], v[30:31], off
	s_nop 0
	global_load_dwordx2 v[60:61], v[60:61], off
	v_add_co_u32_e32 v8, vcc, s22, v8
	v_addc_co_u32_e32 v9, vcc, v9, v27, vcc
	v_add_co_u32_e32 v6, vcc, s20, v6
	v_addc_co_u32_e32 v7, vcc, v7, v28, vcc
	s_add_u32 s18, s18, s20
	v_add_co_u32_e32 v10, vcc, s24, v10
	s_addc_u32 s19, s19, 0
	v_addc_co_u32_e32 v1, vcc, v1, v29, vcc
	v_cmp_lt_i64_e32 vcc, s[18:19], v[14:15]
	s_waitcnt vmcnt(14)
	v_mul_f64 v[32:33], v[32:33], v[36:37]
	ds_bpermute_b32 v36, v3, v16
	ds_bpermute_b32 v37, v3, v17
	s_and_b64 vcc, exec, vcc
	s_waitcnt lgkmcnt(0)
	v_fmac_f64_e32 v[4:5], v[32:33], v[36:37]
	ds_bpermute_b32 v32, v11, v16
	ds_bpermute_b32 v33, v11, v17
	s_waitcnt vmcnt(12)
	v_mul_f64 v[36:37], v[38:39], v[40:41]
	ds_bpermute_b32 v38, v19, v16
	ds_bpermute_b32 v39, v19, v17
	;; [unrolled: 1-line block ×3, first 2 shown]
	s_waitcnt lgkmcnt(3)
	v_fmac_f64_e32 v[4:5], v[36:37], v[32:33]
	ds_bpermute_b32 v32, v18, v16
	ds_bpermute_b32 v33, v18, v17
	;; [unrolled: 1-line block ×3, first 2 shown]
	s_waitcnt vmcnt(10)
	v_mul_f64 v[36:37], v[42:43], v[44:45]
	s_waitcnt lgkmcnt(1)
	v_fmac_f64_e32 v[4:5], v[36:37], v[32:33]
	s_waitcnt vmcnt(8)
	v_mul_f64 v[32:33], v[46:47], v[48:49]
	v_fmac_f64_e32 v[4:5], v[32:33], v[38:39]
	ds_bpermute_b32 v38, v22, v16
	ds_bpermute_b32 v39, v22, v17
	s_waitcnt vmcnt(6)
	v_mul_f64 v[32:33], v[50:51], v[52:53]
	s_waitcnt lgkmcnt(2)
	v_fmac_f64_e32 v[4:5], v[32:33], v[40:41]
	ds_bpermute_b32 v32, v21, v16
	ds_bpermute_b32 v33, v21, v17
	;; [unrolled: 1-line block ×4, first 2 shown]
	s_waitcnt vmcnt(4)
	v_mul_f64 v[36:37], v[54:55], v[56:57]
	s_waitcnt lgkmcnt(2)
	v_fmac_f64_e32 v[4:5], v[36:37], v[32:33]
	s_waitcnt vmcnt(2)
	v_mul_f64 v[32:33], v[58:59], v[34:35]
	v_fmac_f64_e32 v[4:5], v[32:33], v[38:39]
	s_waitcnt vmcnt(0)
	v_mul_f64 v[30:31], v[30:31], v[60:61]
	s_waitcnt lgkmcnt(0)
	v_fmac_f64_e32 v[4:5], v[30:31], v[16:17]
	s_cbranch_vccz .LBB131_7
.LBB131_4:                              ; =>This Inner Loop Header: Depth=1
	v_pk_mov_b32 v[16:17], v[12:13], v[12:13] op_sel:[0,1]
	s_and_saveexec_b64 s[28:29], s[0:1]
	s_cbranch_execz .LBB131_3
; %bb.5:                                ;   in Loop: Header=BB131_4 Depth=1
	v_cmp_gt_i64_e32 vcc, s[8:9], v[6:7]
	v_pk_mov_b32 v[16:17], 0, 0
	s_and_saveexec_b64 s[30:31], vcc
	s_cbranch_execz .LBB131_2
; %bb.6:                                ;   in Loop: Header=BB131_4 Depth=1
	global_load_dwordx2 v[16:17], v[8:9], off
	s_branch .LBB131_2
.LBB131_7:
	s_cmp_eq_u64 s[16:17], 0
	s_cbranch_scc1 .LBB131_9
; %bb.8:
	s_load_dword s0, s[4:5], 0x4c
	v_mov_b32_e32 v3, 0
	v_mov_b32_e32 v1, s2
	s_mov_b32 s7, 0
	v_and_b32_e32 v0, 0x3ff, v0
	s_waitcnt lgkmcnt(0)
	s_lshr_b32 s0, s0, 16
	v_mad_u64_u32 v[2:3], s[0:1], s0, v1, v[2:3]
	v_mul_lo_u32 v1, v3, s10
	v_mul_lo_u32 v6, v2, s11
	v_mad_u64_u32 v[2:3], s[0:1], v2, s10, 0
	s_lshl_b64 s[0:1], s[6:7], 8
	v_add3_u32 v3, v3, v6, v1
	s_add_u32 s0, s0, s16
	v_lshlrev_b64 v[2:3], 3, v[2:3]
	s_addc_u32 s1, s1, s17
	v_mov_b32_e32 v1, s1
	v_add_co_u32_e32 v2, vcc, s0, v2
	v_addc_co_u32_e32 v1, vcc, v1, v3, vcc
	v_lshlrev_b32_e32 v0, 3, v0
	v_add_co_u32_e32 v0, vcc, v2, v0
	v_addc_co_u32_e32 v1, vcc, 0, v1, vcc
	global_store_dwordx2 v[0:1], v[4:5], off
.LBB131_9:
	s_endpgm
	.section	.rodata,"a",@progbits
	.p2align	6, 0x0
	.amdhsa_kernel _ZN2at6native12_GLOBAL__N_135GammaBetaBackwardCUDAKernelTemplateIddLj32ELj1ELj8ELb1ELb1ELb1EEEvllPKT_S5_PKT0_S8_PS3_S9_
		.amdhsa_group_segment_fixed_size 0
		.amdhsa_private_segment_fixed_size 0
		.amdhsa_kernarg_size 320
		.amdhsa_user_sgpr_count 6
		.amdhsa_user_sgpr_private_segment_buffer 1
		.amdhsa_user_sgpr_dispatch_ptr 0
		.amdhsa_user_sgpr_queue_ptr 0
		.amdhsa_user_sgpr_kernarg_segment_ptr 1
		.amdhsa_user_sgpr_dispatch_id 0
		.amdhsa_user_sgpr_flat_scratch_init 0
		.amdhsa_user_sgpr_kernarg_preload_length 0
		.amdhsa_user_sgpr_kernarg_preload_offset 0
		.amdhsa_user_sgpr_private_segment_size 0
		.amdhsa_uses_dynamic_stack 0
		.amdhsa_system_sgpr_private_segment_wavefront_offset 0
		.amdhsa_system_sgpr_workgroup_id_x 1
		.amdhsa_system_sgpr_workgroup_id_y 1
		.amdhsa_system_sgpr_workgroup_id_z 0
		.amdhsa_system_sgpr_workgroup_info 0
		.amdhsa_system_vgpr_workitem_id 1
		.amdhsa_next_free_vgpr 62
		.amdhsa_next_free_sgpr 32
		.amdhsa_accum_offset 64
		.amdhsa_reserve_vcc 1
		.amdhsa_reserve_flat_scratch 0
		.amdhsa_float_round_mode_32 0
		.amdhsa_float_round_mode_16_64 0
		.amdhsa_float_denorm_mode_32 3
		.amdhsa_float_denorm_mode_16_64 3
		.amdhsa_dx10_clamp 1
		.amdhsa_ieee_mode 1
		.amdhsa_fp16_overflow 0
		.amdhsa_tg_split 0
		.amdhsa_exception_fp_ieee_invalid_op 0
		.amdhsa_exception_fp_denorm_src 0
		.amdhsa_exception_fp_ieee_div_zero 0
		.amdhsa_exception_fp_ieee_overflow 0
		.amdhsa_exception_fp_ieee_underflow 0
		.amdhsa_exception_fp_ieee_inexact 0
		.amdhsa_exception_int_div_zero 0
	.end_amdhsa_kernel
	.section	.text._ZN2at6native12_GLOBAL__N_135GammaBetaBackwardCUDAKernelTemplateIddLj32ELj1ELj8ELb1ELb1ELb1EEEvllPKT_S5_PKT0_S8_PS3_S9_,"axG",@progbits,_ZN2at6native12_GLOBAL__N_135GammaBetaBackwardCUDAKernelTemplateIddLj32ELj1ELj8ELb1ELb1ELb1EEEvllPKT_S5_PKT0_S8_PS3_S9_,comdat
.Lfunc_end131:
	.size	_ZN2at6native12_GLOBAL__N_135GammaBetaBackwardCUDAKernelTemplateIddLj32ELj1ELj8ELb1ELb1ELb1EEEvllPKT_S5_PKT0_S8_PS3_S9_, .Lfunc_end131-_ZN2at6native12_GLOBAL__N_135GammaBetaBackwardCUDAKernelTemplateIddLj32ELj1ELj8ELb1ELb1ELb1EEEvllPKT_S5_PKT0_S8_PS3_S9_
                                        ; -- End function
	.section	.AMDGPU.csdata,"",@progbits
; Kernel info:
; codeLenInByte = 1176
; NumSgprs: 36
; NumVgprs: 62
; NumAgprs: 0
; TotalNumVgprs: 62
; ScratchSize: 0
; MemoryBound: 0
; FloatMode: 240
; IeeeMode: 1
; LDSByteSize: 0 bytes/workgroup (compile time only)
; SGPRBlocks: 4
; VGPRBlocks: 7
; NumSGPRsForWavesPerEU: 36
; NumVGPRsForWavesPerEU: 62
; AccumOffset: 64
; Occupancy: 8
; WaveLimiterHint : 0
; COMPUTE_PGM_RSRC2:SCRATCH_EN: 0
; COMPUTE_PGM_RSRC2:USER_SGPR: 6
; COMPUTE_PGM_RSRC2:TRAP_HANDLER: 0
; COMPUTE_PGM_RSRC2:TGID_X_EN: 1
; COMPUTE_PGM_RSRC2:TGID_Y_EN: 1
; COMPUTE_PGM_RSRC2:TGID_Z_EN: 0
; COMPUTE_PGM_RSRC2:TIDIG_COMP_CNT: 1
; COMPUTE_PGM_RSRC3_GFX90A:ACCUM_OFFSET: 15
; COMPUTE_PGM_RSRC3_GFX90A:TG_SPLIT: 0
	.section	.text._ZN2at6native12_GLOBAL__N_135GammaBetaBackwardCUDAKernelTemplateIddLj32ELj1ELj8ELb1ELb0ELb1EEEvllPKT_S5_PKT0_S8_PS3_S9_,"axG",@progbits,_ZN2at6native12_GLOBAL__N_135GammaBetaBackwardCUDAKernelTemplateIddLj32ELj1ELj8ELb1ELb0ELb1EEEvllPKT_S5_PKT0_S8_PS3_S9_,comdat
	.globl	_ZN2at6native12_GLOBAL__N_135GammaBetaBackwardCUDAKernelTemplateIddLj32ELj1ELj8ELb1ELb0ELb1EEEvllPKT_S5_PKT0_S8_PS3_S9_ ; -- Begin function _ZN2at6native12_GLOBAL__N_135GammaBetaBackwardCUDAKernelTemplateIddLj32ELj1ELj8ELb1ELb0ELb1EEEvllPKT_S5_PKT0_S8_PS3_S9_
	.p2align	8
	.type	_ZN2at6native12_GLOBAL__N_135GammaBetaBackwardCUDAKernelTemplateIddLj32ELj1ELj8ELb1ELb0ELb1EEEvllPKT_S5_PKT0_S8_PS3_S9_,@function
_ZN2at6native12_GLOBAL__N_135GammaBetaBackwardCUDAKernelTemplateIddLj32ELj1ELj8ELb1ELb0ELb1EEEvllPKT_S5_PKT0_S8_PS3_S9_: ; @_ZN2at6native12_GLOBAL__N_135GammaBetaBackwardCUDAKernelTemplateIddLj32ELj1ELj8ELb1ELb0ELb1EEEvllPKT_S5_PKT0_S8_PS3_S9_
; %bb.0:
	s_load_dwordx8 s[36:43], s[4:5], 0x0
	s_load_dwordx2 s[28:29], s[4:5], 0x28
	s_mov_b32 s8, s7
	s_lshl_b32 s7, s6, 5
	s_or_b32 s30, s7, 31
	s_mov_b32 s31, 0
	s_waitcnt lgkmcnt(0)
	v_pk_mov_b32 v[2:3], s[38:39], s[38:39] op_sel:[0,1]
	v_cmp_ge_i64_e32 vcc, s[30:31], v[2:3]
	s_lshl_b32 s30, s8, 3
	v_pk_mov_b32 v[2:3], s[36:37], s[36:37] op_sel:[0,1]
	v_cmp_lt_i64_e64 s[0:1], s[30:31], v[2:3]
	v_cndmask_b32_e64 v1, 0, 1, s[0:1]
	v_cmp_ne_u32_e64 s[0:1], 1, v1
	s_cbranch_vccz .LBB132_49
; %bb.1:
	s_and_b64 vcc, exec, s[0:1]
	v_pk_mov_b32 v[2:3], 0, 0
	s_cbranch_vccnz .LBB132_50
; %bb.2:
	v_and_b32_e32 v85, 0x3ff, v0
	v_mov_b32_e32 v4, 0
	v_bfe_u32 v92, v0, 10, 10
	v_add_u32_e32 v2, s7, v85
	v_mov_b32_e32 v3, v4
	v_lshlrev_b32_e32 v50, 3, v92
	v_cmp_gt_i64_e64 s[2:3], s[38:39], v[2:3]
	v_lshlrev_b64 v[52:53], 3, v[2:3]
	v_mov_b32_e32 v2, s31
	v_add_co_u32_e32 v5, vcc, s30, v50
	v_addc_co_u32_e32 v6, vcc, 0, v2, vcc
	v_add_co_u32_e32 v2, vcc, 7, v5
	v_addc_co_u32_e32 v3, vcc, 0, v6, vcc
	v_mul_lo_u32 v7, s39, v2
	v_mul_lo_u32 v8, s38, v3
	v_mad_u64_u32 v[2:3], s[10:11], s38, v2, 0
	s_load_dword s9, s[4:5], 0x44
	v_add3_u32 v3, v3, v8, v7
	v_lshlrev_b64 v[2:3], 3, v[2:3]
	v_mov_b32_e32 v7, s41
	v_add_co_u32_e32 v54, vcc, s40, v2
	v_addc_co_u32_e32 v51, vcc, v7, v3, vcc
	s_add_u32 s34, s4, 64
	v_mov_b32_e32 v8, s43
	v_add_co_u32_e32 v56, vcc, s42, v2
	s_addc_u32 s35, s5, 0
	s_waitcnt lgkmcnt(0)
	s_lshl_b32 s9, s9, 3
	v_addc_co_u32_e32 v55, vcc, v8, v3, vcc
	s_mul_i32 s10, s39, s9
	s_mul_hi_u32 s11, s38, s9
	v_add_co_u32_e32 v2, vcc, 6, v5
	s_add_i32 s11, s11, s10
	s_mul_i32 s10, s38, s9
	v_addc_co_u32_e32 v3, vcc, 0, v6, vcc
	s_lshl_b64 s[46:47], s[10:11], 3
	v_mul_lo_u32 v9, s39, v2
	v_mul_lo_u32 v10, s38, v3
	v_mad_u64_u32 v[2:3], s[10:11], s38, v2, 0
	v_add3_u32 v3, v3, v10, v9
	v_lshlrev_b64 v[2:3], 3, v[2:3]
	v_add_co_u32_e32 v58, vcc, s40, v2
	v_addc_co_u32_e32 v57, vcc, v7, v3, vcc
	v_add_co_u32_e32 v60, vcc, s42, v2
	v_addc_co_u32_e32 v59, vcc, v8, v3, vcc
	v_add_co_u32_e32 v2, vcc, 5, v5
	v_addc_co_u32_e32 v3, vcc, 0, v6, vcc
	v_mul_lo_u32 v9, s39, v2
	v_mul_lo_u32 v10, s38, v3
	v_mad_u64_u32 v[2:3], s[10:11], s38, v2, 0
	v_add3_u32 v3, v3, v10, v9
	v_lshlrev_b64 v[2:3], 3, v[2:3]
	v_add_co_u32_e32 v62, vcc, s40, v2
	v_addc_co_u32_e32 v61, vcc, v7, v3, vcc
	v_add_co_u32_e32 v64, vcc, s42, v2
	v_addc_co_u32_e32 v63, vcc, v8, v3, vcc
	v_add_co_u32_e32 v2, vcc, 4, v5
	v_addc_co_u32_e32 v3, vcc, 0, v6, vcc
	;; [unrolled: 11-line block ×4, first 2 shown]
	v_mul_lo_u32 v9, s39, v2
	v_mul_lo_u32 v10, s38, v3
	v_mad_u64_u32 v[2:3], s[10:11], s38, v2, 0
	v_add3_u32 v3, v3, v10, v9
	v_lshlrev_b64 v[2:3], 3, v[2:3]
	v_add_co_u32_e32 v74, vcc, s40, v2
	v_addc_co_u32_e32 v73, vcc, v7, v3, vcc
	v_add_co_u32_e32 v76, vcc, s42, v2
	v_addc_co_u32_e32 v75, vcc, v8, v3, vcc
	v_pk_mov_b32 v[2:3], s[38:39], s[38:39] op_sel:[0,1]
	v_mad_u64_u32 v[2:3], s[10:11], s38, v5, v[2:3]
	v_mul_lo_u32 v6, s38, v6
	v_mul_lo_u32 v9, s39, v5
	v_add3_u32 v3, v9, v3, v6
	v_lshlrev_b64 v[2:3], 3, v[2:3]
	v_add_co_u32_e32 v78, vcc, s40, v2
	v_addc_co_u32_e32 v77, vcc, v7, v3, vcc
	v_add_co_u32_e32 v80, vcc, s42, v2
	v_addc_co_u32_e32 v79, vcc, v8, v3, vcc
	v_mad_u64_u32 v[2:3], s[10:11], s38, v5, 0
	v_add3_u32 v3, v3, v6, v9
	v_lshlrev_b64 v[2:3], 3, v[2:3]
	v_add_co_u32_e32 v82, vcc, s40, v2
	v_addc_co_u32_e32 v81, vcc, v7, v3, vcc
	v_add_co_u32_e32 v84, vcc, s42, v2
	v_mbcnt_lo_u32_b32 v2, -1, 0
	v_mbcnt_hi_u32_b32 v2, -1, v2
	s_mov_b32 s12, 0
	v_lshlrev_b32_e32 v2, 2, v2
	v_mov_b32_e32 v1, v4
	s_mov_b32 s33, s12
	s_mov_b64 s[44:45], 7
	v_addc_co_u32_e32 v83, vcc, v8, v3, vcc
	v_pk_mov_b32 v[86:87], 0, 0
	v_and_b32_e32 v93, 0x100, v2
	s_mov_b64 s[48:49], s[30:31]
.LBB132_3:                              ; =>This Inner Loop Header: Depth=1
	s_add_u32 s10, s30, s44
	s_addc_u32 s11, 0, s45
	v_pk_mov_b32 v[2:3], s[36:37], s[36:37] op_sel:[0,1]
	v_cmp_ge_i64_e32 vcc, s[10:11], v[2:3]
	v_mov_b32_e32 v2, s31
	v_add_co_u32_e64 v88, s[10:11], s30, v50
	v_addc_co_u32_e64 v89, s[10:11], v2, v1, s[10:11]
	s_cbranch_vccz .LBB132_25
; %bb.4:                                ;   in Loop: Header=BB132_3 Depth=1
	s_load_dword s10, s[34:35], 0xc
	v_pk_mov_b32 v[90:91], 0, 0
	s_waitcnt lgkmcnt(0)
	s_and_b32 s10, s10, 0xffff
	v_mad_u32_u24 v2, v92, s10, v85
	v_and_b32_e32 v2, 63, v2
	v_cmp_gt_u32_e32 vcc, 8, v2
	s_and_saveexec_b64 s[10:11], vcc
	s_cbranch_execz .LBB132_8
; %bb.5:                                ;   in Loop: Header=BB132_3 Depth=1
	v_add_co_u32_e32 v2, vcc, v88, v2
	v_addc_co_u32_e32 v3, vcc, 0, v89, vcc
	v_cmp_gt_i64_e32 vcc, s[36:37], v[2:3]
	v_pk_mov_b32 v[90:91], 0, 0
	s_and_saveexec_b64 s[14:15], vcc
	s_cbranch_execz .LBB132_7
; %bb.6:                                ;   in Loop: Header=BB132_3 Depth=1
	v_lshlrev_b64 v[2:3], 3, v[2:3]
	v_mov_b32_e32 v5, s29
	v_add_co_u32_e32 v2, vcc, s28, v2
	v_addc_co_u32_e32 v3, vcc, v5, v3, vcc
	global_load_dwordx2 v[90:91], v[2:3], off
.LBB132_7:                              ;   in Loop: Header=BB132_3 Depth=1
	s_or_b64 exec, exec, s[14:15]
.LBB132_8:                              ;   in Loop: Header=BB132_3 Depth=1
	s_or_b64 exec, exec, s[10:11]
	s_mov_b32 s26, s12
	s_mov_b32 s27, s12
	;; [unrolled: 1-line block ×15, first 2 shown]
	v_pk_mov_b32 v[32:33], s[26:27], s[26:27] op_sel:[0,1]
	v_cmp_gt_i64_e32 vcc, s[36:37], v[88:89]
	v_pk_mov_b32 v[30:31], s[24:25], s[24:25] op_sel:[0,1]
	v_pk_mov_b32 v[28:29], s[22:23], s[22:23] op_sel:[0,1]
	;; [unrolled: 1-line block ×8, first 2 shown]
	s_and_b64 s[50:51], s[2:3], vcc
	v_pk_mov_b32 v[46:47], v[30:31], v[30:31] op_sel:[0,1]
	v_pk_mov_b32 v[44:45], v[28:29], v[28:29] op_sel:[0,1]
	v_pk_mov_b32 v[42:43], v[26:27], v[26:27] op_sel:[0,1]
	v_pk_mov_b32 v[40:41], v[24:25], v[24:25] op_sel:[0,1]
	v_pk_mov_b32 v[38:39], v[22:23], v[22:23] op_sel:[0,1]
	v_pk_mov_b32 v[36:37], v[20:21], v[20:21] op_sel:[0,1]
	v_pk_mov_b32 v[34:35], v[18:19], v[18:19] op_sel:[0,1]
	s_and_saveexec_b64 s[10:11], s[50:51]
	s_cbranch_execz .LBB132_10
; %bb.9:                                ;   in Loop: Header=BB132_3 Depth=1
	v_add_co_u32_e32 v2, vcc, v82, v52
	v_addc_co_u32_e32 v3, vcc, v81, v53, vcc
	v_add_co_u32_e32 v6, vcc, v84, v52
	global_load_dwordx2 v[2:3], v[2:3], off
	v_addc_co_u32_e32 v7, vcc, v83, v53, vcc
	global_load_dwordx2 v[18:19], v[6:7], off
	v_mov_b32_e32 v16, v4
	v_mov_b32_e32 v17, v4
	;; [unrolled: 1-line block ×13, first 2 shown]
	s_waitcnt vmcnt(1)
	v_pk_mov_b32 v[48:49], v[16:17], v[16:17] op_sel:[0,1]
	v_mov_b32_e32 v20, v4
	v_mov_b32_e32 v21, v4
	;; [unrolled: 1-line block ×14, first 2 shown]
	v_pk_mov_b32 v[46:47], v[14:15], v[14:15] op_sel:[0,1]
	v_pk_mov_b32 v[44:45], v[12:13], v[12:13] op_sel:[0,1]
	;; [unrolled: 1-line block ×7, first 2 shown]
.LBB132_10:                             ;   in Loop: Header=BB132_3 Depth=1
	s_or_b64 exec, exec, s[10:11]
	v_add_co_u32_e32 v2, vcc, 1, v88
	v_addc_co_u32_e32 v3, vcc, 0, v89, vcc
	v_cmp_gt_i64_e32 vcc, s[36:37], v[2:3]
	s_and_b64 s[14:15], s[2:3], vcc
	s_and_saveexec_b64 s[10:11], s[14:15]
	s_cbranch_execz .LBB132_12
; %bb.11:                               ;   in Loop: Header=BB132_3 Depth=1
	v_add_co_u32_e32 v2, vcc, v78, v52
	v_addc_co_u32_e32 v3, vcc, v77, v53, vcc
	global_load_dwordx2 v[36:37], v[2:3], off
	v_add_co_u32_e32 v2, vcc, v80, v52
	v_addc_co_u32_e32 v3, vcc, v79, v53, vcc
	global_load_dwordx2 v[20:21], v[2:3], off
.LBB132_12:                             ;   in Loop: Header=BB132_3 Depth=1
	s_or_b64 exec, exec, s[10:11]
	v_add_co_u32_e32 v2, vcc, 2, v88
	v_addc_co_u32_e32 v3, vcc, 0, v89, vcc
	v_cmp_gt_i64_e32 vcc, s[36:37], v[2:3]
	s_and_b64 s[14:15], s[2:3], vcc
	s_and_saveexec_b64 s[10:11], s[14:15]
	s_cbranch_execz .LBB132_14
; %bb.13:                               ;   in Loop: Header=BB132_3 Depth=1
	v_add_co_u32_e32 v2, vcc, v74, v52
	v_addc_co_u32_e32 v3, vcc, v73, v53, vcc
	global_load_dwordx2 v[38:39], v[2:3], off
	v_add_co_u32_e32 v2, vcc, v76, v52
	v_addc_co_u32_e32 v3, vcc, v75, v53, vcc
	global_load_dwordx2 v[22:23], v[2:3], off
.LBB132_14:                             ;   in Loop: Header=BB132_3 Depth=1
	;; [unrolled: 15-line block ×7, first 2 shown]
	s_or_b64 exec, exec, s[10:11]
	s_waitcnt vmcnt(0)
	ds_bpermute_b32 v2, v93, v90
	ds_bpermute_b32 v3, v93, v91
	ds_bpermute_b32 v6, v93, v90 offset:4
	ds_bpermute_b32 v7, v93, v91 offset:4
	v_mul_f64 v[8:9], v[18:19], v[34:35]
	ds_bpermute_b32 v10, v93, v90 offset:12
	s_waitcnt lgkmcnt(3)
	v_fma_f64 v[2:3], v[8:9], v[2:3], v[86:87]
	v_mul_f64 v[8:9], v[20:21], v[36:37]
	s_waitcnt lgkmcnt(1)
	v_fmac_f64_e32 v[2:3], v[8:9], v[6:7]
	ds_bpermute_b32 v6, v93, v90 offset:8
	ds_bpermute_b32 v7, v93, v91 offset:8
	ds_bpermute_b32 v11, v93, v91 offset:12
	ds_bpermute_b32 v12, v93, v90 offset:16
	ds_bpermute_b32 v13, v93, v91 offset:16
	v_mul_f64 v[8:9], v[22:23], v[38:39]
	s_waitcnt lgkmcnt(3)
	v_fmac_f64_e32 v[2:3], v[8:9], v[6:7]
	v_mul_f64 v[6:7], v[24:25], v[40:41]
	s_waitcnt lgkmcnt(2)
	v_fmac_f64_e32 v[2:3], v[6:7], v[10:11]
	v_mul_f64 v[6:7], v[26:27], v[42:43]
	ds_bpermute_b32 v8, v93, v90 offset:20
	ds_bpermute_b32 v9, v93, v91 offset:20
	s_waitcnt lgkmcnt(2)
	v_fmac_f64_e32 v[2:3], v[6:7], v[12:13]
	ds_bpermute_b32 v12, v93, v90 offset:24
	ds_bpermute_b32 v13, v93, v91 offset:24
	;; [unrolled: 1-line block ×4, first 2 shown]
	v_mul_f64 v[10:11], v[28:29], v[44:45]
	s_waitcnt lgkmcnt(4)
	v_fmac_f64_e32 v[2:3], v[10:11], v[8:9]
	v_mul_f64 v[8:9], v[30:31], v[46:47]
	s_waitcnt lgkmcnt(2)
	v_fmac_f64_e32 v[2:3], v[8:9], v[12:13]
	s_branch .LBB132_40
.LBB132_25:                             ;   in Loop: Header=BB132_3 Depth=1
                                        ; implicit-def: $vgpr2_vgpr3
                                        ; implicit-def: $vgpr18_vgpr19_vgpr20_vgpr21_vgpr22_vgpr23_vgpr24_vgpr25_vgpr26_vgpr27_vgpr28_vgpr29_vgpr30_vgpr31_vgpr32_vgpr33
                                        ; implicit-def: $vgpr34_vgpr35_vgpr36_vgpr37_vgpr38_vgpr39_vgpr40_vgpr41_vgpr42_vgpr43_vgpr44_vgpr45_vgpr46_vgpr47_vgpr48_vgpr49
                                        ; implicit-def: $vgpr6
	s_cbranch_execz .LBB132_40
; %bb.26:                               ;   in Loop: Header=BB132_3 Depth=1
	s_load_dword s10, s[34:35], 0x0
	v_pk_mov_b32 v[90:91], 0, 0
	s_waitcnt lgkmcnt(0)
	s_cmp_lt_u32 s6, s10
	s_cselect_b32 s10, 12, 18
	s_add_u32 s10, s34, s10
	s_addc_u32 s11, s35, 0
	global_load_ushort v2, v4, s[10:11]
	s_waitcnt vmcnt(0)
	v_mad_u32_u24 v2, v92, v2, v85
	v_and_b32_e32 v2, 63, v2
	v_cmp_gt_u32_e32 vcc, 8, v2
	s_and_saveexec_b64 s[10:11], vcc
	s_cbranch_execz .LBB132_30
; %bb.27:                               ;   in Loop: Header=BB132_3 Depth=1
	v_add_co_u32_e32 v2, vcc, v88, v2
	v_addc_co_u32_e32 v3, vcc, 0, v89, vcc
	v_cmp_gt_i64_e32 vcc, s[36:37], v[2:3]
	v_pk_mov_b32 v[90:91], 0, 0
	s_and_saveexec_b64 s[14:15], vcc
	s_cbranch_execz .LBB132_29
; %bb.28:                               ;   in Loop: Header=BB132_3 Depth=1
	v_lshlrev_b64 v[2:3], 3, v[2:3]
	v_mov_b32_e32 v5, s29
	v_add_co_u32_e32 v2, vcc, s28, v2
	v_addc_co_u32_e32 v3, vcc, v5, v3, vcc
	global_load_dwordx2 v[90:91], v[2:3], off
.LBB132_29:                             ;   in Loop: Header=BB132_3 Depth=1
	s_or_b64 exec, exec, s[14:15]
.LBB132_30:                             ;   in Loop: Header=BB132_3 Depth=1
	s_or_b64 exec, exec, s[10:11]
	s_mov_b32 s26, s12
	s_mov_b32 s27, s12
	;; [unrolled: 1-line block ×15, first 2 shown]
	v_pk_mov_b32 v[32:33], s[26:27], s[26:27] op_sel:[0,1]
	v_pk_mov_b32 v[30:31], s[24:25], s[24:25] op_sel:[0,1]
	;; [unrolled: 1-line block ×16, first 2 shown]
	s_and_saveexec_b64 s[10:11], s[2:3]
	s_cbranch_execnz .LBB132_42
; %bb.31:                               ;   in Loop: Header=BB132_3 Depth=1
	s_or_b64 exec, exec, s[10:11]
	s_and_saveexec_b64 s[10:11], s[2:3]
	s_cbranch_execnz .LBB132_43
.LBB132_32:                             ;   in Loop: Header=BB132_3 Depth=1
	s_or_b64 exec, exec, s[10:11]
	s_and_saveexec_b64 s[10:11], s[2:3]
	s_cbranch_execnz .LBB132_44
.LBB132_33:                             ;   in Loop: Header=BB132_3 Depth=1
	s_or_b64 exec, exec, s[10:11]
	s_and_saveexec_b64 s[10:11], s[2:3]
	s_cbranch_execnz .LBB132_45
.LBB132_34:                             ;   in Loop: Header=BB132_3 Depth=1
	s_or_b64 exec, exec, s[10:11]
	s_and_saveexec_b64 s[10:11], s[2:3]
	s_cbranch_execnz .LBB132_46
.LBB132_35:                             ;   in Loop: Header=BB132_3 Depth=1
	s_or_b64 exec, exec, s[10:11]
	s_and_saveexec_b64 s[10:11], s[2:3]
	s_cbranch_execnz .LBB132_47
.LBB132_36:                             ;   in Loop: Header=BB132_3 Depth=1
	s_or_b64 exec, exec, s[10:11]
	s_and_saveexec_b64 s[10:11], s[2:3]
	s_cbranch_execnz .LBB132_48
.LBB132_37:                             ;   in Loop: Header=BB132_3 Depth=1
	s_or_b64 exec, exec, s[10:11]
	s_and_saveexec_b64 s[10:11], s[2:3]
	s_cbranch_execz .LBB132_39
.LBB132_38:                             ;   in Loop: Header=BB132_3 Depth=1
	v_add_co_u32_e32 v2, vcc, v54, v52
	v_addc_co_u32_e32 v3, vcc, v51, v53, vcc
	global_load_dwordx2 v[48:49], v[2:3], off
	v_add_co_u32_e32 v2, vcc, v56, v52
	v_addc_co_u32_e32 v3, vcc, v55, v53, vcc
	global_load_dwordx2 v[32:33], v[2:3], off
.LBB132_39:                             ;   in Loop: Header=BB132_3 Depth=1
	s_or_b64 exec, exec, s[10:11]
	s_waitcnt vmcnt(0)
	ds_bpermute_b32 v2, v93, v90
	ds_bpermute_b32 v3, v93, v91
	ds_bpermute_b32 v6, v93, v90 offset:4
	ds_bpermute_b32 v7, v93, v91 offset:4
	v_mul_f64 v[8:9], v[18:19], v[34:35]
	ds_bpermute_b32 v10, v93, v90 offset:16
	s_waitcnt lgkmcnt(3)
	v_fmac_f64_e32 v[86:87], v[8:9], v[2:3]
	v_mul_f64 v[2:3], v[20:21], v[36:37]
	s_waitcnt lgkmcnt(1)
	v_fmac_f64_e32 v[86:87], v[2:3], v[6:7]
	ds_bpermute_b32 v2, v93, v90 offset:8
	ds_bpermute_b32 v3, v93, v91 offset:8
	;; [unrolled: 1-line block ×5, first 2 shown]
	v_mul_f64 v[6:7], v[22:23], v[38:39]
	s_waitcnt lgkmcnt(3)
	v_fmac_f64_e32 v[86:87], v[6:7], v[2:3]
	v_mul_f64 v[2:3], v[24:25], v[40:41]
	s_waitcnt lgkmcnt(1)
	v_fmac_f64_e32 v[86:87], v[2:3], v[8:9]
	;; [unrolled: 3-line block ×3, first 2 shown]
	ds_bpermute_b32 v2, v93, v90 offset:20
	ds_bpermute_b32 v3, v93, v91 offset:20
	;; [unrolled: 1-line block ×4, first 2 shown]
	v_mul_f64 v[8:9], v[28:29], v[44:45]
	ds_bpermute_b32 v6, v93, v90 offset:28
	s_waitcnt lgkmcnt(3)
	v_fmac_f64_e32 v[86:87], v[8:9], v[2:3]
	v_mul_f64 v[2:3], v[30:31], v[46:47]
	s_waitcnt lgkmcnt(1)
	v_fmac_f64_e32 v[86:87], v[2:3], v[10:11]
	ds_bpermute_b32 v7, v93, v91 offset:28
	v_pk_mov_b32 v[2:3], v[86:87], v[86:87] op_sel:[0,1]
.LBB132_40:                             ;   in Loop: Header=BB132_3 Depth=1
	v_mov_b32_e32 v5, s47
	v_add_co_u32_e32 v54, vcc, s46, v54
	v_addc_co_u32_e32 v51, vcc, v51, v5, vcc
	v_add_co_u32_e32 v56, vcc, s46, v56
	v_addc_co_u32_e32 v55, vcc, v55, v5, vcc
	v_add_co_u32_e32 v58, vcc, s46, v58
	v_addc_co_u32_e32 v57, vcc, v57, v5, vcc
	v_add_co_u32_e32 v60, vcc, s46, v60
	v_addc_co_u32_e32 v59, vcc, v59, v5, vcc
	v_add_co_u32_e32 v62, vcc, s46, v62
	v_addc_co_u32_e32 v61, vcc, v61, v5, vcc
	v_add_co_u32_e32 v64, vcc, s46, v64
	v_addc_co_u32_e32 v63, vcc, v63, v5, vcc
	v_add_co_u32_e32 v66, vcc, s46, v66
	v_addc_co_u32_e32 v65, vcc, v65, v5, vcc
	v_add_co_u32_e32 v68, vcc, s46, v68
	v_addc_co_u32_e32 v67, vcc, v67, v5, vcc
	v_add_co_u32_e32 v70, vcc, s46, v70
	v_addc_co_u32_e32 v69, vcc, v69, v5, vcc
	v_add_co_u32_e32 v72, vcc, s46, v72
	v_addc_co_u32_e32 v71, vcc, v71, v5, vcc
	v_add_co_u32_e32 v74, vcc, s46, v74
	v_addc_co_u32_e32 v73, vcc, v73, v5, vcc
	v_add_co_u32_e32 v76, vcc, s46, v76
	v_addc_co_u32_e32 v75, vcc, v75, v5, vcc
	v_add_co_u32_e32 v78, vcc, s46, v78
	v_addc_co_u32_e32 v77, vcc, v77, v5, vcc
	v_add_co_u32_e32 v80, vcc, s46, v80
	v_mul_f64 v[8:9], v[48:49], v[32:33]
	v_addc_co_u32_e32 v79, vcc, v79, v5, vcc
	s_waitcnt lgkmcnt(0)
	v_fmac_f64_e32 v[2:3], v[8:9], v[6:7]
	v_mov_b32_e32 v6, s33
	v_add_co_u32_e32 v50, vcc, s9, v50
	v_addc_co_u32_e32 v1, vcc, v1, v6, vcc
	v_add_co_u32_e32 v82, vcc, s46, v82
	v_addc_co_u32_e32 v81, vcc, v81, v5, vcc
	s_add_u32 s48, s48, s9
	v_add_co_u32_e32 v84, vcc, s46, v84
	s_addc_u32 s49, s49, 0
	v_addc_co_u32_e32 v83, vcc, v83, v5, vcc
	v_pk_mov_b32 v[6:7], s[36:37], s[36:37] op_sel:[0,1]
	s_add_u32 s44, s44, s9
	v_cmp_lt_i64_e32 vcc, s[48:49], v[6:7]
	s_addc_u32 s45, s45, 0
	s_cbranch_vccz .LBB132_50
; %bb.41:                               ;   in Loop: Header=BB132_3 Depth=1
	v_pk_mov_b32 v[86:87], v[2:3], v[2:3] op_sel:[0,1]
	s_branch .LBB132_3
.LBB132_42:                             ;   in Loop: Header=BB132_3 Depth=1
	v_add_co_u32_e32 v2, vcc, v82, v52
	v_addc_co_u32_e32 v3, vcc, v81, v53, vcc
	v_add_co_u32_e32 v6, vcc, v84, v52
	global_load_dwordx2 v[2:3], v[2:3], off
	v_addc_co_u32_e32 v7, vcc, v83, v53, vcc
	global_load_dwordx2 v[18:19], v[6:7], off
	v_mov_b32_e32 v16, v4
	v_mov_b32_e32 v17, v4
	v_mov_b32_e32 v5, v4
	v_mov_b32_e32 v6, v4
	v_mov_b32_e32 v7, v4
	v_mov_b32_e32 v8, v4
	v_mov_b32_e32 v9, v4
	v_mov_b32_e32 v10, v4
	v_mov_b32_e32 v11, v4
	v_mov_b32_e32 v12, v4
	v_mov_b32_e32 v13, v4
	v_mov_b32_e32 v14, v4
	v_mov_b32_e32 v15, v4
	s_waitcnt vmcnt(1)
	v_pk_mov_b32 v[48:49], v[16:17], v[16:17] op_sel:[0,1]
	v_mov_b32_e32 v20, v4
	v_mov_b32_e32 v21, v4
	;; [unrolled: 1-line block ×14, first 2 shown]
	v_pk_mov_b32 v[46:47], v[14:15], v[14:15] op_sel:[0,1]
	v_pk_mov_b32 v[44:45], v[12:13], v[12:13] op_sel:[0,1]
	;; [unrolled: 1-line block ×7, first 2 shown]
	s_or_b64 exec, exec, s[10:11]
	s_and_saveexec_b64 s[10:11], s[2:3]
	s_cbranch_execz .LBB132_32
.LBB132_43:                             ;   in Loop: Header=BB132_3 Depth=1
	v_add_co_u32_e32 v2, vcc, v78, v52
	v_addc_co_u32_e32 v3, vcc, v77, v53, vcc
	global_load_dwordx2 v[36:37], v[2:3], off
	v_add_co_u32_e32 v2, vcc, v80, v52
	v_addc_co_u32_e32 v3, vcc, v79, v53, vcc
	global_load_dwordx2 v[20:21], v[2:3], off
	s_or_b64 exec, exec, s[10:11]
	s_and_saveexec_b64 s[10:11], s[2:3]
	s_cbranch_execz .LBB132_33
.LBB132_44:                             ;   in Loop: Header=BB132_3 Depth=1
	v_add_co_u32_e32 v2, vcc, v74, v52
	v_addc_co_u32_e32 v3, vcc, v73, v53, vcc
	global_load_dwordx2 v[38:39], v[2:3], off
	v_add_co_u32_e32 v2, vcc, v76, v52
	v_addc_co_u32_e32 v3, vcc, v75, v53, vcc
	global_load_dwordx2 v[22:23], v[2:3], off
	s_or_b64 exec, exec, s[10:11]
	s_and_saveexec_b64 s[10:11], s[2:3]
	s_cbranch_execz .LBB132_34
.LBB132_45:                             ;   in Loop: Header=BB132_3 Depth=1
	v_add_co_u32_e32 v2, vcc, v70, v52
	v_addc_co_u32_e32 v3, vcc, v69, v53, vcc
	global_load_dwordx2 v[40:41], v[2:3], off
	v_add_co_u32_e32 v2, vcc, v72, v52
	v_addc_co_u32_e32 v3, vcc, v71, v53, vcc
	global_load_dwordx2 v[24:25], v[2:3], off
	s_or_b64 exec, exec, s[10:11]
	s_and_saveexec_b64 s[10:11], s[2:3]
	s_cbranch_execz .LBB132_35
.LBB132_46:                             ;   in Loop: Header=BB132_3 Depth=1
	v_add_co_u32_e32 v2, vcc, v66, v52
	v_addc_co_u32_e32 v3, vcc, v65, v53, vcc
	global_load_dwordx2 v[42:43], v[2:3], off
	v_add_co_u32_e32 v2, vcc, v68, v52
	v_addc_co_u32_e32 v3, vcc, v67, v53, vcc
	global_load_dwordx2 v[26:27], v[2:3], off
	s_or_b64 exec, exec, s[10:11]
	s_and_saveexec_b64 s[10:11], s[2:3]
	s_cbranch_execz .LBB132_36
.LBB132_47:                             ;   in Loop: Header=BB132_3 Depth=1
	v_add_co_u32_e32 v2, vcc, v62, v52
	v_addc_co_u32_e32 v3, vcc, v61, v53, vcc
	global_load_dwordx2 v[44:45], v[2:3], off
	v_add_co_u32_e32 v2, vcc, v64, v52
	v_addc_co_u32_e32 v3, vcc, v63, v53, vcc
	global_load_dwordx2 v[28:29], v[2:3], off
	s_or_b64 exec, exec, s[10:11]
	s_and_saveexec_b64 s[10:11], s[2:3]
	s_cbranch_execz .LBB132_37
.LBB132_48:                             ;   in Loop: Header=BB132_3 Depth=1
	v_add_co_u32_e32 v2, vcc, v58, v52
	v_addc_co_u32_e32 v3, vcc, v57, v53, vcc
	global_load_dwordx2 v[46:47], v[2:3], off
	v_add_co_u32_e32 v2, vcc, v60, v52
	v_addc_co_u32_e32 v3, vcc, v59, v53, vcc
	global_load_dwordx2 v[30:31], v[2:3], off
	s_or_b64 exec, exec, s[10:11]
	s_and_saveexec_b64 s[10:11], s[2:3]
	s_cbranch_execnz .LBB132_38
	s_branch .LBB132_39
.LBB132_49:
                                        ; implicit-def: $vgpr2_vgpr3
	s_load_dwordx2 s[2:3], s[4:5], 0x30
	s_branch .LBB132_51
.LBB132_50:
	s_load_dwordx2 s[2:3], s[4:5], 0x30
	s_cbranch_execnz .LBB132_83
.LBB132_51:
	s_and_b64 vcc, exec, s[0:1]
	v_pk_mov_b32 v[2:3], 0, 0
	s_cbranch_vccnz .LBB132_83
; %bb.52:
	v_bfe_u32 v111, v0, 10, 10
	s_add_u32 s10, s4, 64
	s_addc_u32 s11, s5, 0
	v_lshlrev_b32_e32 v1, 6, v111
	s_lshl_b64 s[0:1], s[30:31], 3
	v_mov_b32_e32 v2, s1
	v_add_co_u32_e32 v1, vcc, s0, v1
	v_addc_co_u32_e32 v4, vcc, 0, v2, vcc
	v_add_co_u32_e32 v6, vcc, 8, v1
	v_addc_co_u32_e32 v5, vcc, 0, v4, vcc
	v_add_co_u32_e32 v9, vcc, 16, v1
	v_mul_lo_u32 v7, s38, v5
	v_addc_co_u32_e32 v5, vcc, 0, v4, vcc
	v_add_co_u32_e32 v12, vcc, 24, v1
	v_mul_lo_u32 v10, s38, v5
	v_addc_co_u32_e32 v5, vcc, 0, v4, vcc
	v_add_co_u32_e32 v15, vcc, 32, v1
	v_mul_lo_u32 v13, s38, v5
	v_addc_co_u32_e32 v5, vcc, 0, v4, vcc
	v_add_co_u32_e32 v18, vcc, 40, v1
	v_mul_lo_u32 v16, s38, v5
	v_addc_co_u32_e32 v5, vcc, 0, v4, vcc
	v_add_co_u32_e32 v21, vcc, 48, v1
	v_mul_lo_u32 v19, s38, v5
	v_addc_co_u32_e32 v5, vcc, 0, v4, vcc
	v_add_co_u32_e32 v24, vcc, 56, v1
	v_lshlrev_b32_e32 v50, 3, v111
	v_addc_co_u32_e32 v1, vcc, 0, v4, vcc
	v_mul_lo_u32 v25, s38, v1
	v_mov_b32_e32 v1, s31
	v_add_co_u32_e32 v27, vcc, s30, v50
	v_pk_mov_b32 v[2:3], s[40:41], s[40:41] op_sel:[0,1]
	v_addc_co_u32_e32 v28, vcc, 0, v1, vcc
	v_mad_u64_u32 v[52:53], s[0:1], s38, v6, v[2:3]
	v_mad_u64_u32 v[54:55], s[0:1], s38, v9, v[2:3]
	;; [unrolled: 1-line block ×7, first 2 shown]
	v_mul_lo_u32 v29, s39, v27
	v_mul_lo_u32 v30, s38, v28
	v_mad_u64_u32 v[2:3], s[0:1], s38, v27, 0
	v_add3_u32 v3, v3, v30, v29
	v_lshlrev_b64 v[2:3], 3, v[2:3]
	v_mul_lo_u32 v22, s38, v5
	v_mov_b32_e32 v31, s41
	v_add_co_u32_e32 v66, vcc, s40, v2
	v_pk_mov_b32 v[4:5], s[42:43], s[42:43] op_sel:[0,1]
	v_mul_lo_u32 v17, s39, v15
	v_addc_co_u32_e32 v1, vcc, v31, v3, vcc
	v_mad_u64_u32 v[74:75], s[0:1], s38, v15, v[4:5]
	v_add3_u32 v59, v17, v59, v16
	v_add3_u32 v75, v17, v75, v16
	v_mov_b32_e32 v16, s43
	v_add_co_u32_e32 v82, vcc, s42, v2
	v_addc_co_u32_e32 v51, vcc, v16, v3, vcc
	v_add_co_u32_e32 v2, vcc, 7, v27
	v_addc_co_u32_e32 v3, vcc, 0, v28, vcc
	v_mad_u64_u32 v[68:69], s[0:1], s38, v6, v[4:5]
	v_mad_u64_u32 v[70:71], s[0:1], s38, v9, v[4:5]
	;; [unrolled: 1-line block ×6, first 2 shown]
	v_mul_lo_u32 v4, s39, v2
	v_mul_lo_u32 v5, s38, v3
	v_mad_u64_u32 v[2:3], s[0:1], s38, v2, 0
	v_add3_u32 v3, v3, v5, v4
	v_add_co_u32_e32 v4, vcc, 6, v27
	v_mul_lo_u32 v8, s39, v6
	v_addc_co_u32_e32 v5, vcc, 0, v28, vcc
	v_add3_u32 v53, v8, v53, v7
	v_add3_u32 v69, v8, v69, v7
	v_mul_lo_u32 v6, s39, v4
	v_mul_lo_u32 v7, s38, v5
	v_mad_u64_u32 v[4:5], s[0:1], s38, v4, 0
	v_add3_u32 v5, v5, v7, v6
	v_add_co_u32_e32 v6, vcc, 5, v27
	v_addc_co_u32_e32 v7, vcc, 0, v28, vcc
	v_mul_lo_u32 v11, s39, v9
	v_mul_lo_u32 v8, s39, v6
	;; [unrolled: 1-line block ×3, first 2 shown]
	v_mad_u64_u32 v[6:7], s[0:1], s38, v6, 0
	v_add3_u32 v7, v7, v9, v8
	v_add_co_u32_e32 v8, vcc, 4, v27
	v_addc_co_u32_e32 v9, vcc, 0, v28, vcc
	v_add3_u32 v55, v11, v55, v10
	v_add3_u32 v71, v11, v71, v10
	v_mul_lo_u32 v10, s39, v8
	v_mul_lo_u32 v11, s38, v9
	v_mad_u64_u32 v[8:9], s[0:1], s38, v8, 0
	v_add3_u32 v9, v9, v11, v10
	v_add_co_u32_e32 v10, vcc, 3, v27
	v_mul_lo_u32 v14, s39, v12
	v_addc_co_u32_e32 v11, vcc, 0, v28, vcc
	v_add3_u32 v57, v14, v57, v13
	v_add3_u32 v73, v14, v73, v13
	v_mul_lo_u32 v12, s39, v10
	v_mul_lo_u32 v13, s38, v11
	v_mad_u64_u32 v[10:11], s[0:1], s38, v10, 0
	v_add3_u32 v11, v11, v13, v12
	v_add_co_u32_e32 v12, vcc, 2, v27
	v_lshlrev_b64 v[2:3], 3, v[2:3]
	v_addc_co_u32_e32 v13, vcc, 0, v28, vcc
	v_add_co_u32_e32 v84, vcc, s40, v2
	v_addc_co_u32_e32 v67, vcc, v31, v3, vcc
	v_add_co_u32_e32 v86, vcc, s42, v2
	v_addc_co_u32_e32 v83, vcc, v16, v3, vcc
	v_lshlrev_b64 v[2:3], 3, v[4:5]
	v_add_co_u32_e32 v88, vcc, s40, v2
	v_addc_co_u32_e32 v85, vcc, v31, v3, vcc
	v_add_co_u32_e32 v90, vcc, s42, v2
	v_addc_co_u32_e32 v87, vcc, v16, v3, vcc
	v_lshlrev_b64 v[2:3], 3, v[6:7]
	;; [unrolled: 5-line block ×4, first 2 shown]
	v_add_co_u32_e32 v100, vcc, s40, v2
	v_mul_lo_u32 v14, s39, v12
	v_mul_lo_u32 v15, s38, v13
	v_mad_u64_u32 v[12:13], s[0:1], s38, v12, 0
	v_addc_co_u32_e32 v97, vcc, v31, v3, vcc
	v_add3_u32 v13, v13, v15, v14
	v_add_co_u32_e32 v102, vcc, s42, v2
	v_addc_co_u32_e32 v99, vcc, v16, v3, vcc
	v_lshlrev_b64 v[2:3], 3, v[12:13]
	v_pk_mov_b32 v[14:15], s[38:39], s[38:39] op_sel:[0,1]
	v_add_co_u32_e32 v104, vcc, s40, v2
	v_mad_u64_u32 v[14:15], s[0:1], s38, v27, v[14:15]
	v_addc_co_u32_e32 v101, vcc, v31, v3, vcc
	v_add3_u32 v15, v29, v15, v30
	v_add_co_u32_e32 v106, vcc, s42, v2
	v_addc_co_u32_e32 v103, vcc, v16, v3, vcc
	v_lshlrev_b64 v[2:3], 3, v[14:15]
	s_load_dword s0, s[4:5], 0x44
	v_add_co_u32_e32 v108, vcc, s40, v2
	v_addc_co_u32_e32 v105, vcc, v31, v3, vcc
	v_add_co_u32_e32 v110, vcc, s42, v2
	v_and_b32_e32 v120, 0x3ff, v0
	v_mov_b32_e32 v4, 0
	v_addc_co_u32_e32 v107, vcc, v16, v3, vcc
	v_add_u32_e32 v2, s7, v120
	v_mov_b32_e32 v3, v4
	s_waitcnt lgkmcnt(0)
	s_lshl_b32 s7, s0, 3
	v_lshlrev_b64 v[112:113], 3, v[2:3]
	v_mbcnt_lo_u32_b32 v2, -1, 0
	s_mul_i32 s0, s39, s7
	s_mul_hi_u32 s1, s38, s7
	v_mbcnt_hi_u32_b32 v2, -1, v2
	v_mul_lo_u32 v20, s39, v18
	v_mul_lo_u32 v23, s39, v21
	;; [unrolled: 1-line block ×3, first 2 shown]
	s_mov_b32 s12, 0
	s_add_i32 s1, s1, s0
	s_mul_i32 s0, s38, s7
	v_lshlrev_b32_e32 v2, 2, v2
	v_add3_u32 v61, v20, v61, v19
	v_add3_u32 v63, v23, v63, v22
	;; [unrolled: 1-line block ×6, first 2 shown]
	s_mov_b32 s9, s12
	s_lshl_b64 s[34:35], s[0:1], 3
	s_mov_b64 s[40:41], 7
	v_and_b32_e32 v121, 0x100, v2
	s_mov_b64 s[42:43], s[30:31]
	v_mov_b32_e32 v109, v4
	v_pk_mov_b32 v[114:115], 0, 0
.LBB132_53:                             ; =>This Inner Loop Header: Depth=1
	s_add_u32 s0, s30, s40
	s_addc_u32 s1, 0, s41
	v_pk_mov_b32 v[2:3], s[36:37], s[36:37] op_sel:[0,1]
	v_cmp_ge_i64_e32 vcc, s[0:1], v[2:3]
	v_mov_b32_e32 v2, s31
	v_add_co_u32_e64 v116, s[0:1], s30, v50
	v_addc_co_u32_e64 v117, s[0:1], v2, v109, s[0:1]
	s_cbranch_vccz .LBB132_75
; %bb.54:                               ;   in Loop: Header=BB132_53 Depth=1
	s_load_dword s0, s[10:11], 0xc
	v_pk_mov_b32 v[118:119], 0, 0
	s_waitcnt lgkmcnt(0)
	s_and_b32 s0, s0, 0xffff
	v_mad_u32_u24 v2, v111, s0, v120
	v_and_b32_e32 v2, 63, v2
	v_cmp_gt_u32_e32 vcc, 8, v2
	s_and_saveexec_b64 s[0:1], vcc
	s_cbranch_execz .LBB132_58
; %bb.55:                               ;   in Loop: Header=BB132_53 Depth=1
	v_add_co_u32_e32 v2, vcc, v116, v2
	v_addc_co_u32_e32 v3, vcc, 0, v117, vcc
	v_cmp_gt_i64_e32 vcc, s[36:37], v[2:3]
	v_pk_mov_b32 v[118:119], 0, 0
	s_and_saveexec_b64 s[14:15], vcc
	s_cbranch_execz .LBB132_57
; %bb.56:                               ;   in Loop: Header=BB132_53 Depth=1
	v_lshlrev_b64 v[2:3], 3, v[2:3]
	v_mov_b32_e32 v5, s29
	v_add_co_u32_e32 v2, vcc, s28, v2
	v_addc_co_u32_e32 v3, vcc, v5, v3, vcc
	global_load_dwordx2 v[118:119], v[2:3], off
.LBB132_57:                             ;   in Loop: Header=BB132_53 Depth=1
	s_or_b64 exec, exec, s[14:15]
.LBB132_58:                             ;   in Loop: Header=BB132_53 Depth=1
	s_or_b64 exec, exec, s[0:1]
	s_mov_b32 s26, s12
	s_mov_b32 s27, s12
	;; [unrolled: 1-line block ×15, first 2 shown]
	v_pk_mov_b32 v[32:33], s[26:27], s[26:27] op_sel:[0,1]
	v_pk_mov_b32 v[30:31], s[24:25], s[24:25] op_sel:[0,1]
	;; [unrolled: 1-line block ×9, first 2 shown]
	v_cmp_gt_i64_e32 vcc, s[36:37], v[116:117]
	v_pk_mov_b32 v[46:47], v[30:31], v[30:31] op_sel:[0,1]
	v_pk_mov_b32 v[44:45], v[28:29], v[28:29] op_sel:[0,1]
	;; [unrolled: 1-line block ×7, first 2 shown]
	s_and_saveexec_b64 s[0:1], vcc
	s_cbranch_execz .LBB132_60
; %bb.59:                               ;   in Loop: Header=BB132_53 Depth=1
	v_add_co_u32_e32 v2, vcc, v66, v112
	v_addc_co_u32_e32 v3, vcc, v1, v113, vcc
	v_add_co_u32_e32 v6, vcc, v82, v112
	global_load_dwordx2 v[2:3], v[2:3], off
	v_addc_co_u32_e32 v7, vcc, v51, v113, vcc
	global_load_dwordx2 v[18:19], v[6:7], off
	v_mov_b32_e32 v16, v4
	v_mov_b32_e32 v17, v4
	;; [unrolled: 1-line block ×13, first 2 shown]
	s_waitcnt vmcnt(1)
	v_pk_mov_b32 v[48:49], v[16:17], v[16:17] op_sel:[0,1]
	v_mov_b32_e32 v20, v4
	v_mov_b32_e32 v21, v4
	;; [unrolled: 1-line block ×14, first 2 shown]
	v_pk_mov_b32 v[46:47], v[14:15], v[14:15] op_sel:[0,1]
	v_pk_mov_b32 v[44:45], v[12:13], v[12:13] op_sel:[0,1]
	;; [unrolled: 1-line block ×7, first 2 shown]
.LBB132_60:                             ;   in Loop: Header=BB132_53 Depth=1
	s_or_b64 exec, exec, s[0:1]
	v_add_co_u32_e32 v2, vcc, 1, v116
	v_addc_co_u32_e32 v3, vcc, 0, v117, vcc
	v_cmp_gt_i64_e32 vcc, s[36:37], v[2:3]
	s_and_saveexec_b64 s[0:1], vcc
	s_cbranch_execz .LBB132_62
; %bb.61:                               ;   in Loop: Header=BB132_53 Depth=1
	v_add_co_u32_e32 v2, vcc, v108, v112
	v_addc_co_u32_e32 v3, vcc, v105, v113, vcc
	global_load_dwordx2 v[36:37], v[2:3], off
	v_add_co_u32_e32 v2, vcc, v110, v112
	v_addc_co_u32_e32 v3, vcc, v107, v113, vcc
	global_load_dwordx2 v[20:21], v[2:3], off
.LBB132_62:                             ;   in Loop: Header=BB132_53 Depth=1
	s_or_b64 exec, exec, s[0:1]
	v_add_co_u32_e32 v2, vcc, 2, v116
	v_addc_co_u32_e32 v3, vcc, 0, v117, vcc
	v_cmp_gt_i64_e32 vcc, s[36:37], v[2:3]
	s_and_saveexec_b64 s[0:1], vcc
	s_cbranch_execz .LBB132_64
; %bb.63:                               ;   in Loop: Header=BB132_53 Depth=1
	v_add_co_u32_e32 v2, vcc, v104, v112
	v_addc_co_u32_e32 v3, vcc, v101, v113, vcc
	global_load_dwordx2 v[38:39], v[2:3], off
	v_add_co_u32_e32 v2, vcc, v106, v112
	v_addc_co_u32_e32 v3, vcc, v103, v113, vcc
	global_load_dwordx2 v[22:23], v[2:3], off
.LBB132_64:                             ;   in Loop: Header=BB132_53 Depth=1
	;; [unrolled: 14-line block ×7, first 2 shown]
	s_or_b64 exec, exec, s[0:1]
	s_waitcnt vmcnt(0)
	ds_bpermute_b32 v2, v121, v118
	ds_bpermute_b32 v3, v121, v119
	ds_bpermute_b32 v6, v121, v118 offset:4
	ds_bpermute_b32 v7, v121, v119 offset:4
	v_mul_f64 v[8:9], v[18:19], v[34:35]
	ds_bpermute_b32 v10, v121, v118 offset:12
	s_waitcnt lgkmcnt(3)
	v_fma_f64 v[2:3], v[8:9], v[2:3], v[114:115]
	v_mul_f64 v[8:9], v[20:21], v[36:37]
	s_waitcnt lgkmcnt(1)
	v_fmac_f64_e32 v[2:3], v[8:9], v[6:7]
	ds_bpermute_b32 v6, v121, v118 offset:8
	ds_bpermute_b32 v7, v121, v119 offset:8
	;; [unrolled: 1-line block ×5, first 2 shown]
	v_mul_f64 v[8:9], v[22:23], v[38:39]
	s_waitcnt lgkmcnt(3)
	v_fmac_f64_e32 v[2:3], v[8:9], v[6:7]
	v_mul_f64 v[6:7], v[24:25], v[40:41]
	s_waitcnt lgkmcnt(2)
	v_fmac_f64_e32 v[2:3], v[6:7], v[10:11]
	;; [unrolled: 3-line block ×3, first 2 shown]
	ds_bpermute_b32 v6, v121, v118 offset:20
	ds_bpermute_b32 v7, v121, v119 offset:20
	;; [unrolled: 1-line block ×6, first 2 shown]
	v_mul_f64 v[8:9], v[28:29], v[44:45]
	s_waitcnt lgkmcnt(4)
	v_fmac_f64_e32 v[2:3], v[8:9], v[6:7]
	v_mul_f64 v[6:7], v[30:31], v[46:47]
	s_waitcnt lgkmcnt(2)
	v_fmac_f64_e32 v[2:3], v[6:7], v[10:11]
	;; [unrolled: 3-line block ×3, first 2 shown]
	s_branch .LBB132_81
.LBB132_75:                             ;   in Loop: Header=BB132_53 Depth=1
                                        ; implicit-def: $vgpr2_vgpr3
	s_cbranch_execz .LBB132_81
; %bb.76:                               ;   in Loop: Header=BB132_53 Depth=1
	s_load_dword s0, s[10:11], 0x0
	s_waitcnt lgkmcnt(0)
	s_cmp_lt_u32 s6, s0
	s_cselect_b32 s0, 12, 18
	s_add_u32 s0, s10, s0
	s_addc_u32 s1, s11, 0
	global_load_ushort v2, v4, s[0:1]
	s_waitcnt vmcnt(0)
	v_mad_u32_u24 v2, v111, v2, v120
	v_and_b32_e32 v5, 63, v2
	v_cmp_gt_u32_e32 vcc, 8, v5
	v_pk_mov_b32 v[2:3], 0, 0
	s_and_saveexec_b64 s[0:1], vcc
	s_cbranch_execz .LBB132_80
; %bb.77:                               ;   in Loop: Header=BB132_53 Depth=1
	v_add_co_u32_e32 v6, vcc, v116, v5
	v_addc_co_u32_e32 v7, vcc, 0, v117, vcc
	v_cmp_gt_i64_e32 vcc, s[36:37], v[6:7]
	v_pk_mov_b32 v[2:3], 0, 0
	s_and_saveexec_b64 s[14:15], vcc
	s_cbranch_execz .LBB132_79
; %bb.78:                               ;   in Loop: Header=BB132_53 Depth=1
	v_lshlrev_b64 v[2:3], 3, v[6:7]
	v_mov_b32_e32 v5, s29
	v_add_co_u32_e32 v2, vcc, s28, v2
	v_addc_co_u32_e32 v3, vcc, v5, v3, vcc
	global_load_dwordx2 v[2:3], v[2:3], off
.LBB132_79:                             ;   in Loop: Header=BB132_53 Depth=1
	s_or_b64 exec, exec, s[14:15]
.LBB132_80:                             ;   in Loop: Header=BB132_53 Depth=1
	s_or_b64 exec, exec, s[0:1]
	v_add_co_u32_e32 v6, vcc, v66, v112
	v_addc_co_u32_e32 v7, vcc, v1, v113, vcc
	v_add_co_u32_e32 v8, vcc, v82, v112
	v_addc_co_u32_e32 v9, vcc, v51, v113, vcc
	;; [unrolled: 2-line block ×8, first 2 shown]
	v_add_co_u32_e32 v22, vcc, v58, v112
	global_load_dwordx2 v[6:7], v[6:7], off
	v_addc_co_u32_e32 v23, vcc, v59, v113, vcc
	global_load_dwordx2 v[8:9], v[8:9], off
	v_add_co_u32_e32 v24, vcc, v74, v112
	global_load_dwordx2 v[10:11], v[10:11], off
	v_addc_co_u32_e32 v25, vcc, v75, v113, vcc
	global_load_dwordx2 v[12:13], v[12:13], off
	v_add_co_u32_e32 v26, vcc, v60, v112
	v_addc_co_u32_e32 v27, vcc, v61, v113, vcc
	v_add_co_u32_e32 v28, vcc, v76, v112
	global_load_dwordx2 v[14:15], v[14:15], off
	v_addc_co_u32_e32 v29, vcc, v77, v113, vcc
	global_load_dwordx2 v[16:17], v[16:17], off
	v_add_co_u32_e32 v30, vcc, v62, v112
	global_load_dwordx2 v[18:19], v[18:19], off
	v_addc_co_u32_e32 v31, vcc, v63, v113, vcc
	global_load_dwordx2 v[20:21], v[20:21], off
	;; [unrolled: 4-line block ×3, first 2 shown]
	v_add_co_u32_e32 v34, vcc, v64, v112
	v_addc_co_u32_e32 v35, vcc, v65, v113, vcc
	global_load_dwordx2 v[26:27], v[26:27], off
	v_add_co_u32_e32 v36, vcc, v80, v112
	global_load_dwordx2 v[28:29], v[28:29], off
	v_addc_co_u32_e32 v37, vcc, v81, v113, vcc
	global_load_dwordx2 v[30:31], v[30:31], off
	s_waitcnt vmcnt(13)
	ds_bpermute_b32 v38, v121, v2
	global_load_dwordx2 v[32:33], v[32:33], off
	ds_bpermute_b32 v39, v121, v3
	global_load_dwordx2 v[34:35], v[34:35], off
	ds_bpermute_b32 v40, v121, v2 offset:4
	global_load_dwordx2 v[36:37], v[36:37], off
	ds_bpermute_b32 v41, v121, v3 offset:4
	s_waitcnt vmcnt(14)
	v_mul_f64 v[6:7], v[6:7], v[8:9]
	s_waitcnt lgkmcnt(2)
	v_fmac_f64_e32 v[114:115], v[6:7], v[38:39]
	s_waitcnt vmcnt(12)
	v_mul_f64 v[6:7], v[10:11], v[12:13]
	s_waitcnt lgkmcnt(0)
	v_fmac_f64_e32 v[114:115], v[6:7], v[40:41]
	ds_bpermute_b32 v6, v121, v2 offset:8
	ds_bpermute_b32 v7, v121, v3 offset:8
	;; [unrolled: 1-line block ×6, first 2 shown]
	s_waitcnt vmcnt(10)
	v_mul_f64 v[8:9], v[14:15], v[16:17]
	s_waitcnt lgkmcnt(4)
	v_fmac_f64_e32 v[114:115], v[8:9], v[6:7]
	s_waitcnt vmcnt(8)
	v_mul_f64 v[6:7], v[18:19], v[20:21]
	s_waitcnt lgkmcnt(2)
	v_fmac_f64_e32 v[114:115], v[6:7], v[10:11]
	ds_bpermute_b32 v10, v121, v2 offset:24
	ds_bpermute_b32 v11, v121, v3 offset:24
	s_waitcnt vmcnt(6)
	v_mul_f64 v[6:7], v[22:23], v[24:25]
	s_waitcnt lgkmcnt(2)
	v_fmac_f64_e32 v[114:115], v[6:7], v[12:13]
	ds_bpermute_b32 v6, v121, v2 offset:20
	ds_bpermute_b32 v7, v121, v3 offset:20
	;; [unrolled: 1-line block ×4, first 2 shown]
	s_waitcnt vmcnt(4)
	v_mul_f64 v[8:9], v[26:27], v[28:29]
	s_waitcnt lgkmcnt(2)
	v_fmac_f64_e32 v[114:115], v[8:9], v[6:7]
	s_waitcnt vmcnt(2)
	v_mul_f64 v[6:7], v[30:31], v[32:33]
	v_fmac_f64_e32 v[114:115], v[6:7], v[10:11]
	s_waitcnt vmcnt(0)
	v_mul_f64 v[6:7], v[34:35], v[36:37]
	s_waitcnt lgkmcnt(0)
	v_fmac_f64_e32 v[114:115], v[6:7], v[2:3]
	v_pk_mov_b32 v[2:3], v[114:115], v[114:115] op_sel:[0,1]
.LBB132_81:                             ;   in Loop: Header=BB132_53 Depth=1
	v_mov_b32_e32 v5, s9
	v_add_co_u32_e32 v50, vcc, s7, v50
	v_addc_co_u32_e32 v109, vcc, v109, v5, vcc
	v_mov_b32_e32 v5, s35
	v_add_co_u32_e32 v52, vcc, s34, v52
	v_addc_co_u32_e32 v53, vcc, v53, v5, vcc
	v_add_co_u32_e32 v54, vcc, s34, v54
	v_addc_co_u32_e32 v55, vcc, v55, v5, vcc
	;; [unrolled: 2-line block ×29, first 2 shown]
	s_add_u32 s42, s42, s7
	v_add_co_u32_e32 v110, vcc, s34, v110
	s_addc_u32 s43, s43, 0
	v_addc_co_u32_e32 v107, vcc, v107, v5, vcc
	v_pk_mov_b32 v[6:7], s[36:37], s[36:37] op_sel:[0,1]
	s_add_u32 s40, s40, s7
	v_cmp_ge_i64_e32 vcc, s[42:43], v[6:7]
	s_addc_u32 s41, s41, 0
	s_cbranch_vccnz .LBB132_83
; %bb.82:                               ;   in Loop: Header=BB132_53 Depth=1
	v_pk_mov_b32 v[114:115], v[2:3], v[2:3] op_sel:[0,1]
	s_branch .LBB132_53
.LBB132_83:
	s_mov_b32 s7, 0
	s_lshl_b64 s[0:1], s[6:7], 5
	v_and_b32_e32 v1, 0x3ff, v0
	v_or_b32_e32 v4, s0, v1
	v_mov_b32_e32 v5, s1
	s_waitcnt lgkmcnt(0)
	s_cmp_lg_u64 s[2:3], 0
	v_cmp_gt_i64_e32 vcc, s[38:39], v[4:5]
	s_cselect_b64 s[0:1], -1, 0
	s_and_b64 s[0:1], vcc, s[0:1]
	s_and_saveexec_b64 s[6:7], s[0:1]
	s_cbranch_execz .LBB132_85
; %bb.84:
	s_load_dword s0, s[4:5], 0x4c
	v_bfe_u32 v0, v0, 10, 10
	v_mov_b32_e32 v1, 0
	v_mov_b32_e32 v6, s8
	s_waitcnt lgkmcnt(0)
	s_lshr_b32 s0, s0, 16
	v_mad_u64_u32 v[0:1], s[0:1], s0, v6, v[0:1]
	v_mul_lo_u32 v6, v1, s38
	v_mul_lo_u32 v7, v0, s39
	v_mad_u64_u32 v[0:1], s[0:1], v0, s38, 0
	v_add3_u32 v1, v1, v7, v6
	v_lshlrev_b64 v[0:1], 3, v[0:1]
	v_mov_b32_e32 v6, s3
	v_add_co_u32_e32 v7, vcc, s2, v0
	v_addc_co_u32_e32 v6, vcc, v6, v1, vcc
	v_lshlrev_b64 v[0:1], 3, v[4:5]
	v_add_co_u32_e32 v0, vcc, v7, v0
	v_addc_co_u32_e32 v1, vcc, v6, v1, vcc
	global_store_dwordx2 v[0:1], v[2:3], off
.LBB132_85:
	s_endpgm
	.section	.rodata,"a",@progbits
	.p2align	6, 0x0
	.amdhsa_kernel _ZN2at6native12_GLOBAL__N_135GammaBetaBackwardCUDAKernelTemplateIddLj32ELj1ELj8ELb1ELb0ELb1EEEvllPKT_S5_PKT0_S8_PS3_S9_
		.amdhsa_group_segment_fixed_size 0
		.amdhsa_private_segment_fixed_size 0
		.amdhsa_kernarg_size 320
		.amdhsa_user_sgpr_count 6
		.amdhsa_user_sgpr_private_segment_buffer 1
		.amdhsa_user_sgpr_dispatch_ptr 0
		.amdhsa_user_sgpr_queue_ptr 0
		.amdhsa_user_sgpr_kernarg_segment_ptr 1
		.amdhsa_user_sgpr_dispatch_id 0
		.amdhsa_user_sgpr_flat_scratch_init 0
		.amdhsa_user_sgpr_kernarg_preload_length 0
		.amdhsa_user_sgpr_kernarg_preload_offset 0
		.amdhsa_user_sgpr_private_segment_size 0
		.amdhsa_uses_dynamic_stack 0
		.amdhsa_system_sgpr_private_segment_wavefront_offset 0
		.amdhsa_system_sgpr_workgroup_id_x 1
		.amdhsa_system_sgpr_workgroup_id_y 1
		.amdhsa_system_sgpr_workgroup_id_z 0
		.amdhsa_system_sgpr_workgroup_info 0
		.amdhsa_system_vgpr_workitem_id 1
		.amdhsa_next_free_vgpr 122
		.amdhsa_next_free_sgpr 52
		.amdhsa_accum_offset 124
		.amdhsa_reserve_vcc 1
		.amdhsa_reserve_flat_scratch 0
		.amdhsa_float_round_mode_32 0
		.amdhsa_float_round_mode_16_64 0
		.amdhsa_float_denorm_mode_32 3
		.amdhsa_float_denorm_mode_16_64 3
		.amdhsa_dx10_clamp 1
		.amdhsa_ieee_mode 1
		.amdhsa_fp16_overflow 0
		.amdhsa_tg_split 0
		.amdhsa_exception_fp_ieee_invalid_op 0
		.amdhsa_exception_fp_denorm_src 0
		.amdhsa_exception_fp_ieee_div_zero 0
		.amdhsa_exception_fp_ieee_overflow 0
		.amdhsa_exception_fp_ieee_underflow 0
		.amdhsa_exception_fp_ieee_inexact 0
		.amdhsa_exception_int_div_zero 0
	.end_amdhsa_kernel
	.section	.text._ZN2at6native12_GLOBAL__N_135GammaBetaBackwardCUDAKernelTemplateIddLj32ELj1ELj8ELb1ELb0ELb1EEEvllPKT_S5_PKT0_S8_PS3_S9_,"axG",@progbits,_ZN2at6native12_GLOBAL__N_135GammaBetaBackwardCUDAKernelTemplateIddLj32ELj1ELj8ELb1ELb0ELb1EEEvllPKT_S5_PKT0_S8_PS3_S9_,comdat
.Lfunc_end132:
	.size	_ZN2at6native12_GLOBAL__N_135GammaBetaBackwardCUDAKernelTemplateIddLj32ELj1ELj8ELb1ELb0ELb1EEEvllPKT_S5_PKT0_S8_PS3_S9_, .Lfunc_end132-_ZN2at6native12_GLOBAL__N_135GammaBetaBackwardCUDAKernelTemplateIddLj32ELj1ELj8ELb1ELb0ELb1EEEvllPKT_S5_PKT0_S8_PS3_S9_
                                        ; -- End function
	.section	.AMDGPU.csdata,"",@progbits
; Kernel info:
; codeLenInByte = 6920
; NumSgprs: 56
; NumVgprs: 122
; NumAgprs: 0
; TotalNumVgprs: 122
; ScratchSize: 0
; MemoryBound: 1
; FloatMode: 240
; IeeeMode: 1
; LDSByteSize: 0 bytes/workgroup (compile time only)
; SGPRBlocks: 6
; VGPRBlocks: 15
; NumSGPRsForWavesPerEU: 56
; NumVGPRsForWavesPerEU: 122
; AccumOffset: 124
; Occupancy: 4
; WaveLimiterHint : 0
; COMPUTE_PGM_RSRC2:SCRATCH_EN: 0
; COMPUTE_PGM_RSRC2:USER_SGPR: 6
; COMPUTE_PGM_RSRC2:TRAP_HANDLER: 0
; COMPUTE_PGM_RSRC2:TGID_X_EN: 1
; COMPUTE_PGM_RSRC2:TGID_Y_EN: 1
; COMPUTE_PGM_RSRC2:TGID_Z_EN: 0
; COMPUTE_PGM_RSRC2:TIDIG_COMP_CNT: 1
; COMPUTE_PGM_RSRC3_GFX90A:ACCUM_OFFSET: 30
; COMPUTE_PGM_RSRC3_GFX90A:TG_SPLIT: 0
	.section	.text._ZN2at6native12_GLOBAL__N_135GammaBetaBackwardCUDAKernelTemplateIddLj32ELj8ELj64ELb0ELb1ELb1EEEvllPKT_S5_PKT0_S8_PS3_S9_,"axG",@progbits,_ZN2at6native12_GLOBAL__N_135GammaBetaBackwardCUDAKernelTemplateIddLj32ELj8ELj64ELb0ELb1ELb1EEEvllPKT_S5_PKT0_S8_PS3_S9_,comdat
	.globl	_ZN2at6native12_GLOBAL__N_135GammaBetaBackwardCUDAKernelTemplateIddLj32ELj8ELj64ELb0ELb1ELb1EEEvllPKT_S5_PKT0_S8_PS3_S9_ ; -- Begin function _ZN2at6native12_GLOBAL__N_135GammaBetaBackwardCUDAKernelTemplateIddLj32ELj8ELj64ELb0ELb1ELb1EEEvllPKT_S5_PKT0_S8_PS3_S9_
	.p2align	8
	.type	_ZN2at6native12_GLOBAL__N_135GammaBetaBackwardCUDAKernelTemplateIddLj32ELj8ELj64ELb0ELb1ELb1EEEvllPKT_S5_PKT0_S8_PS3_S9_,@function
_ZN2at6native12_GLOBAL__N_135GammaBetaBackwardCUDAKernelTemplateIddLj32ELj8ELj64ELb0ELb1ELb1EEEvllPKT_S5_PKT0_S8_PS3_S9_: ; @_ZN2at6native12_GLOBAL__N_135GammaBetaBackwardCUDAKernelTemplateIddLj32ELj8ELj64ELb0ELb1ELb1EEEvllPKT_S5_PKT0_S8_PS3_S9_
; %bb.0:
	s_load_dwordx4 s[8:11], s[4:5], 0x0
	s_lshl_b32 s16, s7, 6
	s_mov_b32 s17, 0
	v_bfe_u32 v16, v0, 10, 10
	s_waitcnt lgkmcnt(0)
	v_pk_mov_b32 v[2:3], s[8:9], s[8:9] op_sel:[0,1]
	v_cmp_lt_i64_e32 vcc, s[16:17], v[2:3]
	s_cbranch_vccnz .LBB133_2
; %bb.1:
	s_mov_b64 s[0:1], 0
	s_mov_b64 s[12:13], 0
	v_bfe_u32 v1, v0, 10, 10
	s_branch .LBB133_3
.LBB133_2:
	s_mov_b64 s[0:1], -1
                                        ; implicit-def: $sgpr12_sgpr13
                                        ; implicit-def: $vgpr1
.LBB133_3:
	s_load_dwordx2 s[2:3], s[4:5], 0x30
	v_and_b32_e32 v14, 0x3ff, v0
	s_andn2_b64 vcc, exec, s[0:1]
	v_pk_mov_b32 v[6:7], s[12:13], s[12:13] op_sel:[0,1]
	v_mbcnt_lo_u32_b32 v15, -1, 0
	s_cbranch_vccnz .LBB133_11
; %bb.4:
	s_load_dword s0, s[4:5], 0x4c
	s_load_dword s7, s[4:5], 0x44
	s_load_dwordx4 s[12:15], s[4:5], 0x10
	s_load_dwordx2 s[18:19], s[4:5], 0x28
	v_mbcnt_hi_u32_b32 v2, -1, v15
	v_lshlrev_b32_e32 v0, 3, v16
	s_waitcnt lgkmcnt(0)
	s_and_b32 s0, s0, 0xffff
	v_lshlrev_b32_e32 v2, 2, v2
	v_mad_u32_u24 v1, v16, s0, v14
	v_and_b32_e32 v17, 0x100, v2
	v_mov_b32_e32 v2, s17
	v_add_co_u32_e32 v6, vcc, s16, v0
	v_and_b32_e32 v1, 63, v1
	v_addc_co_u32_e32 v7, vcc, 0, v2, vcc
	v_add_co_u32_e32 v0, vcc, v6, v1
	v_cmp_gt_u32_e64 s[0:1], 8, v1
	v_addc_co_u32_e32 v1, vcc, 0, v7, vcc
	v_lshlrev_b64 v[2:3], 3, v[0:1]
	v_mov_b32_e32 v8, s19
	v_add_co_u32_e32 v2, vcc, s18, v2
	s_lshl_b32 s4, s7, 6
	v_addc_co_u32_e32 v3, vcc, v8, v3, vcc
	v_mul_lo_u32 v8, s11, v6
	v_mul_lo_u32 v9, s10, v7
	v_mad_u64_u32 v[6:7], s[20:21], s10, v6, 0
	v_mov_b32_e32 v5, 0
	v_lshl_add_u32 v4, s6, 5, v14
	v_add3_u32 v7, v7, v9, v8
	s_mul_i32 s7, s11, s4
	s_mul_hi_u32 s20, s10, s4
	s_mov_b32 s5, 0
	v_lshlrev_b64 v[6:7], 3, v[6:7]
	v_lshlrev_b64 v[4:5], 3, v[4:5]
	s_add_i32 s21, s20, s7
	s_mul_i32 s20, s10, s4
	s_lshl_b64 s[18:19], s[4:5], 3
	v_add_co_u32_e32 v4, vcc, v6, v4
	s_lshl_b64 s[20:21], s[20:21], 3
	s_lshl_b64 s[10:11], s[10:11], 3
	v_pk_mov_b32 v[8:9], 0, 0
	v_or_b32_e32 v18, 4, v17
	v_or_b32_e32 v19, 8, v17
	;; [unrolled: 1-line block ×7, first 2 shown]
	v_addc_co_u32_e32 v5, vcc, v7, v5, vcc
	v_mov_b32_e32 v25, s13
	v_mov_b32_e32 v26, s15
	;; [unrolled: 1-line block ×6, first 2 shown]
	v_pk_mov_b32 v[10:11], s[8:9], s[8:9] op_sel:[0,1]
	v_pk_mov_b32 v[6:7], v[8:9], v[8:9] op_sel:[0,1]
	s_branch .LBB133_7
.LBB133_5:                              ;   in Loop: Header=BB133_7 Depth=1
	s_or_b64 exec, exec, s[24:25]
.LBB133_6:                              ;   in Loop: Header=BB133_7 Depth=1
	s_or_b64 exec, exec, s[22:23]
	v_add_co_u32_e32 v32, vcc, s12, v4
	v_addc_co_u32_e32 v33, vcc, v25, v5, vcc
	v_add_co_u32_e32 v36, vcc, s14, v4
	v_addc_co_u32_e32 v37, vcc, v26, v5, vcc
	global_load_dwordx2 v[34:35], v[32:33], off
	v_add_co_u32_e32 v32, vcc, s10, v32
	v_addc_co_u32_e32 v33, vcc, v33, v27, vcc
	global_load_dwordx2 v[38:39], v[36:37], off
	;; [unrolled: 3-line block ×13, first 2 shown]
	v_add_co_u32_e32 v32, vcc, s10, v32
	v_addc_co_u32_e32 v33, vcc, v33, v27, vcc
	v_add_co_u32_e32 v62, vcc, s10, v36
	v_addc_co_u32_e32 v63, vcc, v37, v27, vcc
	global_load_dwordx2 v[36:37], v[36:37], off
	s_nop 0
	global_load_dwordx2 v[32:33], v[32:33], off
	s_nop 0
	global_load_dwordx2 v[62:63], v[62:63], off
	v_add_co_u32_e32 v2, vcc, s18, v2
	v_addc_co_u32_e32 v3, vcc, v3, v28, vcc
	v_add_co_u32_e32 v0, vcc, s4, v0
	v_addc_co_u32_e32 v1, vcc, v1, v29, vcc
	s_add_u32 s16, s16, s4
	v_add_co_u32_e32 v4, vcc, s20, v4
	s_addc_u32 s17, s17, 0
	v_addc_co_u32_e32 v5, vcc, v5, v30, vcc
	v_cmp_lt_i64_e32 vcc, s[16:17], v[10:11]
	s_waitcnt vmcnt(14)
	v_mul_f64 v[34:35], v[34:35], v[38:39]
	ds_bpermute_b32 v38, v17, v12
	ds_bpermute_b32 v39, v17, v13
	s_and_b64 vcc, exec, vcc
	s_waitcnt lgkmcnt(0)
	v_fmac_f64_e32 v[6:7], v[34:35], v[38:39]
	ds_bpermute_b32 v34, v18, v12
	ds_bpermute_b32 v35, v18, v13
	s_waitcnt vmcnt(12)
	v_mul_f64 v[38:39], v[40:41], v[42:43]
	ds_bpermute_b32 v40, v20, v12
	ds_bpermute_b32 v41, v20, v13
	ds_bpermute_b32 v42, v21, v12
	s_waitcnt lgkmcnt(3)
	v_fmac_f64_e32 v[6:7], v[38:39], v[34:35]
	ds_bpermute_b32 v34, v19, v12
	ds_bpermute_b32 v35, v19, v13
	ds_bpermute_b32 v43, v21, v13
	s_waitcnt vmcnt(10)
	v_mul_f64 v[38:39], v[44:45], v[46:47]
	s_waitcnt lgkmcnt(1)
	v_fmac_f64_e32 v[6:7], v[38:39], v[34:35]
	s_waitcnt vmcnt(8)
	v_mul_f64 v[34:35], v[48:49], v[50:51]
	v_fmac_f64_e32 v[6:7], v[34:35], v[40:41]
	ds_bpermute_b32 v40, v23, v12
	ds_bpermute_b32 v41, v23, v13
	s_waitcnt vmcnt(6)
	v_mul_f64 v[34:35], v[52:53], v[54:55]
	s_waitcnt lgkmcnt(2)
	v_fmac_f64_e32 v[6:7], v[34:35], v[42:43]
	ds_bpermute_b32 v34, v22, v12
	ds_bpermute_b32 v35, v22, v13
	;; [unrolled: 1-line block ×4, first 2 shown]
	s_waitcnt vmcnt(4)
	v_mul_f64 v[38:39], v[56:57], v[58:59]
	s_waitcnt lgkmcnt(2)
	v_fmac_f64_e32 v[6:7], v[38:39], v[34:35]
	s_waitcnt vmcnt(2)
	v_mul_f64 v[34:35], v[60:61], v[36:37]
	v_fmac_f64_e32 v[6:7], v[34:35], v[40:41]
	s_waitcnt vmcnt(0)
	v_mul_f64 v[32:33], v[32:33], v[62:63]
	s_waitcnt lgkmcnt(0)
	v_fmac_f64_e32 v[6:7], v[32:33], v[12:13]
	s_cbranch_vccz .LBB133_10
.LBB133_7:                              ; =>This Inner Loop Header: Depth=1
	v_pk_mov_b32 v[12:13], v[8:9], v[8:9] op_sel:[0,1]
	s_and_saveexec_b64 s[22:23], s[0:1]
	s_cbranch_execz .LBB133_6
; %bb.8:                                ;   in Loop: Header=BB133_7 Depth=1
	v_cmp_gt_i64_e32 vcc, s[8:9], v[0:1]
	v_pk_mov_b32 v[12:13], 0, 0
	s_and_saveexec_b64 s[24:25], vcc
	s_cbranch_execz .LBB133_5
; %bb.9:                                ;   in Loop: Header=BB133_7 Depth=1
	global_load_dwordx2 v[12:13], v[2:3], off
	s_branch .LBB133_5
.LBB133_10:
	v_mov_b32_e32 v1, v16
.LBB133_11:
	v_mad_u32_u24 v0, v1, 33, v14
	v_lshl_add_u32 v4, v0, 3, 0
	v_mov_b32_e32 v2, 0
	v_sub_u32_e32 v0, v0, v1
	s_movk_i32 s0, 0x800
	s_mov_b32 s7, 0
	v_mov_b32_e32 v3, v2
	v_cmp_gt_u32_e32 vcc, s0, v0
	ds_write_b64 v4, v[6:7]
	ds_write_b64 v4, v[2:3] offset:2112
	s_waitcnt lgkmcnt(0)
	s_barrier
	s_and_saveexec_b64 s[0:1], vcc
	s_cbranch_execz .LBB133_18
; %bb.12:
	v_mbcnt_hi_u32_b32 v2, -1, v15
	v_and_b32_e32 v3, 64, v2
	s_cmp_lg_u64 s[2:3], 0
	v_add_u32_e32 v3, 64, v3
	v_cmp_eq_u32_e64 s[0:1], 0, v14
	s_cselect_b64 s[8:9], -1, 0
	v_xor_b32_e32 v4, 4, v2
	s_and_b64 s[8:9], s[0:1], s[8:9]
	v_cmp_lt_i32_e64 s[0:1], v4, v3
	v_xor_b32_e32 v5, 2, v2
	v_cndmask_b32_e64 v4, v2, v4, s[0:1]
	v_cmp_lt_i32_e64 s[0:1], v5, v3
	v_xor_b32_e32 v6, 1, v2
	v_cndmask_b32_e64 v5, v2, v5, s[0:1]
	v_cmp_lt_i32_e64 s[0:1], v6, v3
	v_cndmask_b32_e64 v2, v2, v6, s[0:1]
	s_lshl_b64 s[0:1], s[6:7], 8
	v_lshrrev_b32_e32 v1, 6, v0
	v_and_b32_e32 v0, 63, v0
	s_add_u32 s0, s2, s0
	v_cmp_gt_u32_e32 vcc, 8, v0
	v_mul_u32_u24_e32 v0, 0x108, v0
	v_lshlrev_b32_e32 v6, 2, v2
	v_lshlrev_b32_e32 v2, 3, v1
	s_addc_u32 s1, s3, s1
	v_add3_u32 v7, v0, v2, 0
	v_add_u32_e32 v8, -4, v1
	v_mov_b32_e32 v1, s1
	v_add_co_u32_e64 v0, s[0:1], s0, v2
	s_mov_b64 s[4:5], 0
	v_lshlrev_b32_e32 v4, 2, v4
	v_lshlrev_b32_e32 v5, 2, v5
	v_addc_co_u32_e64 v1, s[0:1], 0, v1, s[0:1]
                                        ; implicit-def: $vgpr2_vgpr3
	s_branch .LBB133_14
.LBB133_13:                             ;   in Loop: Header=BB133_14 Depth=1
	s_or_b64 exec, exec, s[0:1]
	v_add_u32_e32 v8, 4, v8
	v_cmp_lt_u32_e64 s[0:1], 27, v8
	s_or_b64 s[4:5], s[0:1], s[4:5]
	v_add_co_u32_e64 v0, s[0:1], 32, v0
	v_add_u32_e32 v7, 32, v7
	v_addc_co_u32_e64 v1, s[0:1], 0, v1, s[0:1]
	s_andn2_b64 exec, exec, s[4:5]
	s_cbranch_execz .LBB133_18
.LBB133_14:                             ; =>This Inner Loop Header: Depth=1
	s_and_saveexec_b64 s[0:1], vcc
	s_cbranch_execz .LBB133_16
; %bb.15:                               ;   in Loop: Header=BB133_14 Depth=1
	ds_read_b64 v[2:3], v7
.LBB133_16:                             ;   in Loop: Header=BB133_14 Depth=1
	s_or_b64 exec, exec, s[0:1]
	s_waitcnt lgkmcnt(0)
	ds_bpermute_b32 v10, v4, v2
	ds_bpermute_b32 v11, v4, v3
	s_waitcnt lgkmcnt(0)
	v_add_f64 v[2:3], v[2:3], v[10:11]
	ds_bpermute_b32 v10, v5, v2
	ds_bpermute_b32 v11, v5, v3
	s_waitcnt lgkmcnt(0)
	v_add_f64 v[2:3], v[2:3], v[10:11]
	;; [unrolled: 4-line block ×3, first 2 shown]
	s_and_saveexec_b64 s[0:1], s[8:9]
	s_cbranch_execz .LBB133_13
; %bb.17:                               ;   in Loop: Header=BB133_14 Depth=1
	global_store_dwordx2 v[0:1], v[2:3], off
	s_branch .LBB133_13
.LBB133_18:
	s_endpgm
	.section	.rodata,"a",@progbits
	.p2align	6, 0x0
	.amdhsa_kernel _ZN2at6native12_GLOBAL__N_135GammaBetaBackwardCUDAKernelTemplateIddLj32ELj8ELj64ELb0ELb1ELb1EEEvllPKT_S5_PKT0_S8_PS3_S9_
		.amdhsa_group_segment_fixed_size 0
		.amdhsa_private_segment_fixed_size 0
		.amdhsa_kernarg_size 320
		.amdhsa_user_sgpr_count 6
		.amdhsa_user_sgpr_private_segment_buffer 1
		.amdhsa_user_sgpr_dispatch_ptr 0
		.amdhsa_user_sgpr_queue_ptr 0
		.amdhsa_user_sgpr_kernarg_segment_ptr 1
		.amdhsa_user_sgpr_dispatch_id 0
		.amdhsa_user_sgpr_flat_scratch_init 0
		.amdhsa_user_sgpr_kernarg_preload_length 0
		.amdhsa_user_sgpr_kernarg_preload_offset 0
		.amdhsa_user_sgpr_private_segment_size 0
		.amdhsa_uses_dynamic_stack 0
		.amdhsa_system_sgpr_private_segment_wavefront_offset 0
		.amdhsa_system_sgpr_workgroup_id_x 1
		.amdhsa_system_sgpr_workgroup_id_y 1
		.amdhsa_system_sgpr_workgroup_id_z 0
		.amdhsa_system_sgpr_workgroup_info 0
		.amdhsa_system_vgpr_workitem_id 1
		.amdhsa_next_free_vgpr 64
		.amdhsa_next_free_sgpr 26
		.amdhsa_accum_offset 64
		.amdhsa_reserve_vcc 1
		.amdhsa_reserve_flat_scratch 0
		.amdhsa_float_round_mode_32 0
		.amdhsa_float_round_mode_16_64 0
		.amdhsa_float_denorm_mode_32 3
		.amdhsa_float_denorm_mode_16_64 3
		.amdhsa_dx10_clamp 1
		.amdhsa_ieee_mode 1
		.amdhsa_fp16_overflow 0
		.amdhsa_tg_split 0
		.amdhsa_exception_fp_ieee_invalid_op 0
		.amdhsa_exception_fp_denorm_src 0
		.amdhsa_exception_fp_ieee_div_zero 0
		.amdhsa_exception_fp_ieee_overflow 0
		.amdhsa_exception_fp_ieee_underflow 0
		.amdhsa_exception_fp_ieee_inexact 0
		.amdhsa_exception_int_div_zero 0
	.end_amdhsa_kernel
	.section	.text._ZN2at6native12_GLOBAL__N_135GammaBetaBackwardCUDAKernelTemplateIddLj32ELj8ELj64ELb0ELb1ELb1EEEvllPKT_S5_PKT0_S8_PS3_S9_,"axG",@progbits,_ZN2at6native12_GLOBAL__N_135GammaBetaBackwardCUDAKernelTemplateIddLj32ELj8ELj64ELb0ELb1ELb1EEEvllPKT_S5_PKT0_S8_PS3_S9_,comdat
.Lfunc_end133:
	.size	_ZN2at6native12_GLOBAL__N_135GammaBetaBackwardCUDAKernelTemplateIddLj32ELj8ELj64ELb0ELb1ELb1EEEvllPKT_S5_PKT0_S8_PS3_S9_, .Lfunc_end133-_ZN2at6native12_GLOBAL__N_135GammaBetaBackwardCUDAKernelTemplateIddLj32ELj8ELj64ELb0ELb1ELb1EEEvllPKT_S5_PKT0_S8_PS3_S9_
                                        ; -- End function
	.section	.AMDGPU.csdata,"",@progbits
; Kernel info:
; codeLenInByte = 1504
; NumSgprs: 30
; NumVgprs: 64
; NumAgprs: 0
; TotalNumVgprs: 64
; ScratchSize: 0
; MemoryBound: 0
; FloatMode: 240
; IeeeMode: 1
; LDSByteSize: 0 bytes/workgroup (compile time only)
; SGPRBlocks: 3
; VGPRBlocks: 7
; NumSGPRsForWavesPerEU: 30
; NumVGPRsForWavesPerEU: 64
; AccumOffset: 64
; Occupancy: 8
; WaveLimiterHint : 0
; COMPUTE_PGM_RSRC2:SCRATCH_EN: 0
; COMPUTE_PGM_RSRC2:USER_SGPR: 6
; COMPUTE_PGM_RSRC2:TRAP_HANDLER: 0
; COMPUTE_PGM_RSRC2:TGID_X_EN: 1
; COMPUTE_PGM_RSRC2:TGID_Y_EN: 1
; COMPUTE_PGM_RSRC2:TGID_Z_EN: 0
; COMPUTE_PGM_RSRC2:TIDIG_COMP_CNT: 1
; COMPUTE_PGM_RSRC3_GFX90A:ACCUM_OFFSET: 15
; COMPUTE_PGM_RSRC3_GFX90A:TG_SPLIT: 0
	.section	.text._ZN2at6native12_GLOBAL__N_135GammaBetaBackwardCUDAKernelTemplateIddLj32ELj8ELj64ELb0ELb0ELb1EEEvllPKT_S5_PKT0_S8_PS3_S9_,"axG",@progbits,_ZN2at6native12_GLOBAL__N_135GammaBetaBackwardCUDAKernelTemplateIddLj32ELj8ELj64ELb0ELb0ELb1EEEvllPKT_S5_PKT0_S8_PS3_S9_,comdat
	.globl	_ZN2at6native12_GLOBAL__N_135GammaBetaBackwardCUDAKernelTemplateIddLj32ELj8ELj64ELb0ELb0ELb1EEEvllPKT_S5_PKT0_S8_PS3_S9_ ; -- Begin function _ZN2at6native12_GLOBAL__N_135GammaBetaBackwardCUDAKernelTemplateIddLj32ELj8ELj64ELb0ELb0ELb1EEEvllPKT_S5_PKT0_S8_PS3_S9_
	.p2align	8
	.type	_ZN2at6native12_GLOBAL__N_135GammaBetaBackwardCUDAKernelTemplateIddLj32ELj8ELj64ELb0ELb0ELb1EEEvllPKT_S5_PKT0_S8_PS3_S9_,@function
_ZN2at6native12_GLOBAL__N_135GammaBetaBackwardCUDAKernelTemplateIddLj32ELj8ELj64ELb0ELb0ELb1EEEvllPKT_S5_PKT0_S8_PS3_S9_: ; @_ZN2at6native12_GLOBAL__N_135GammaBetaBackwardCUDAKernelTemplateIddLj32ELj8ELj64ELb0ELb0ELb1EEEvllPKT_S5_PKT0_S8_PS3_S9_
; %bb.0:
	s_load_dwordx8 s[36:43], s[4:5], 0x0
	s_load_dwordx2 s[28:29], s[4:5], 0x28
	s_lshl_b32 s33, s6, 5
	s_or_b32 s30, s33, 31
	s_mov_b32 s31, 0
	s_waitcnt lgkmcnt(0)
	v_pk_mov_b32 v[2:3], s[38:39], s[38:39] op_sel:[0,1]
	v_cmp_ge_i64_e32 vcc, s[30:31], v[2:3]
	s_lshl_b32 s30, s7, 6
	v_pk_mov_b32 v[2:3], s[36:37], s[36:37] op_sel:[0,1]
	v_cmp_lt_i64_e64 s[0:1], s[30:31], v[2:3]
	v_cndmask_b32_e64 v1, 0, 1, s[0:1]
	v_cmp_ne_u32_e64 s[0:1], 1, v1
	s_cbranch_vccz .LBB134_49
; %bb.1:
	s_and_b64 vcc, exec, s[0:1]
	v_pk_mov_b32 v[2:3], 0, 0
	s_cbranch_vccnz .LBB134_50
; %bb.2:
	v_bfe_u32 v85, v0, 10, 10
	v_lshlrev_b32_e32 v50, 3, v85
	v_mov_b32_e32 v1, s31
	v_add_co_u32_e32 v5, vcc, s30, v50
	v_and_b32_e32 v83, 0x3ff, v0
	v_mov_b32_e32 v4, 0
	v_addc_co_u32_e32 v6, vcc, 0, v1, vcc
	v_add_u32_e32 v2, s33, v83
	v_mov_b32_e32 v3, v4
	v_add_co_u32_e32 v1, vcc, 7, v5
	v_cmp_gt_i64_e64 s[2:3], s[38:39], v[2:3]
	v_lshlrev_b64 v[52:53], 3, v[2:3]
	v_addc_co_u32_e32 v2, vcc, 0, v6, vcc
	v_mul_lo_u32 v7, s39, v1
	v_mul_lo_u32 v8, s38, v2
	v_mad_u64_u32 v[2:3], s[8:9], s38, v1, 0
	s_load_dword s7, s[4:5], 0x44
	v_add3_u32 v3, v3, v8, v7
	v_lshlrev_b64 v[2:3], 3, v[2:3]
	v_mov_b32_e32 v7, s41
	v_add_co_u32_e32 v54, vcc, s40, v2
	v_addc_co_u32_e32 v1, vcc, v7, v3, vcc
	s_add_u32 s10, s4, 64
	v_mov_b32_e32 v8, s43
	v_add_co_u32_e32 v56, vcc, s42, v2
	s_addc_u32 s11, s5, 0
	s_waitcnt lgkmcnt(0)
	s_lshl_b32 s7, s7, 6
	v_addc_co_u32_e32 v51, vcc, v8, v3, vcc
	s_mul_i32 s8, s39, s7
	s_mul_hi_u32 s9, s38, s7
	v_add_co_u32_e32 v2, vcc, 6, v5
	s_add_i32 s9, s9, s8
	s_mul_i32 s8, s38, s7
	v_addc_co_u32_e32 v3, vcc, 0, v6, vcc
	s_lshl_b64 s[34:35], s[8:9], 3
	v_mul_lo_u32 v9, s39, v2
	v_mul_lo_u32 v10, s38, v3
	v_mad_u64_u32 v[2:3], s[8:9], s38, v2, 0
	v_add3_u32 v3, v3, v10, v9
	v_lshlrev_b64 v[2:3], 3, v[2:3]
	v_add_co_u32_e32 v58, vcc, s40, v2
	v_addc_co_u32_e32 v55, vcc, v7, v3, vcc
	v_add_co_u32_e32 v60, vcc, s42, v2
	v_addc_co_u32_e32 v57, vcc, v8, v3, vcc
	v_add_co_u32_e32 v2, vcc, 5, v5
	v_addc_co_u32_e32 v3, vcc, 0, v6, vcc
	v_mul_lo_u32 v9, s39, v2
	v_mul_lo_u32 v10, s38, v3
	v_mad_u64_u32 v[2:3], s[8:9], s38, v2, 0
	v_add3_u32 v3, v3, v10, v9
	v_lshlrev_b64 v[2:3], 3, v[2:3]
	v_add_co_u32_e32 v62, vcc, s40, v2
	v_addc_co_u32_e32 v59, vcc, v7, v3, vcc
	v_add_co_u32_e32 v64, vcc, s42, v2
	v_addc_co_u32_e32 v61, vcc, v8, v3, vcc
	v_add_co_u32_e32 v2, vcc, 4, v5
	v_addc_co_u32_e32 v3, vcc, 0, v6, vcc
	;; [unrolled: 11-line block ×4, first 2 shown]
	v_mul_lo_u32 v9, s39, v2
	v_mul_lo_u32 v10, s38, v3
	v_mad_u64_u32 v[2:3], s[8:9], s38, v2, 0
	v_add3_u32 v3, v3, v10, v9
	v_lshlrev_b64 v[2:3], 3, v[2:3]
	v_add_co_u32_e32 v74, vcc, s40, v2
	v_addc_co_u32_e32 v71, vcc, v7, v3, vcc
	v_add_co_u32_e32 v76, vcc, s42, v2
	v_addc_co_u32_e32 v73, vcc, v8, v3, vcc
	v_pk_mov_b32 v[2:3], s[38:39], s[38:39] op_sel:[0,1]
	v_mad_u64_u32 v[2:3], s[8:9], s38, v5, v[2:3]
	v_mul_lo_u32 v6, s38, v6
	v_mul_lo_u32 v9, s39, v5
	v_add3_u32 v3, v9, v3, v6
	v_lshlrev_b64 v[2:3], 3, v[2:3]
	v_add_co_u32_e32 v78, vcc, s40, v2
	v_addc_co_u32_e32 v75, vcc, v7, v3, vcc
	v_add_co_u32_e32 v80, vcc, s42, v2
	v_addc_co_u32_e32 v77, vcc, v8, v3, vcc
	v_mad_u64_u32 v[2:3], s[8:9], s38, v5, 0
	v_add3_u32 v3, v3, v6, v9
	v_lshlrev_b64 v[2:3], 3, v[2:3]
	v_add_co_u32_e32 v82, vcc, s40, v2
	v_addc_co_u32_e32 v79, vcc, v7, v3, vcc
	v_add_co_u32_e32 v84, vcc, s42, v2
	v_mbcnt_lo_u32_b32 v2, -1, 0
	v_mbcnt_hi_u32_b32 v2, -1, v2
	s_add_u32 s44, s30, 63
	v_lshlrev_b32_e32 v2, 2, v2
	s_mov_b32 s12, 0
	s_addc_u32 s45, 0, 0
	v_addc_co_u32_e32 v81, vcc, v8, v3, vcc
	v_pk_mov_b32 v[86:87], 0, 0
	v_and_b32_e32 v90, 0x100, v2
	s_mov_b64 s[46:47], s[30:31]
.LBB134_3:                              ; =>This Inner Loop Header: Depth=1
	v_pk_mov_b32 v[2:3], s[36:37], s[36:37] op_sel:[0,1]
	v_cmp_ge_i64_e32 vcc, s[44:45], v[2:3]
	v_mov_b32_e32 v2, s45
	v_add_co_u32_e64 v91, s[8:9], s44, v50
	v_addc_co_u32_e64 v92, s[8:9], 0, v2, s[8:9]
	s_cbranch_vccz .LBB134_25
; %bb.4:                                ;   in Loop: Header=BB134_3 Depth=1
	s_load_dword s8, s[10:11], 0xc
	v_pk_mov_b32 v[88:89], 0, 0
	s_waitcnt lgkmcnt(0)
	s_and_b32 s8, s8, 0xffff
	v_mad_u32_u24 v2, v85, s8, v83
	v_and_b32_e32 v2, 63, v2
	v_cmp_gt_u32_e32 vcc, 8, v2
	s_and_saveexec_b64 s[8:9], vcc
	s_cbranch_execz .LBB134_8
; %bb.5:                                ;   in Loop: Header=BB134_3 Depth=1
	v_add_co_u32_e32 v2, vcc, v91, v2
	v_addc_co_u32_e32 v3, vcc, 0, v92, vcc
	v_add_co_u32_e32 v2, vcc, 0xffffffc1, v2
	v_addc_co_u32_e32 v3, vcc, -1, v3, vcc
	v_cmp_gt_i64_e32 vcc, s[36:37], v[2:3]
	v_pk_mov_b32 v[88:89], 0, 0
	s_and_saveexec_b64 s[14:15], vcc
	s_cbranch_execz .LBB134_7
; %bb.6:                                ;   in Loop: Header=BB134_3 Depth=1
	v_lshlrev_b64 v[2:3], 3, v[2:3]
	v_mov_b32_e32 v5, s29
	v_add_co_u32_e32 v2, vcc, s28, v2
	v_addc_co_u32_e32 v3, vcc, v5, v3, vcc
	global_load_dwordx2 v[88:89], v[2:3], off
.LBB134_7:                              ;   in Loop: Header=BB134_3 Depth=1
	s_or_b64 exec, exec, s[14:15]
.LBB134_8:                              ;   in Loop: Header=BB134_3 Depth=1
	s_or_b64 exec, exec, s[8:9]
	v_add_co_u32_e32 v2, vcc, 0xffffffc1, v91
	s_mov_b32 s26, s12
	s_mov_b32 s27, s12
	v_addc_co_u32_e32 v3, vcc, -1, v92, vcc
	s_mov_b32 s13, s12
	s_mov_b32 s14, s12
	;; [unrolled: 1-line block ×13, first 2 shown]
	v_pk_mov_b32 v[32:33], s[26:27], s[26:27] op_sel:[0,1]
	v_cmp_gt_i64_e32 vcc, s[36:37], v[2:3]
	v_pk_mov_b32 v[30:31], s[24:25], s[24:25] op_sel:[0,1]
	v_pk_mov_b32 v[28:29], s[22:23], s[22:23] op_sel:[0,1]
	;; [unrolled: 1-line block ×8, first 2 shown]
	s_and_b64 s[48:49], s[2:3], vcc
	v_pk_mov_b32 v[46:47], v[30:31], v[30:31] op_sel:[0,1]
	v_pk_mov_b32 v[44:45], v[28:29], v[28:29] op_sel:[0,1]
	v_pk_mov_b32 v[42:43], v[26:27], v[26:27] op_sel:[0,1]
	v_pk_mov_b32 v[40:41], v[24:25], v[24:25] op_sel:[0,1]
	v_pk_mov_b32 v[38:39], v[22:23], v[22:23] op_sel:[0,1]
	v_pk_mov_b32 v[36:37], v[20:21], v[20:21] op_sel:[0,1]
	v_pk_mov_b32 v[34:35], v[18:19], v[18:19] op_sel:[0,1]
	s_and_saveexec_b64 s[8:9], s[48:49]
	s_cbranch_execz .LBB134_10
; %bb.9:                                ;   in Loop: Header=BB134_3 Depth=1
	v_add_co_u32_e32 v2, vcc, v82, v52
	v_addc_co_u32_e32 v3, vcc, v79, v53, vcc
	v_add_co_u32_e32 v6, vcc, v84, v52
	global_load_dwordx2 v[2:3], v[2:3], off
	v_addc_co_u32_e32 v7, vcc, v81, v53, vcc
	global_load_dwordx2 v[18:19], v[6:7], off
	v_mov_b32_e32 v16, v4
	v_mov_b32_e32 v17, v4
	;; [unrolled: 1-line block ×13, first 2 shown]
	s_waitcnt vmcnt(1)
	v_pk_mov_b32 v[48:49], v[16:17], v[16:17] op_sel:[0,1]
	v_mov_b32_e32 v20, v4
	v_mov_b32_e32 v21, v4
	;; [unrolled: 1-line block ×14, first 2 shown]
	v_pk_mov_b32 v[46:47], v[14:15], v[14:15] op_sel:[0,1]
	v_pk_mov_b32 v[44:45], v[12:13], v[12:13] op_sel:[0,1]
	v_pk_mov_b32 v[42:43], v[10:11], v[10:11] op_sel:[0,1]
	v_pk_mov_b32 v[40:41], v[8:9], v[8:9] op_sel:[0,1]
	v_pk_mov_b32 v[38:39], v[6:7], v[6:7] op_sel:[0,1]
	v_pk_mov_b32 v[36:37], v[4:5], v[4:5] op_sel:[0,1]
	v_pk_mov_b32 v[34:35], v[2:3], v[2:3] op_sel:[0,1]
.LBB134_10:                             ;   in Loop: Header=BB134_3 Depth=1
	s_or_b64 exec, exec, s[8:9]
	v_add_co_u32_e32 v2, vcc, 0xffffffc2, v91
	v_addc_co_u32_e32 v3, vcc, -1, v92, vcc
	v_cmp_gt_i64_e32 vcc, s[36:37], v[2:3]
	s_and_b64 s[14:15], s[2:3], vcc
	s_and_saveexec_b64 s[8:9], s[14:15]
	s_cbranch_execz .LBB134_12
; %bb.11:                               ;   in Loop: Header=BB134_3 Depth=1
	v_add_co_u32_e32 v2, vcc, v78, v52
	v_addc_co_u32_e32 v3, vcc, v75, v53, vcc
	global_load_dwordx2 v[36:37], v[2:3], off
	v_add_co_u32_e32 v2, vcc, v80, v52
	v_addc_co_u32_e32 v3, vcc, v77, v53, vcc
	global_load_dwordx2 v[20:21], v[2:3], off
.LBB134_12:                             ;   in Loop: Header=BB134_3 Depth=1
	s_or_b64 exec, exec, s[8:9]
	v_add_co_u32_e32 v2, vcc, 0xffffffc3, v91
	v_addc_co_u32_e32 v3, vcc, -1, v92, vcc
	v_cmp_gt_i64_e32 vcc, s[36:37], v[2:3]
	s_and_b64 s[14:15], s[2:3], vcc
	s_and_saveexec_b64 s[8:9], s[14:15]
	s_cbranch_execz .LBB134_14
; %bb.13:                               ;   in Loop: Header=BB134_3 Depth=1
	v_add_co_u32_e32 v2, vcc, v74, v52
	v_addc_co_u32_e32 v3, vcc, v71, v53, vcc
	global_load_dwordx2 v[38:39], v[2:3], off
	v_add_co_u32_e32 v2, vcc, v76, v52
	v_addc_co_u32_e32 v3, vcc, v73, v53, vcc
	global_load_dwordx2 v[22:23], v[2:3], off
.LBB134_14:                             ;   in Loop: Header=BB134_3 Depth=1
	;; [unrolled: 15-line block ×7, first 2 shown]
	s_or_b64 exec, exec, s[8:9]
	s_waitcnt vmcnt(0)
	ds_bpermute_b32 v2, v90, v88
	ds_bpermute_b32 v3, v90, v89
	ds_bpermute_b32 v6, v90, v88 offset:4
	ds_bpermute_b32 v7, v90, v89 offset:4
	v_mul_f64 v[8:9], v[18:19], v[34:35]
	ds_bpermute_b32 v10, v90, v88 offset:12
	s_waitcnt lgkmcnt(3)
	v_fma_f64 v[2:3], v[8:9], v[2:3], v[86:87]
	v_mul_f64 v[8:9], v[20:21], v[36:37]
	s_waitcnt lgkmcnt(1)
	v_fmac_f64_e32 v[2:3], v[8:9], v[6:7]
	ds_bpermute_b32 v6, v90, v88 offset:8
	ds_bpermute_b32 v7, v90, v89 offset:8
	;; [unrolled: 1-line block ×5, first 2 shown]
	v_mul_f64 v[8:9], v[22:23], v[38:39]
	s_waitcnt lgkmcnt(3)
	v_fmac_f64_e32 v[2:3], v[8:9], v[6:7]
	v_mul_f64 v[6:7], v[24:25], v[40:41]
	s_waitcnt lgkmcnt(2)
	v_fmac_f64_e32 v[2:3], v[6:7], v[10:11]
	v_mul_f64 v[6:7], v[26:27], v[42:43]
	ds_bpermute_b32 v8, v90, v88 offset:20
	ds_bpermute_b32 v9, v90, v89 offset:20
	s_waitcnt lgkmcnt(2)
	v_fmac_f64_e32 v[2:3], v[6:7], v[12:13]
	ds_bpermute_b32 v12, v90, v88 offset:24
	ds_bpermute_b32 v13, v90, v89 offset:24
	;; [unrolled: 1-line block ×4, first 2 shown]
	v_mul_f64 v[10:11], v[28:29], v[44:45]
	s_waitcnt lgkmcnt(4)
	v_fmac_f64_e32 v[2:3], v[10:11], v[8:9]
	v_mul_f64 v[8:9], v[30:31], v[46:47]
	s_waitcnt lgkmcnt(2)
	v_fmac_f64_e32 v[2:3], v[8:9], v[12:13]
	s_branch .LBB134_40
.LBB134_25:                             ;   in Loop: Header=BB134_3 Depth=1
                                        ; implicit-def: $vgpr2_vgpr3
                                        ; implicit-def: $vgpr18_vgpr19_vgpr20_vgpr21_vgpr22_vgpr23_vgpr24_vgpr25_vgpr26_vgpr27_vgpr28_vgpr29_vgpr30_vgpr31_vgpr32_vgpr33
                                        ; implicit-def: $vgpr34_vgpr35_vgpr36_vgpr37_vgpr38_vgpr39_vgpr40_vgpr41_vgpr42_vgpr43_vgpr44_vgpr45_vgpr46_vgpr47_vgpr48_vgpr49
                                        ; implicit-def: $vgpr6
	s_cbranch_execz .LBB134_40
; %bb.26:                               ;   in Loop: Header=BB134_3 Depth=1
	s_load_dword s8, s[10:11], 0x0
	v_pk_mov_b32 v[88:89], 0, 0
	s_waitcnt lgkmcnt(0)
	s_cmp_lt_u32 s6, s8
	s_cselect_b32 s8, 12, 18
	s_add_u32 s8, s10, s8
	s_addc_u32 s9, s11, 0
	global_load_ushort v2, v4, s[8:9]
	s_waitcnt vmcnt(0)
	v_mad_u32_u24 v2, v85, v2, v83
	v_and_b32_e32 v2, 63, v2
	v_cmp_gt_u32_e32 vcc, 8, v2
	s_and_saveexec_b64 s[8:9], vcc
	s_cbranch_execz .LBB134_30
; %bb.27:                               ;   in Loop: Header=BB134_3 Depth=1
	v_add_co_u32_e32 v2, vcc, v91, v2
	v_addc_co_u32_e32 v3, vcc, 0, v92, vcc
	v_add_co_u32_e32 v2, vcc, 0xffffffc1, v2
	v_addc_co_u32_e32 v3, vcc, -1, v3, vcc
	v_cmp_gt_i64_e32 vcc, s[36:37], v[2:3]
	v_pk_mov_b32 v[88:89], 0, 0
	s_and_saveexec_b64 s[14:15], vcc
	s_cbranch_execz .LBB134_29
; %bb.28:                               ;   in Loop: Header=BB134_3 Depth=1
	v_lshlrev_b64 v[2:3], 3, v[2:3]
	v_mov_b32_e32 v5, s29
	v_add_co_u32_e32 v2, vcc, s28, v2
	v_addc_co_u32_e32 v3, vcc, v5, v3, vcc
	global_load_dwordx2 v[88:89], v[2:3], off
.LBB134_29:                             ;   in Loop: Header=BB134_3 Depth=1
	s_or_b64 exec, exec, s[14:15]
.LBB134_30:                             ;   in Loop: Header=BB134_3 Depth=1
	s_or_b64 exec, exec, s[8:9]
	s_mov_b32 s26, s12
	s_mov_b32 s27, s12
	;; [unrolled: 1-line block ×15, first 2 shown]
	v_pk_mov_b32 v[32:33], s[26:27], s[26:27] op_sel:[0,1]
	v_pk_mov_b32 v[30:31], s[24:25], s[24:25] op_sel:[0,1]
	v_pk_mov_b32 v[28:29], s[22:23], s[22:23] op_sel:[0,1]
	v_pk_mov_b32 v[26:27], s[20:21], s[20:21] op_sel:[0,1]
	v_pk_mov_b32 v[24:25], s[18:19], s[18:19] op_sel:[0,1]
	v_pk_mov_b32 v[22:23], s[16:17], s[16:17] op_sel:[0,1]
	v_pk_mov_b32 v[20:21], s[14:15], s[14:15] op_sel:[0,1]
	v_pk_mov_b32 v[18:19], s[12:13], s[12:13] op_sel:[0,1]
	v_pk_mov_b32 v[48:49], v[32:33], v[32:33] op_sel:[0,1]
	v_pk_mov_b32 v[46:47], v[30:31], v[30:31] op_sel:[0,1]
	v_pk_mov_b32 v[44:45], v[28:29], v[28:29] op_sel:[0,1]
	v_pk_mov_b32 v[42:43], v[26:27], v[26:27] op_sel:[0,1]
	v_pk_mov_b32 v[40:41], v[24:25], v[24:25] op_sel:[0,1]
	v_pk_mov_b32 v[38:39], v[22:23], v[22:23] op_sel:[0,1]
	v_pk_mov_b32 v[36:37], v[20:21], v[20:21] op_sel:[0,1]
	v_pk_mov_b32 v[34:35], v[18:19], v[18:19] op_sel:[0,1]
	s_and_saveexec_b64 s[8:9], s[2:3]
	s_cbranch_execnz .LBB134_42
; %bb.31:                               ;   in Loop: Header=BB134_3 Depth=1
	s_or_b64 exec, exec, s[8:9]
	s_and_saveexec_b64 s[8:9], s[2:3]
	s_cbranch_execnz .LBB134_43
.LBB134_32:                             ;   in Loop: Header=BB134_3 Depth=1
	s_or_b64 exec, exec, s[8:9]
	s_and_saveexec_b64 s[8:9], s[2:3]
	s_cbranch_execnz .LBB134_44
.LBB134_33:                             ;   in Loop: Header=BB134_3 Depth=1
	s_or_b64 exec, exec, s[8:9]
	s_and_saveexec_b64 s[8:9], s[2:3]
	s_cbranch_execnz .LBB134_45
.LBB134_34:                             ;   in Loop: Header=BB134_3 Depth=1
	s_or_b64 exec, exec, s[8:9]
	s_and_saveexec_b64 s[8:9], s[2:3]
	s_cbranch_execnz .LBB134_46
.LBB134_35:                             ;   in Loop: Header=BB134_3 Depth=1
	s_or_b64 exec, exec, s[8:9]
	s_and_saveexec_b64 s[8:9], s[2:3]
	s_cbranch_execnz .LBB134_47
.LBB134_36:                             ;   in Loop: Header=BB134_3 Depth=1
	s_or_b64 exec, exec, s[8:9]
	s_and_saveexec_b64 s[8:9], s[2:3]
	s_cbranch_execnz .LBB134_48
.LBB134_37:                             ;   in Loop: Header=BB134_3 Depth=1
	s_or_b64 exec, exec, s[8:9]
	s_and_saveexec_b64 s[8:9], s[2:3]
	s_cbranch_execz .LBB134_39
.LBB134_38:                             ;   in Loop: Header=BB134_3 Depth=1
	v_add_co_u32_e32 v2, vcc, v54, v52
	v_addc_co_u32_e32 v3, vcc, v1, v53, vcc
	global_load_dwordx2 v[48:49], v[2:3], off
	v_add_co_u32_e32 v2, vcc, v56, v52
	v_addc_co_u32_e32 v3, vcc, v51, v53, vcc
	global_load_dwordx2 v[32:33], v[2:3], off
.LBB134_39:                             ;   in Loop: Header=BB134_3 Depth=1
	s_or_b64 exec, exec, s[8:9]
	s_waitcnt vmcnt(0)
	ds_bpermute_b32 v2, v90, v88
	ds_bpermute_b32 v3, v90, v89
	ds_bpermute_b32 v6, v90, v88 offset:4
	ds_bpermute_b32 v7, v90, v89 offset:4
	v_mul_f64 v[8:9], v[18:19], v[34:35]
	ds_bpermute_b32 v10, v90, v88 offset:16
	s_waitcnt lgkmcnt(3)
	v_fmac_f64_e32 v[86:87], v[8:9], v[2:3]
	v_mul_f64 v[2:3], v[20:21], v[36:37]
	s_waitcnt lgkmcnt(1)
	v_fmac_f64_e32 v[86:87], v[2:3], v[6:7]
	ds_bpermute_b32 v2, v90, v88 offset:8
	ds_bpermute_b32 v3, v90, v89 offset:8
	;; [unrolled: 1-line block ×5, first 2 shown]
	v_mul_f64 v[6:7], v[22:23], v[38:39]
	s_waitcnt lgkmcnt(3)
	v_fmac_f64_e32 v[86:87], v[6:7], v[2:3]
	v_mul_f64 v[2:3], v[24:25], v[40:41]
	s_waitcnt lgkmcnt(1)
	v_fmac_f64_e32 v[86:87], v[2:3], v[8:9]
	;; [unrolled: 3-line block ×3, first 2 shown]
	ds_bpermute_b32 v2, v90, v88 offset:20
	ds_bpermute_b32 v3, v90, v89 offset:20
	;; [unrolled: 1-line block ×4, first 2 shown]
	v_mul_f64 v[8:9], v[28:29], v[44:45]
	ds_bpermute_b32 v6, v90, v88 offset:28
	s_waitcnt lgkmcnt(3)
	v_fmac_f64_e32 v[86:87], v[8:9], v[2:3]
	v_mul_f64 v[2:3], v[30:31], v[46:47]
	s_waitcnt lgkmcnt(1)
	v_fmac_f64_e32 v[86:87], v[2:3], v[10:11]
	ds_bpermute_b32 v7, v90, v89 offset:28
	v_pk_mov_b32 v[2:3], v[86:87], v[86:87] op_sel:[0,1]
.LBB134_40:                             ;   in Loop: Header=BB134_3 Depth=1
	v_mov_b32_e32 v5, s35
	v_add_co_u32_e32 v54, vcc, s34, v54
	v_addc_co_u32_e32 v1, vcc, v1, v5, vcc
	v_add_co_u32_e32 v56, vcc, s34, v56
	v_addc_co_u32_e32 v51, vcc, v51, v5, vcc
	;; [unrolled: 2-line block ×15, first 2 shown]
	v_mul_f64 v[8:9], v[48:49], v[32:33]
	s_add_u32 s46, s46, s7
	v_add_co_u32_e32 v84, vcc, s34, v84
	s_waitcnt lgkmcnt(0)
	v_fmac_f64_e32 v[2:3], v[8:9], v[6:7]
	s_addc_u32 s47, s47, 0
	v_addc_co_u32_e32 v81, vcc, v81, v5, vcc
	v_pk_mov_b32 v[6:7], s[36:37], s[36:37] op_sel:[0,1]
	s_add_u32 s44, s44, s7
	v_cmp_lt_i64_e32 vcc, s[46:47], v[6:7]
	s_addc_u32 s45, s45, 0
	s_cbranch_vccz .LBB134_50
; %bb.41:                               ;   in Loop: Header=BB134_3 Depth=1
	v_pk_mov_b32 v[86:87], v[2:3], v[2:3] op_sel:[0,1]
	s_branch .LBB134_3
.LBB134_42:                             ;   in Loop: Header=BB134_3 Depth=1
	v_add_co_u32_e32 v2, vcc, v82, v52
	v_addc_co_u32_e32 v3, vcc, v79, v53, vcc
	v_add_co_u32_e32 v6, vcc, v84, v52
	global_load_dwordx2 v[2:3], v[2:3], off
	v_addc_co_u32_e32 v7, vcc, v81, v53, vcc
	global_load_dwordx2 v[18:19], v[6:7], off
	v_mov_b32_e32 v16, v4
	v_mov_b32_e32 v17, v4
	;; [unrolled: 1-line block ×13, first 2 shown]
	s_waitcnt vmcnt(1)
	v_pk_mov_b32 v[48:49], v[16:17], v[16:17] op_sel:[0,1]
	v_mov_b32_e32 v20, v4
	v_mov_b32_e32 v21, v4
	;; [unrolled: 1-line block ×14, first 2 shown]
	v_pk_mov_b32 v[46:47], v[14:15], v[14:15] op_sel:[0,1]
	v_pk_mov_b32 v[44:45], v[12:13], v[12:13] op_sel:[0,1]
	;; [unrolled: 1-line block ×7, first 2 shown]
	s_or_b64 exec, exec, s[8:9]
	s_and_saveexec_b64 s[8:9], s[2:3]
	s_cbranch_execz .LBB134_32
.LBB134_43:                             ;   in Loop: Header=BB134_3 Depth=1
	v_add_co_u32_e32 v2, vcc, v78, v52
	v_addc_co_u32_e32 v3, vcc, v75, v53, vcc
	global_load_dwordx2 v[36:37], v[2:3], off
	v_add_co_u32_e32 v2, vcc, v80, v52
	v_addc_co_u32_e32 v3, vcc, v77, v53, vcc
	global_load_dwordx2 v[20:21], v[2:3], off
	s_or_b64 exec, exec, s[8:9]
	s_and_saveexec_b64 s[8:9], s[2:3]
	s_cbranch_execz .LBB134_33
.LBB134_44:                             ;   in Loop: Header=BB134_3 Depth=1
	v_add_co_u32_e32 v2, vcc, v74, v52
	v_addc_co_u32_e32 v3, vcc, v71, v53, vcc
	global_load_dwordx2 v[38:39], v[2:3], off
	v_add_co_u32_e32 v2, vcc, v76, v52
	v_addc_co_u32_e32 v3, vcc, v73, v53, vcc
	global_load_dwordx2 v[22:23], v[2:3], off
	s_or_b64 exec, exec, s[8:9]
	s_and_saveexec_b64 s[8:9], s[2:3]
	s_cbranch_execz .LBB134_34
.LBB134_45:                             ;   in Loop: Header=BB134_3 Depth=1
	v_add_co_u32_e32 v2, vcc, v70, v52
	v_addc_co_u32_e32 v3, vcc, v67, v53, vcc
	global_load_dwordx2 v[40:41], v[2:3], off
	v_add_co_u32_e32 v2, vcc, v72, v52
	v_addc_co_u32_e32 v3, vcc, v69, v53, vcc
	global_load_dwordx2 v[24:25], v[2:3], off
	s_or_b64 exec, exec, s[8:9]
	s_and_saveexec_b64 s[8:9], s[2:3]
	s_cbranch_execz .LBB134_35
.LBB134_46:                             ;   in Loop: Header=BB134_3 Depth=1
	v_add_co_u32_e32 v2, vcc, v66, v52
	v_addc_co_u32_e32 v3, vcc, v63, v53, vcc
	global_load_dwordx2 v[42:43], v[2:3], off
	v_add_co_u32_e32 v2, vcc, v68, v52
	v_addc_co_u32_e32 v3, vcc, v65, v53, vcc
	global_load_dwordx2 v[26:27], v[2:3], off
	s_or_b64 exec, exec, s[8:9]
	s_and_saveexec_b64 s[8:9], s[2:3]
	s_cbranch_execz .LBB134_36
.LBB134_47:                             ;   in Loop: Header=BB134_3 Depth=1
	v_add_co_u32_e32 v2, vcc, v62, v52
	v_addc_co_u32_e32 v3, vcc, v59, v53, vcc
	global_load_dwordx2 v[44:45], v[2:3], off
	v_add_co_u32_e32 v2, vcc, v64, v52
	v_addc_co_u32_e32 v3, vcc, v61, v53, vcc
	global_load_dwordx2 v[28:29], v[2:3], off
	s_or_b64 exec, exec, s[8:9]
	s_and_saveexec_b64 s[8:9], s[2:3]
	s_cbranch_execz .LBB134_37
.LBB134_48:                             ;   in Loop: Header=BB134_3 Depth=1
	v_add_co_u32_e32 v2, vcc, v58, v52
	v_addc_co_u32_e32 v3, vcc, v55, v53, vcc
	global_load_dwordx2 v[46:47], v[2:3], off
	v_add_co_u32_e32 v2, vcc, v60, v52
	v_addc_co_u32_e32 v3, vcc, v57, v53, vcc
	global_load_dwordx2 v[30:31], v[2:3], off
	s_or_b64 exec, exec, s[8:9]
	s_and_saveexec_b64 s[8:9], s[2:3]
	s_cbranch_execnz .LBB134_38
	s_branch .LBB134_39
.LBB134_49:
                                        ; implicit-def: $vgpr2_vgpr3
	s_branch .LBB134_51
.LBB134_50:
	s_cbranch_execnz .LBB134_83
.LBB134_51:
	s_and_b64 vcc, exec, s[0:1]
	v_pk_mov_b32 v[2:3], 0, 0
	s_cbranch_vccnz .LBB134_83
; %bb.52:
	s_load_dword s0, s[4:5], 0x44
	s_add_u32 s2, s4, 64
	s_addc_u32 s3, s5, 0
	v_bfe_u32 v109, v0, 10, 10
	v_lshlrev_b32_e32 v1, 6, v109
	s_waitcnt lgkmcnt(0)
	s_lshl_b32 s7, s0, 6
	s_add_u32 s24, s30, 63
	s_addc_u32 s25, 0, 0
	s_lshl_b64 s[0:1], s[30:31], 3
	v_mov_b32_e32 v2, s1
	v_add_co_u32_e32 v1, vcc, s0, v1
	v_addc_co_u32_e32 v4, vcc, 0, v2, vcc
	v_add_co_u32_e32 v6, vcc, 8, v1
	v_addc_co_u32_e32 v5, vcc, 0, v4, vcc
	v_add_co_u32_e32 v9, vcc, 16, v1
	v_mul_lo_u32 v7, s38, v5
	v_addc_co_u32_e32 v5, vcc, 0, v4, vcc
	v_add_co_u32_e32 v12, vcc, 24, v1
	v_mul_lo_u32 v10, s38, v5
	;; [unrolled: 3-line block ×5, first 2 shown]
	v_addc_co_u32_e32 v5, vcc, 0, v4, vcc
	v_add_co_u32_e32 v24, vcc, 56, v1
	v_lshlrev_b32_e32 v50, 3, v109
	v_addc_co_u32_e32 v1, vcc, 0, v4, vcc
	v_mul_lo_u32 v25, s38, v1
	v_mov_b32_e32 v1, s31
	v_add_co_u32_e32 v27, vcc, s30, v50
	v_pk_mov_b32 v[2:3], s[40:41], s[40:41] op_sel:[0,1]
	v_addc_co_u32_e32 v28, vcc, 0, v1, vcc
	v_mad_u64_u32 v[52:53], s[0:1], s38, v6, v[2:3]
	v_mad_u64_u32 v[54:55], s[0:1], s38, v9, v[2:3]
	;; [unrolled: 1-line block ×7, first 2 shown]
	v_mul_lo_u32 v29, s39, v27
	v_mul_lo_u32 v30, s38, v28
	v_mad_u64_u32 v[2:3], s[0:1], s38, v27, 0
	v_add3_u32 v3, v3, v30, v29
	v_lshlrev_b64 v[2:3], 3, v[2:3]
	v_mul_lo_u32 v22, s38, v5
	v_mov_b32_e32 v31, s41
	v_add_co_u32_e32 v66, vcc, s40, v2
	v_pk_mov_b32 v[4:5], s[42:43], s[42:43] op_sel:[0,1]
	v_mul_lo_u32 v17, s39, v15
	v_addc_co_u32_e32 v1, vcc, v31, v3, vcc
	v_mad_u64_u32 v[74:75], s[0:1], s38, v15, v[4:5]
	v_add3_u32 v59, v17, v59, v16
	v_add3_u32 v75, v17, v75, v16
	v_mov_b32_e32 v16, s43
	v_add_co_u32_e32 v82, vcc, s42, v2
	v_addc_co_u32_e32 v51, vcc, v16, v3, vcc
	v_add_co_u32_e32 v2, vcc, 7, v27
	v_addc_co_u32_e32 v3, vcc, 0, v28, vcc
	v_mad_u64_u32 v[68:69], s[0:1], s38, v6, v[4:5]
	v_mad_u64_u32 v[70:71], s[0:1], s38, v9, v[4:5]
	;; [unrolled: 1-line block ×6, first 2 shown]
	v_mul_lo_u32 v4, s39, v2
	v_mul_lo_u32 v5, s38, v3
	v_mad_u64_u32 v[2:3], s[0:1], s38, v2, 0
	v_add3_u32 v3, v3, v5, v4
	v_add_co_u32_e32 v4, vcc, 6, v27
	v_mul_lo_u32 v8, s39, v6
	v_addc_co_u32_e32 v5, vcc, 0, v28, vcc
	v_add3_u32 v53, v8, v53, v7
	v_add3_u32 v69, v8, v69, v7
	v_mul_lo_u32 v6, s39, v4
	v_mul_lo_u32 v7, s38, v5
	v_mad_u64_u32 v[4:5], s[0:1], s38, v4, 0
	v_add3_u32 v5, v5, v7, v6
	v_add_co_u32_e32 v6, vcc, 5, v27
	v_addc_co_u32_e32 v7, vcc, 0, v28, vcc
	v_mul_lo_u32 v11, s39, v9
	v_mul_lo_u32 v8, s39, v6
	;; [unrolled: 1-line block ×3, first 2 shown]
	v_mad_u64_u32 v[6:7], s[0:1], s38, v6, 0
	v_add3_u32 v7, v7, v9, v8
	v_add_co_u32_e32 v8, vcc, 4, v27
	v_addc_co_u32_e32 v9, vcc, 0, v28, vcc
	v_add3_u32 v55, v11, v55, v10
	v_add3_u32 v71, v11, v71, v10
	v_mul_lo_u32 v10, s39, v8
	v_mul_lo_u32 v11, s38, v9
	v_mad_u64_u32 v[8:9], s[0:1], s38, v8, 0
	v_add3_u32 v9, v9, v11, v10
	v_add_co_u32_e32 v10, vcc, 3, v27
	v_mul_lo_u32 v14, s39, v12
	v_addc_co_u32_e32 v11, vcc, 0, v28, vcc
	v_add3_u32 v57, v14, v57, v13
	v_add3_u32 v73, v14, v73, v13
	v_mul_lo_u32 v12, s39, v10
	v_mul_lo_u32 v13, s38, v11
	v_mad_u64_u32 v[10:11], s[0:1], s38, v10, 0
	v_add3_u32 v11, v11, v13, v12
	v_add_co_u32_e32 v12, vcc, 2, v27
	v_lshlrev_b64 v[2:3], 3, v[2:3]
	v_addc_co_u32_e32 v13, vcc, 0, v28, vcc
	v_add_co_u32_e32 v84, vcc, s40, v2
	v_addc_co_u32_e32 v67, vcc, v31, v3, vcc
	v_add_co_u32_e32 v86, vcc, s42, v2
	v_addc_co_u32_e32 v83, vcc, v16, v3, vcc
	v_lshlrev_b64 v[2:3], 3, v[4:5]
	v_add_co_u32_e32 v88, vcc, s40, v2
	v_addc_co_u32_e32 v85, vcc, v31, v3, vcc
	v_add_co_u32_e32 v90, vcc, s42, v2
	v_addc_co_u32_e32 v87, vcc, v16, v3, vcc
	v_lshlrev_b64 v[2:3], 3, v[6:7]
	v_add_co_u32_e32 v92, vcc, s40, v2
	v_addc_co_u32_e32 v89, vcc, v31, v3, vcc
	v_add_co_u32_e32 v94, vcc, s42, v2
	v_addc_co_u32_e32 v91, vcc, v16, v3, vcc
	v_lshlrev_b64 v[2:3], 3, v[8:9]
	v_add_co_u32_e32 v96, vcc, s40, v2
	v_addc_co_u32_e32 v93, vcc, v31, v3, vcc
	v_add_co_u32_e32 v98, vcc, s42, v2
	v_addc_co_u32_e32 v95, vcc, v16, v3, vcc
	v_lshlrev_b64 v[2:3], 3, v[10:11]
	v_add_co_u32_e32 v100, vcc, s40, v2
	v_mul_lo_u32 v14, s39, v12
	v_mul_lo_u32 v15, s38, v13
	v_mad_u64_u32 v[12:13], s[0:1], s38, v12, 0
	v_addc_co_u32_e32 v97, vcc, v31, v3, vcc
	v_add3_u32 v13, v13, v15, v14
	v_add_co_u32_e32 v102, vcc, s42, v2
	v_addc_co_u32_e32 v99, vcc, v16, v3, vcc
	v_lshlrev_b64 v[2:3], 3, v[12:13]
	v_pk_mov_b32 v[14:15], s[38:39], s[38:39] op_sel:[0,1]
	v_add_co_u32_e32 v104, vcc, s40, v2
	v_mad_u64_u32 v[14:15], s[0:1], s38, v27, v[14:15]
	v_addc_co_u32_e32 v101, vcc, v31, v3, vcc
	v_add3_u32 v15, v29, v15, v30
	v_add_co_u32_e32 v106, vcc, s42, v2
	v_addc_co_u32_e32 v103, vcc, v16, v3, vcc
	v_lshlrev_b64 v[2:3], 3, v[14:15]
	v_add_co_u32_e32 v108, vcc, s40, v2
	v_addc_co_u32_e32 v105, vcc, v31, v3, vcc
	v_add_co_u32_e32 v110, vcc, s42, v2
	v_and_b32_e32 v111, 0x3ff, v0
	v_mov_b32_e32 v4, 0
	v_addc_co_u32_e32 v107, vcc, v16, v3, vcc
	v_add_u32_e32 v2, s33, v111
	v_mov_b32_e32 v3, v4
	v_lshlrev_b64 v[112:113], 3, v[2:3]
	v_mbcnt_lo_u32_b32 v2, -1, 0
	s_mul_i32 s0, s39, s7
	s_mul_hi_u32 s1, s38, s7
	v_mbcnt_hi_u32_b32 v2, -1, v2
	v_mul_lo_u32 v20, s39, v18
	v_mul_lo_u32 v23, s39, v21
	v_mul_lo_u32 v26, s39, v24
	s_add_i32 s1, s1, s0
	s_mul_i32 s0, s38, s7
	v_lshlrev_b32_e32 v2, 2, v2
	v_add3_u32 v61, v20, v61, v19
	v_add3_u32 v63, v23, v63, v22
	;; [unrolled: 1-line block ×6, first 2 shown]
	s_mov_b32 s8, 0
	s_lshl_b64 s[26:27], s[0:1], 3
	v_and_b32_e32 v118, 0x100, v2
	v_pk_mov_b32 v[114:115], 0, 0
.LBB134_53:                             ; =>This Inner Loop Header: Depth=1
	v_pk_mov_b32 v[2:3], s[36:37], s[36:37] op_sel:[0,1]
	v_cmp_ge_i64_e32 vcc, s[24:25], v[2:3]
	v_mov_b32_e32 v2, s25
	v_add_co_u32_e64 v119, s[0:1], s24, v50
	v_addc_co_u32_e64 v120, s[0:1], 0, v2, s[0:1]
	s_cbranch_vccz .LBB134_75
; %bb.54:                               ;   in Loop: Header=BB134_53 Depth=1
	s_load_dword s0, s[2:3], 0xc
	v_pk_mov_b32 v[116:117], 0, 0
	s_waitcnt lgkmcnt(0)
	s_and_b32 s0, s0, 0xffff
	v_mad_u32_u24 v2, v109, s0, v111
	v_and_b32_e32 v2, 63, v2
	v_cmp_gt_u32_e32 vcc, 8, v2
	s_and_saveexec_b64 s[0:1], vcc
	s_cbranch_execz .LBB134_58
; %bb.55:                               ;   in Loop: Header=BB134_53 Depth=1
	v_add_co_u32_e32 v2, vcc, v119, v2
	v_addc_co_u32_e32 v3, vcc, 0, v120, vcc
	v_add_co_u32_e32 v2, vcc, 0xffffffc1, v2
	v_addc_co_u32_e32 v3, vcc, -1, v3, vcc
	v_cmp_gt_i64_e32 vcc, s[36:37], v[2:3]
	v_pk_mov_b32 v[116:117], 0, 0
	s_and_saveexec_b64 s[10:11], vcc
	s_cbranch_execz .LBB134_57
; %bb.56:                               ;   in Loop: Header=BB134_53 Depth=1
	v_lshlrev_b64 v[2:3], 3, v[2:3]
	v_mov_b32_e32 v5, s29
	v_add_co_u32_e32 v2, vcc, s28, v2
	v_addc_co_u32_e32 v3, vcc, v5, v3, vcc
	global_load_dwordx2 v[116:117], v[2:3], off
.LBB134_57:                             ;   in Loop: Header=BB134_53 Depth=1
	s_or_b64 exec, exec, s[10:11]
.LBB134_58:                             ;   in Loop: Header=BB134_53 Depth=1
	s_or_b64 exec, exec, s[0:1]
	s_mov_b32 s22, s8
	s_mov_b32 s23, s8
	v_add_co_u32_e32 v2, vcc, 0xffffffc1, v119
	s_mov_b32 s9, s8
	s_mov_b32 s10, s8
	;; [unrolled: 1-line block ×13, first 2 shown]
	v_pk_mov_b32 v[32:33], s[22:23], s[22:23] op_sel:[0,1]
	v_addc_co_u32_e32 v3, vcc, -1, v120, vcc
	v_pk_mov_b32 v[30:31], s[20:21], s[20:21] op_sel:[0,1]
	v_pk_mov_b32 v[28:29], s[18:19], s[18:19] op_sel:[0,1]
	;; [unrolled: 1-line block ×8, first 2 shown]
	v_cmp_gt_i64_e32 vcc, s[36:37], v[2:3]
	v_pk_mov_b32 v[46:47], v[30:31], v[30:31] op_sel:[0,1]
	v_pk_mov_b32 v[44:45], v[28:29], v[28:29] op_sel:[0,1]
	;; [unrolled: 1-line block ×7, first 2 shown]
	s_and_saveexec_b64 s[0:1], vcc
	s_cbranch_execz .LBB134_60
; %bb.59:                               ;   in Loop: Header=BB134_53 Depth=1
	v_add_co_u32_e32 v2, vcc, v66, v112
	v_addc_co_u32_e32 v3, vcc, v1, v113, vcc
	v_add_co_u32_e32 v6, vcc, v82, v112
	global_load_dwordx2 v[2:3], v[2:3], off
	v_addc_co_u32_e32 v7, vcc, v51, v113, vcc
	global_load_dwordx2 v[18:19], v[6:7], off
	v_mov_b32_e32 v16, v4
	v_mov_b32_e32 v17, v4
	;; [unrolled: 1-line block ×13, first 2 shown]
	s_waitcnt vmcnt(1)
	v_pk_mov_b32 v[48:49], v[16:17], v[16:17] op_sel:[0,1]
	v_mov_b32_e32 v20, v4
	v_mov_b32_e32 v21, v4
	;; [unrolled: 1-line block ×14, first 2 shown]
	v_pk_mov_b32 v[46:47], v[14:15], v[14:15] op_sel:[0,1]
	v_pk_mov_b32 v[44:45], v[12:13], v[12:13] op_sel:[0,1]
	;; [unrolled: 1-line block ×7, first 2 shown]
.LBB134_60:                             ;   in Loop: Header=BB134_53 Depth=1
	s_or_b64 exec, exec, s[0:1]
	v_add_co_u32_e32 v2, vcc, 0xffffffc2, v119
	v_addc_co_u32_e32 v3, vcc, -1, v120, vcc
	v_cmp_gt_i64_e32 vcc, s[36:37], v[2:3]
	s_and_saveexec_b64 s[0:1], vcc
	s_cbranch_execz .LBB134_62
; %bb.61:                               ;   in Loop: Header=BB134_53 Depth=1
	v_add_co_u32_e32 v2, vcc, v108, v112
	v_addc_co_u32_e32 v3, vcc, v105, v113, vcc
	global_load_dwordx2 v[36:37], v[2:3], off
	v_add_co_u32_e32 v2, vcc, v110, v112
	v_addc_co_u32_e32 v3, vcc, v107, v113, vcc
	global_load_dwordx2 v[20:21], v[2:3], off
.LBB134_62:                             ;   in Loop: Header=BB134_53 Depth=1
	s_or_b64 exec, exec, s[0:1]
	v_add_co_u32_e32 v2, vcc, 0xffffffc3, v119
	v_addc_co_u32_e32 v3, vcc, -1, v120, vcc
	v_cmp_gt_i64_e32 vcc, s[36:37], v[2:3]
	s_and_saveexec_b64 s[0:1], vcc
	s_cbranch_execz .LBB134_64
; %bb.63:                               ;   in Loop: Header=BB134_53 Depth=1
	v_add_co_u32_e32 v2, vcc, v104, v112
	v_addc_co_u32_e32 v3, vcc, v101, v113, vcc
	global_load_dwordx2 v[38:39], v[2:3], off
	v_add_co_u32_e32 v2, vcc, v106, v112
	v_addc_co_u32_e32 v3, vcc, v103, v113, vcc
	global_load_dwordx2 v[22:23], v[2:3], off
.LBB134_64:                             ;   in Loop: Header=BB134_53 Depth=1
	;; [unrolled: 14-line block ×7, first 2 shown]
	s_or_b64 exec, exec, s[0:1]
	s_waitcnt vmcnt(0)
	ds_bpermute_b32 v2, v118, v116
	ds_bpermute_b32 v3, v118, v117
	ds_bpermute_b32 v6, v118, v116 offset:4
	ds_bpermute_b32 v7, v118, v117 offset:4
	v_mul_f64 v[8:9], v[18:19], v[34:35]
	ds_bpermute_b32 v10, v118, v116 offset:12
	s_waitcnt lgkmcnt(3)
	v_fma_f64 v[2:3], v[8:9], v[2:3], v[114:115]
	v_mul_f64 v[8:9], v[20:21], v[36:37]
	s_waitcnt lgkmcnt(1)
	v_fmac_f64_e32 v[2:3], v[8:9], v[6:7]
	ds_bpermute_b32 v6, v118, v116 offset:8
	ds_bpermute_b32 v7, v118, v117 offset:8
	;; [unrolled: 1-line block ×5, first 2 shown]
	v_mul_f64 v[8:9], v[22:23], v[38:39]
	s_waitcnt lgkmcnt(3)
	v_fmac_f64_e32 v[2:3], v[8:9], v[6:7]
	v_mul_f64 v[6:7], v[24:25], v[40:41]
	s_waitcnt lgkmcnt(2)
	v_fmac_f64_e32 v[2:3], v[6:7], v[10:11]
	;; [unrolled: 3-line block ×3, first 2 shown]
	ds_bpermute_b32 v6, v118, v116 offset:20
	ds_bpermute_b32 v7, v118, v117 offset:20
	;; [unrolled: 1-line block ×6, first 2 shown]
	v_mul_f64 v[8:9], v[28:29], v[44:45]
	s_waitcnt lgkmcnt(4)
	v_fmac_f64_e32 v[2:3], v[8:9], v[6:7]
	v_mul_f64 v[6:7], v[30:31], v[46:47]
	s_waitcnt lgkmcnt(2)
	v_fmac_f64_e32 v[2:3], v[6:7], v[10:11]
	;; [unrolled: 3-line block ×3, first 2 shown]
	s_branch .LBB134_81
.LBB134_75:                             ;   in Loop: Header=BB134_53 Depth=1
                                        ; implicit-def: $vgpr2_vgpr3
	s_cbranch_execz .LBB134_81
; %bb.76:                               ;   in Loop: Header=BB134_53 Depth=1
	s_load_dword s0, s[2:3], 0x0
	s_waitcnt lgkmcnt(0)
	s_cmp_lt_u32 s6, s0
	s_cselect_b32 s0, 12, 18
	s_add_u32 s0, s2, s0
	s_addc_u32 s1, s3, 0
	global_load_ushort v2, v4, s[0:1]
	s_waitcnt vmcnt(0)
	v_mad_u32_u24 v2, v109, v2, v111
	v_and_b32_e32 v5, 63, v2
	v_cmp_gt_u32_e32 vcc, 8, v5
	v_pk_mov_b32 v[2:3], 0, 0
	s_and_saveexec_b64 s[0:1], vcc
	s_cbranch_execz .LBB134_80
; %bb.77:                               ;   in Loop: Header=BB134_53 Depth=1
	v_add_co_u32_e32 v2, vcc, v119, v5
	v_addc_co_u32_e32 v3, vcc, 0, v120, vcc
	v_add_co_u32_e32 v6, vcc, 0xffffffc1, v2
	v_addc_co_u32_e32 v7, vcc, -1, v3, vcc
	v_cmp_gt_i64_e32 vcc, s[36:37], v[6:7]
	v_pk_mov_b32 v[2:3], 0, 0
	s_and_saveexec_b64 s[10:11], vcc
	s_cbranch_execz .LBB134_79
; %bb.78:                               ;   in Loop: Header=BB134_53 Depth=1
	v_lshlrev_b64 v[2:3], 3, v[6:7]
	v_mov_b32_e32 v5, s29
	v_add_co_u32_e32 v2, vcc, s28, v2
	v_addc_co_u32_e32 v3, vcc, v5, v3, vcc
	global_load_dwordx2 v[2:3], v[2:3], off
.LBB134_79:                             ;   in Loop: Header=BB134_53 Depth=1
	s_or_b64 exec, exec, s[10:11]
.LBB134_80:                             ;   in Loop: Header=BB134_53 Depth=1
	s_or_b64 exec, exec, s[0:1]
	v_add_co_u32_e32 v6, vcc, v66, v112
	v_addc_co_u32_e32 v7, vcc, v1, v113, vcc
	v_add_co_u32_e32 v8, vcc, v82, v112
	v_addc_co_u32_e32 v9, vcc, v51, v113, vcc
	;; [unrolled: 2-line block ×8, first 2 shown]
	v_add_co_u32_e32 v22, vcc, v58, v112
	global_load_dwordx2 v[6:7], v[6:7], off
	v_addc_co_u32_e32 v23, vcc, v59, v113, vcc
	global_load_dwordx2 v[8:9], v[8:9], off
	v_add_co_u32_e32 v24, vcc, v74, v112
	global_load_dwordx2 v[10:11], v[10:11], off
	v_addc_co_u32_e32 v25, vcc, v75, v113, vcc
	global_load_dwordx2 v[12:13], v[12:13], off
	v_add_co_u32_e32 v26, vcc, v60, v112
	v_addc_co_u32_e32 v27, vcc, v61, v113, vcc
	v_add_co_u32_e32 v28, vcc, v76, v112
	global_load_dwordx2 v[14:15], v[14:15], off
	v_addc_co_u32_e32 v29, vcc, v77, v113, vcc
	global_load_dwordx2 v[16:17], v[16:17], off
	v_add_co_u32_e32 v30, vcc, v62, v112
	global_load_dwordx2 v[18:19], v[18:19], off
	v_addc_co_u32_e32 v31, vcc, v63, v113, vcc
	global_load_dwordx2 v[20:21], v[20:21], off
	;; [unrolled: 4-line block ×3, first 2 shown]
	v_add_co_u32_e32 v34, vcc, v64, v112
	v_addc_co_u32_e32 v35, vcc, v65, v113, vcc
	global_load_dwordx2 v[26:27], v[26:27], off
	v_add_co_u32_e32 v36, vcc, v80, v112
	global_load_dwordx2 v[28:29], v[28:29], off
	v_addc_co_u32_e32 v37, vcc, v81, v113, vcc
	global_load_dwordx2 v[30:31], v[30:31], off
	s_waitcnt vmcnt(13)
	ds_bpermute_b32 v38, v118, v2
	global_load_dwordx2 v[32:33], v[32:33], off
	ds_bpermute_b32 v39, v118, v3
	global_load_dwordx2 v[34:35], v[34:35], off
	ds_bpermute_b32 v40, v118, v2 offset:4
	global_load_dwordx2 v[36:37], v[36:37], off
	ds_bpermute_b32 v41, v118, v3 offset:4
	s_waitcnt vmcnt(14)
	v_mul_f64 v[6:7], v[6:7], v[8:9]
	s_waitcnt lgkmcnt(2)
	v_fmac_f64_e32 v[114:115], v[6:7], v[38:39]
	s_waitcnt vmcnt(12)
	v_mul_f64 v[6:7], v[10:11], v[12:13]
	s_waitcnt lgkmcnt(0)
	v_fmac_f64_e32 v[114:115], v[6:7], v[40:41]
	ds_bpermute_b32 v6, v118, v2 offset:8
	ds_bpermute_b32 v7, v118, v3 offset:8
	ds_bpermute_b32 v10, v118, v2 offset:12
	ds_bpermute_b32 v11, v118, v3 offset:12
	ds_bpermute_b32 v12, v118, v2 offset:16
	ds_bpermute_b32 v13, v118, v3 offset:16
	s_waitcnt vmcnt(10)
	v_mul_f64 v[8:9], v[14:15], v[16:17]
	s_waitcnt lgkmcnt(4)
	v_fmac_f64_e32 v[114:115], v[8:9], v[6:7]
	s_waitcnt vmcnt(8)
	v_mul_f64 v[6:7], v[18:19], v[20:21]
	s_waitcnt lgkmcnt(2)
	v_fmac_f64_e32 v[114:115], v[6:7], v[10:11]
	ds_bpermute_b32 v10, v118, v2 offset:24
	ds_bpermute_b32 v11, v118, v3 offset:24
	s_waitcnt vmcnt(6)
	v_mul_f64 v[6:7], v[22:23], v[24:25]
	s_waitcnt lgkmcnt(2)
	v_fmac_f64_e32 v[114:115], v[6:7], v[12:13]
	ds_bpermute_b32 v6, v118, v2 offset:20
	ds_bpermute_b32 v7, v118, v3 offset:20
	;; [unrolled: 1-line block ×4, first 2 shown]
	s_waitcnt vmcnt(4)
	v_mul_f64 v[8:9], v[26:27], v[28:29]
	s_waitcnt lgkmcnt(2)
	v_fmac_f64_e32 v[114:115], v[8:9], v[6:7]
	s_waitcnt vmcnt(2)
	v_mul_f64 v[6:7], v[30:31], v[32:33]
	v_fmac_f64_e32 v[114:115], v[6:7], v[10:11]
	s_waitcnt vmcnt(0)
	v_mul_f64 v[6:7], v[34:35], v[36:37]
	s_waitcnt lgkmcnt(0)
	v_fmac_f64_e32 v[114:115], v[6:7], v[2:3]
	v_pk_mov_b32 v[2:3], v[114:115], v[114:115] op_sel:[0,1]
.LBB134_81:                             ;   in Loop: Header=BB134_53 Depth=1
	v_mov_b32_e32 v5, s27
	v_add_co_u32_e32 v52, vcc, s26, v52
	v_addc_co_u32_e32 v53, vcc, v53, v5, vcc
	v_add_co_u32_e32 v54, vcc, s26, v54
	v_addc_co_u32_e32 v55, vcc, v55, v5, vcc
	;; [unrolled: 2-line block ×29, first 2 shown]
	s_add_u32 s30, s30, s7
	v_add_co_u32_e32 v110, vcc, s26, v110
	s_addc_u32 s31, s31, 0
	v_addc_co_u32_e32 v107, vcc, v107, v5, vcc
	v_pk_mov_b32 v[6:7], s[36:37], s[36:37] op_sel:[0,1]
	s_add_u32 s24, s24, s7
	v_cmp_ge_i64_e32 vcc, s[30:31], v[6:7]
	s_addc_u32 s25, s25, 0
	s_cbranch_vccnz .LBB134_83
; %bb.82:                               ;   in Loop: Header=BB134_53 Depth=1
	v_pk_mov_b32 v[114:115], v[2:3], v[2:3] op_sel:[0,1]
	s_branch .LBB134_53
.LBB134_83:
	v_and_b32_e32 v1, 0x3ff, v0
	v_bfe_u32 v0, v0, 10, 10
	v_mad_u32_u24 v4, v0, 33, v1
	v_lshl_add_u32 v5, v4, 3, 0
	ds_write_b64 v5, v[2:3]
	v_mov_b32_e32 v2, 0
	v_mov_b32_e32 v3, v2
	ds_write_b64 v5, v[2:3] offset:2112
	v_sub_u32_e32 v3, v4, v0
	s_movk_i32 s0, 0x800
	s_mov_b32 s7, 0
	v_cmp_gt_u32_e32 vcc, s0, v3
	s_waitcnt lgkmcnt(0)
	s_barrier
	s_and_saveexec_b64 s[0:1], vcc
	s_cbranch_execz .LBB134_90
; %bb.84:
	v_mbcnt_lo_u32_b32 v4, -1, 0
	v_mbcnt_hi_u32_b32 v4, -1, v4
	v_lshrrev_b32_e32 v0, 6, v3
	v_and_b32_e32 v3, 63, v3
	v_and_b32_e32 v5, 64, v4
	v_cmp_gt_u32_e32 vcc, 8, v3
	v_add_u32_e32 v5, 64, v5
	v_cmp_ne_u32_e64 s[0:1], 0, v1
	v_mul_u32_u24_e32 v1, 0x108, v3
	v_xor_b32_e32 v3, 4, v4
	v_cmp_lt_i32_e64 s[2:3], v3, v5
	s_load_dwordx2 s[12:13], s[4:5], 0x30
	v_cndmask_b32_e64 v3, v4, v3, s[2:3]
	v_lshlrev_b32_e32 v6, 2, v3
	v_xor_b32_e32 v3, 2, v4
	v_cmp_lt_i32_e64 s[2:3], v3, v5
	v_cndmask_b32_e64 v3, v4, v3, s[2:3]
	s_lshl_b64 s[4:5], s[6:7], 5
	v_lshlrev_b32_e32 v7, 2, v3
	v_xor_b32_e32 v3, 1, v4
	s_waitcnt lgkmcnt(0)
	s_cmp_eq_u64 s[12:13], 0
	v_cmp_lt_i32_e64 s[2:3], v3, v5
	s_cselect_b64 s[10:11], -1, 0
	v_cndmask_b32_e64 v3, v4, v3, s[2:3]
	s_lshl_b64 s[2:3], s[6:7], 8
	s_add_u32 s2, s12, s2
	v_lshlrev_b32_e32 v8, 2, v3
	v_lshlrev_b32_e32 v3, 3, v0
	s_addc_u32 s3, s13, s3
	v_add3_u32 v9, v1, v3, 0
	v_mov_b32_e32 v1, v2
	v_mov_b32_e32 v4, s3
	v_add_co_u32_e64 v2, s[2:3], s2, v3
	s_mov_b64 s[8:9], 0
	v_addc_co_u32_e64 v3, s[2:3], 0, v4, s[2:3]
	v_mov_b32_e32 v10, s5
                                        ; implicit-def: $vgpr4_vgpr5
	s_branch .LBB134_86
.LBB134_85:                             ;   in Loop: Header=BB134_86 Depth=1
	s_or_b64 exec, exec, s[2:3]
	v_add_co_u32_e64 v0, s[2:3], 4, v0
	v_addc_co_u32_e64 v1, s[2:3], 0, v1, s[2:3]
	v_add_u32_e32 v11, -4, v0
	v_cmp_lt_u32_e64 s[2:3], 27, v11
	s_or_b64 s[8:9], s[2:3], s[8:9]
	v_add_co_u32_e64 v2, s[2:3], 32, v2
	v_add_u32_e32 v9, 32, v9
	v_addc_co_u32_e64 v3, s[2:3], 0, v3, s[2:3]
	s_andn2_b64 exec, exec, s[8:9]
	s_cbranch_execz .LBB134_90
.LBB134_86:                             ; =>This Inner Loop Header: Depth=1
	s_and_saveexec_b64 s[2:3], vcc
	s_cbranch_execz .LBB134_88
; %bb.87:                               ;   in Loop: Header=BB134_86 Depth=1
	ds_read_b64 v[4:5], v9
.LBB134_88:                             ;   in Loop: Header=BB134_86 Depth=1
	s_or_b64 exec, exec, s[2:3]
	s_waitcnt lgkmcnt(0)
	ds_bpermute_b32 v12, v6, v4
	ds_bpermute_b32 v13, v6, v5
	v_add_co_u32_e64 v14, s[2:3], s4, v0
	v_addc_co_u32_e64 v15, s[2:3], v10, v1, s[2:3]
	s_waitcnt lgkmcnt(0)
	v_add_f64 v[4:5], v[4:5], v[12:13]
	ds_bpermute_b32 v12, v7, v4
	ds_bpermute_b32 v13, v7, v5
	v_cmp_le_i64_e64 s[2:3], s[38:39], v[14:15]
	s_or_b64 s[2:3], s[0:1], s[2:3]
	s_or_b64 s[2:3], s[10:11], s[2:3]
	s_xor_b64 s[6:7], s[2:3], -1
	s_waitcnt lgkmcnt(0)
	v_add_f64 v[4:5], v[4:5], v[12:13]
	ds_bpermute_b32 v12, v8, v4
	ds_bpermute_b32 v13, v8, v5
	s_waitcnt lgkmcnt(0)
	v_add_f64 v[4:5], v[4:5], v[12:13]
	s_and_saveexec_b64 s[2:3], s[6:7]
	s_cbranch_execz .LBB134_85
; %bb.89:                               ;   in Loop: Header=BB134_86 Depth=1
	global_store_dwordx2 v[2:3], v[4:5], off
	s_branch .LBB134_85
.LBB134_90:
	s_endpgm
	.section	.rodata,"a",@progbits
	.p2align	6, 0x0
	.amdhsa_kernel _ZN2at6native12_GLOBAL__N_135GammaBetaBackwardCUDAKernelTemplateIddLj32ELj8ELj64ELb0ELb0ELb1EEEvllPKT_S5_PKT0_S8_PS3_S9_
		.amdhsa_group_segment_fixed_size 0
		.amdhsa_private_segment_fixed_size 0
		.amdhsa_kernarg_size 320
		.amdhsa_user_sgpr_count 6
		.amdhsa_user_sgpr_private_segment_buffer 1
		.amdhsa_user_sgpr_dispatch_ptr 0
		.amdhsa_user_sgpr_queue_ptr 0
		.amdhsa_user_sgpr_kernarg_segment_ptr 1
		.amdhsa_user_sgpr_dispatch_id 0
		.amdhsa_user_sgpr_flat_scratch_init 0
		.amdhsa_user_sgpr_kernarg_preload_length 0
		.amdhsa_user_sgpr_kernarg_preload_offset 0
		.amdhsa_user_sgpr_private_segment_size 0
		.amdhsa_uses_dynamic_stack 0
		.amdhsa_system_sgpr_private_segment_wavefront_offset 0
		.amdhsa_system_sgpr_workgroup_id_x 1
		.amdhsa_system_sgpr_workgroup_id_y 1
		.amdhsa_system_sgpr_workgroup_id_z 0
		.amdhsa_system_sgpr_workgroup_info 0
		.amdhsa_system_vgpr_workitem_id 1
		.amdhsa_next_free_vgpr 121
		.amdhsa_next_free_sgpr 50
		.amdhsa_accum_offset 124
		.amdhsa_reserve_vcc 1
		.amdhsa_reserve_flat_scratch 0
		.amdhsa_float_round_mode_32 0
		.amdhsa_float_round_mode_16_64 0
		.amdhsa_float_denorm_mode_32 3
		.amdhsa_float_denorm_mode_16_64 3
		.amdhsa_dx10_clamp 1
		.amdhsa_ieee_mode 1
		.amdhsa_fp16_overflow 0
		.amdhsa_tg_split 0
		.amdhsa_exception_fp_ieee_invalid_op 0
		.amdhsa_exception_fp_denorm_src 0
		.amdhsa_exception_fp_ieee_div_zero 0
		.amdhsa_exception_fp_ieee_overflow 0
		.amdhsa_exception_fp_ieee_underflow 0
		.amdhsa_exception_fp_ieee_inexact 0
		.amdhsa_exception_int_div_zero 0
	.end_amdhsa_kernel
	.section	.text._ZN2at6native12_GLOBAL__N_135GammaBetaBackwardCUDAKernelTemplateIddLj32ELj8ELj64ELb0ELb0ELb1EEEvllPKT_S5_PKT0_S8_PS3_S9_,"axG",@progbits,_ZN2at6native12_GLOBAL__N_135GammaBetaBackwardCUDAKernelTemplateIddLj32ELj8ELj64ELb0ELb0ELb1EEEvllPKT_S5_PKT0_S8_PS3_S9_,comdat
.Lfunc_end134:
	.size	_ZN2at6native12_GLOBAL__N_135GammaBetaBackwardCUDAKernelTemplateIddLj32ELj8ELj64ELb0ELb0ELb1EEEvllPKT_S5_PKT0_S8_PS3_S9_, .Lfunc_end134-_ZN2at6native12_GLOBAL__N_135GammaBetaBackwardCUDAKernelTemplateIddLj32ELj8ELj64ELb0ELb0ELb1EEEvllPKT_S5_PKT0_S8_PS3_S9_
                                        ; -- End function
	.section	.AMDGPU.csdata,"",@progbits
; Kernel info:
; codeLenInByte = 7332
; NumSgprs: 54
; NumVgprs: 121
; NumAgprs: 0
; TotalNumVgprs: 121
; ScratchSize: 0
; MemoryBound: 1
; FloatMode: 240
; IeeeMode: 1
; LDSByteSize: 0 bytes/workgroup (compile time only)
; SGPRBlocks: 6
; VGPRBlocks: 15
; NumSGPRsForWavesPerEU: 54
; NumVGPRsForWavesPerEU: 121
; AccumOffset: 124
; Occupancy: 4
; WaveLimiterHint : 0
; COMPUTE_PGM_RSRC2:SCRATCH_EN: 0
; COMPUTE_PGM_RSRC2:USER_SGPR: 6
; COMPUTE_PGM_RSRC2:TRAP_HANDLER: 0
; COMPUTE_PGM_RSRC2:TGID_X_EN: 1
; COMPUTE_PGM_RSRC2:TGID_Y_EN: 1
; COMPUTE_PGM_RSRC2:TGID_Z_EN: 0
; COMPUTE_PGM_RSRC2:TIDIG_COMP_CNT: 1
; COMPUTE_PGM_RSRC3_GFX90A:ACCUM_OFFSET: 30
; COMPUTE_PGM_RSRC3_GFX90A:TG_SPLIT: 0
	.section	.text._ZN2at6native12_GLOBAL__N_135GammaBetaBackwardCUDAKernelTemplateIddLj32ELj16ELj128ELb0ELb1ELb1EEEvllPKT_S5_PKT0_S8_PS3_S9_,"axG",@progbits,_ZN2at6native12_GLOBAL__N_135GammaBetaBackwardCUDAKernelTemplateIddLj32ELj16ELj128ELb0ELb1ELb1EEEvllPKT_S5_PKT0_S8_PS3_S9_,comdat
	.globl	_ZN2at6native12_GLOBAL__N_135GammaBetaBackwardCUDAKernelTemplateIddLj32ELj16ELj128ELb0ELb1ELb1EEEvllPKT_S5_PKT0_S8_PS3_S9_ ; -- Begin function _ZN2at6native12_GLOBAL__N_135GammaBetaBackwardCUDAKernelTemplateIddLj32ELj16ELj128ELb0ELb1ELb1EEEvllPKT_S5_PKT0_S8_PS3_S9_
	.p2align	8
	.type	_ZN2at6native12_GLOBAL__N_135GammaBetaBackwardCUDAKernelTemplateIddLj32ELj16ELj128ELb0ELb1ELb1EEEvllPKT_S5_PKT0_S8_PS3_S9_,@function
_ZN2at6native12_GLOBAL__N_135GammaBetaBackwardCUDAKernelTemplateIddLj32ELj16ELj128ELb0ELb1ELb1EEEvllPKT_S5_PKT0_S8_PS3_S9_: ; @_ZN2at6native12_GLOBAL__N_135GammaBetaBackwardCUDAKernelTemplateIddLj32ELj16ELj128ELb0ELb1ELb1EEEvllPKT_S5_PKT0_S8_PS3_S9_
; %bb.0:
	s_load_dwordx4 s[8:11], s[4:5], 0x0
	s_lshl_b32 s16, s7, 7
	s_mov_b32 s17, 0
	v_bfe_u32 v16, v0, 10, 10
	s_waitcnt lgkmcnt(0)
	v_pk_mov_b32 v[2:3], s[8:9], s[8:9] op_sel:[0,1]
	v_cmp_lt_i64_e32 vcc, s[16:17], v[2:3]
	s_cbranch_vccnz .LBB135_2
; %bb.1:
	s_mov_b64 s[0:1], 0
	s_mov_b64 s[12:13], 0
	v_bfe_u32 v1, v0, 10, 10
	s_branch .LBB135_3
.LBB135_2:
	s_mov_b64 s[0:1], -1
                                        ; implicit-def: $sgpr12_sgpr13
                                        ; implicit-def: $vgpr1
.LBB135_3:
	s_load_dwordx2 s[2:3], s[4:5], 0x30
	v_and_b32_e32 v14, 0x3ff, v0
	s_andn2_b64 vcc, exec, s[0:1]
	v_pk_mov_b32 v[6:7], s[12:13], s[12:13] op_sel:[0,1]
	v_mbcnt_lo_u32_b32 v15, -1, 0
	s_cbranch_vccnz .LBB135_11
; %bb.4:
	s_load_dword s0, s[4:5], 0x4c
	s_load_dword s7, s[4:5], 0x44
	s_load_dwordx4 s[12:15], s[4:5], 0x10
	s_load_dwordx2 s[18:19], s[4:5], 0x28
	v_mbcnt_hi_u32_b32 v2, -1, v15
	v_lshlrev_b32_e32 v0, 3, v16
	s_waitcnt lgkmcnt(0)
	s_and_b32 s0, s0, 0xffff
	v_lshlrev_b32_e32 v2, 2, v2
	v_mad_u32_u24 v1, v16, s0, v14
	v_and_b32_e32 v17, 0x100, v2
	v_mov_b32_e32 v2, s17
	v_add_co_u32_e32 v6, vcc, s16, v0
	v_and_b32_e32 v1, 63, v1
	v_addc_co_u32_e32 v7, vcc, 0, v2, vcc
	v_add_co_u32_e32 v0, vcc, v6, v1
	v_cmp_gt_u32_e64 s[0:1], 8, v1
	v_addc_co_u32_e32 v1, vcc, 0, v7, vcc
	v_lshlrev_b64 v[2:3], 3, v[0:1]
	v_mov_b32_e32 v8, s19
	v_add_co_u32_e32 v2, vcc, s18, v2
	s_lshl_b32 s4, s7, 7
	v_addc_co_u32_e32 v3, vcc, v8, v3, vcc
	v_mul_lo_u32 v8, s11, v6
	v_mul_lo_u32 v9, s10, v7
	v_mad_u64_u32 v[6:7], s[20:21], s10, v6, 0
	v_mov_b32_e32 v5, 0
	v_lshl_add_u32 v4, s6, 5, v14
	v_add3_u32 v7, v7, v9, v8
	s_mul_i32 s7, s11, s4
	s_mul_hi_u32 s20, s10, s4
	s_mov_b32 s5, 0
	v_lshlrev_b64 v[6:7], 3, v[6:7]
	v_lshlrev_b64 v[4:5], 3, v[4:5]
	s_add_i32 s21, s20, s7
	s_mul_i32 s20, s10, s4
	s_lshl_b64 s[18:19], s[4:5], 3
	v_add_co_u32_e32 v4, vcc, v6, v4
	s_lshl_b64 s[20:21], s[20:21], 3
	s_lshl_b64 s[10:11], s[10:11], 3
	v_pk_mov_b32 v[8:9], 0, 0
	v_or_b32_e32 v18, 4, v17
	v_or_b32_e32 v19, 8, v17
	;; [unrolled: 1-line block ×7, first 2 shown]
	v_addc_co_u32_e32 v5, vcc, v7, v5, vcc
	v_mov_b32_e32 v25, s13
	v_mov_b32_e32 v26, s15
	;; [unrolled: 1-line block ×6, first 2 shown]
	v_pk_mov_b32 v[10:11], s[8:9], s[8:9] op_sel:[0,1]
	v_pk_mov_b32 v[6:7], v[8:9], v[8:9] op_sel:[0,1]
	s_branch .LBB135_7
.LBB135_5:                              ;   in Loop: Header=BB135_7 Depth=1
	s_or_b64 exec, exec, s[24:25]
.LBB135_6:                              ;   in Loop: Header=BB135_7 Depth=1
	s_or_b64 exec, exec, s[22:23]
	v_add_co_u32_e32 v32, vcc, s12, v4
	v_addc_co_u32_e32 v33, vcc, v25, v5, vcc
	v_add_co_u32_e32 v36, vcc, s14, v4
	v_addc_co_u32_e32 v37, vcc, v26, v5, vcc
	global_load_dwordx2 v[34:35], v[32:33], off
	v_add_co_u32_e32 v32, vcc, s10, v32
	v_addc_co_u32_e32 v33, vcc, v33, v27, vcc
	global_load_dwordx2 v[38:39], v[36:37], off
	;; [unrolled: 3-line block ×13, first 2 shown]
	v_add_co_u32_e32 v32, vcc, s10, v32
	v_addc_co_u32_e32 v33, vcc, v33, v27, vcc
	v_add_co_u32_e32 v62, vcc, s10, v36
	v_addc_co_u32_e32 v63, vcc, v37, v27, vcc
	global_load_dwordx2 v[36:37], v[36:37], off
	s_nop 0
	global_load_dwordx2 v[32:33], v[32:33], off
	s_nop 0
	global_load_dwordx2 v[62:63], v[62:63], off
	v_add_co_u32_e32 v2, vcc, s18, v2
	v_addc_co_u32_e32 v3, vcc, v3, v28, vcc
	v_add_co_u32_e32 v0, vcc, s4, v0
	v_addc_co_u32_e32 v1, vcc, v1, v29, vcc
	s_add_u32 s16, s16, s4
	v_add_co_u32_e32 v4, vcc, s20, v4
	s_addc_u32 s17, s17, 0
	v_addc_co_u32_e32 v5, vcc, v5, v30, vcc
	v_cmp_lt_i64_e32 vcc, s[16:17], v[10:11]
	s_waitcnt vmcnt(14)
	v_mul_f64 v[34:35], v[34:35], v[38:39]
	ds_bpermute_b32 v38, v17, v12
	ds_bpermute_b32 v39, v17, v13
	s_and_b64 vcc, exec, vcc
	s_waitcnt lgkmcnt(0)
	v_fmac_f64_e32 v[6:7], v[34:35], v[38:39]
	ds_bpermute_b32 v34, v18, v12
	ds_bpermute_b32 v35, v18, v13
	s_waitcnt vmcnt(12)
	v_mul_f64 v[38:39], v[40:41], v[42:43]
	ds_bpermute_b32 v40, v20, v12
	ds_bpermute_b32 v41, v20, v13
	;; [unrolled: 1-line block ×3, first 2 shown]
	s_waitcnt lgkmcnt(3)
	v_fmac_f64_e32 v[6:7], v[38:39], v[34:35]
	ds_bpermute_b32 v34, v19, v12
	ds_bpermute_b32 v35, v19, v13
	;; [unrolled: 1-line block ×3, first 2 shown]
	s_waitcnt vmcnt(10)
	v_mul_f64 v[38:39], v[44:45], v[46:47]
	s_waitcnt lgkmcnt(1)
	v_fmac_f64_e32 v[6:7], v[38:39], v[34:35]
	s_waitcnt vmcnt(8)
	v_mul_f64 v[34:35], v[48:49], v[50:51]
	v_fmac_f64_e32 v[6:7], v[34:35], v[40:41]
	ds_bpermute_b32 v40, v23, v12
	ds_bpermute_b32 v41, v23, v13
	s_waitcnt vmcnt(6)
	v_mul_f64 v[34:35], v[52:53], v[54:55]
	s_waitcnt lgkmcnt(2)
	v_fmac_f64_e32 v[6:7], v[34:35], v[42:43]
	ds_bpermute_b32 v34, v22, v12
	ds_bpermute_b32 v35, v22, v13
	;; [unrolled: 1-line block ×4, first 2 shown]
	s_waitcnt vmcnt(4)
	v_mul_f64 v[38:39], v[56:57], v[58:59]
	s_waitcnt lgkmcnt(2)
	v_fmac_f64_e32 v[6:7], v[38:39], v[34:35]
	s_waitcnt vmcnt(2)
	v_mul_f64 v[34:35], v[60:61], v[36:37]
	v_fmac_f64_e32 v[6:7], v[34:35], v[40:41]
	s_waitcnt vmcnt(0)
	v_mul_f64 v[32:33], v[32:33], v[62:63]
	s_waitcnt lgkmcnt(0)
	v_fmac_f64_e32 v[6:7], v[32:33], v[12:13]
	s_cbranch_vccz .LBB135_10
.LBB135_7:                              ; =>This Inner Loop Header: Depth=1
	v_pk_mov_b32 v[12:13], v[8:9], v[8:9] op_sel:[0,1]
	s_and_saveexec_b64 s[22:23], s[0:1]
	s_cbranch_execz .LBB135_6
; %bb.8:                                ;   in Loop: Header=BB135_7 Depth=1
	v_cmp_gt_i64_e32 vcc, s[8:9], v[0:1]
	v_pk_mov_b32 v[12:13], 0, 0
	s_and_saveexec_b64 s[24:25], vcc
	s_cbranch_execz .LBB135_5
; %bb.9:                                ;   in Loop: Header=BB135_7 Depth=1
	global_load_dwordx2 v[12:13], v[2:3], off
	s_branch .LBB135_5
.LBB135_10:
	v_mov_b32_e32 v1, v16
.LBB135_11:
	v_mad_u32_u24 v0, v1, 33, v14
	v_lshl_add_u32 v4, v0, 3, 0
	v_mov_b32_e32 v2, 0
	v_sub_u32_e32 v0, v0, v1
	s_movk_i32 s0, 0x800
	s_mov_b32 s7, 0
	v_mov_b32_e32 v3, v2
	v_cmp_gt_u32_e32 vcc, s0, v0
	ds_write_b64 v4, v[6:7]
	ds_write_b64 v4, v[2:3] offset:4224
	s_waitcnt lgkmcnt(0)
	s_barrier
	s_and_saveexec_b64 s[0:1], vcc
	s_cbranch_execz .LBB135_18
; %bb.12:
	v_mbcnt_hi_u32_b32 v2, -1, v15
	v_and_b32_e32 v3, 64, v2
	s_cmp_lg_u64 s[2:3], 0
	v_add_u32_e32 v3, 64, v3
	v_cmp_eq_u32_e64 s[0:1], 0, v14
	s_cselect_b64 s[8:9], -1, 0
	v_xor_b32_e32 v4, 8, v2
	s_and_b64 s[8:9], s[0:1], s[8:9]
	v_cmp_lt_i32_e64 s[0:1], v4, v3
	v_xor_b32_e32 v5, 4, v2
	v_cndmask_b32_e64 v4, v2, v4, s[0:1]
	v_cmp_lt_i32_e64 s[0:1], v5, v3
	v_xor_b32_e32 v6, 2, v2
	v_cndmask_b32_e64 v5, v2, v5, s[0:1]
	v_cmp_lt_i32_e64 s[0:1], v6, v3
	v_xor_b32_e32 v7, 1, v2
	v_cndmask_b32_e64 v6, v2, v6, s[0:1]
	v_cmp_lt_i32_e64 s[0:1], v7, v3
	v_cndmask_b32_e64 v2, v2, v7, s[0:1]
	s_lshl_b64 s[0:1], s[6:7], 8
	v_lshrrev_b32_e32 v1, 6, v0
	v_and_b32_e32 v0, 63, v0
	s_add_u32 s0, s2, s0
	v_cmp_gt_u32_e32 vcc, 16, v0
	v_mul_u32_u24_e32 v0, 0x108, v0
	v_lshlrev_b32_e32 v7, 2, v2
	v_lshlrev_b32_e32 v2, 3, v1
	s_addc_u32 s1, s3, s1
	v_add3_u32 v8, v0, v2, 0
	v_add_u32_e32 v9, -8, v1
	v_mov_b32_e32 v1, s1
	v_add_co_u32_e64 v0, s[0:1], s0, v2
	s_mov_b64 s[4:5], 0
	v_lshlrev_b32_e32 v4, 2, v4
	v_lshlrev_b32_e32 v5, 2, v5
	;; [unrolled: 1-line block ×3, first 2 shown]
	v_addc_co_u32_e64 v1, s[0:1], 0, v1, s[0:1]
                                        ; implicit-def: $vgpr2_vgpr3
	s_branch .LBB135_14
.LBB135_13:                             ;   in Loop: Header=BB135_14 Depth=1
	s_or_b64 exec, exec, s[0:1]
	v_add_u32_e32 v9, 8, v9
	v_cmp_lt_u32_e64 s[0:1], 23, v9
	s_or_b64 s[4:5], s[0:1], s[4:5]
	v_add_co_u32_e64 v0, s[0:1], 64, v0
	v_add_u32_e32 v8, 64, v8
	v_addc_co_u32_e64 v1, s[0:1], 0, v1, s[0:1]
	s_andn2_b64 exec, exec, s[4:5]
	s_cbranch_execz .LBB135_18
.LBB135_14:                             ; =>This Inner Loop Header: Depth=1
	s_and_saveexec_b64 s[0:1], vcc
	s_cbranch_execz .LBB135_16
; %bb.15:                               ;   in Loop: Header=BB135_14 Depth=1
	ds_read_b64 v[2:3], v8
.LBB135_16:                             ;   in Loop: Header=BB135_14 Depth=1
	s_or_b64 exec, exec, s[0:1]
	s_waitcnt lgkmcnt(0)
	ds_bpermute_b32 v10, v4, v2
	ds_bpermute_b32 v11, v4, v3
	s_waitcnt lgkmcnt(0)
	v_add_f64 v[2:3], v[2:3], v[10:11]
	ds_bpermute_b32 v10, v5, v2
	ds_bpermute_b32 v11, v5, v3
	s_waitcnt lgkmcnt(0)
	v_add_f64 v[2:3], v[2:3], v[10:11]
	;; [unrolled: 4-line block ×4, first 2 shown]
	s_and_saveexec_b64 s[0:1], s[8:9]
	s_cbranch_execz .LBB135_13
; %bb.17:                               ;   in Loop: Header=BB135_14 Depth=1
	global_store_dwordx2 v[0:1], v[2:3], off
	s_branch .LBB135_13
.LBB135_18:
	s_endpgm
	.section	.rodata,"a",@progbits
	.p2align	6, 0x0
	.amdhsa_kernel _ZN2at6native12_GLOBAL__N_135GammaBetaBackwardCUDAKernelTemplateIddLj32ELj16ELj128ELb0ELb1ELb1EEEvllPKT_S5_PKT0_S8_PS3_S9_
		.amdhsa_group_segment_fixed_size 0
		.amdhsa_private_segment_fixed_size 0
		.amdhsa_kernarg_size 320
		.amdhsa_user_sgpr_count 6
		.amdhsa_user_sgpr_private_segment_buffer 1
		.amdhsa_user_sgpr_dispatch_ptr 0
		.amdhsa_user_sgpr_queue_ptr 0
		.amdhsa_user_sgpr_kernarg_segment_ptr 1
		.amdhsa_user_sgpr_dispatch_id 0
		.amdhsa_user_sgpr_flat_scratch_init 0
		.amdhsa_user_sgpr_kernarg_preload_length 0
		.amdhsa_user_sgpr_kernarg_preload_offset 0
		.amdhsa_user_sgpr_private_segment_size 0
		.amdhsa_uses_dynamic_stack 0
		.amdhsa_system_sgpr_private_segment_wavefront_offset 0
		.amdhsa_system_sgpr_workgroup_id_x 1
		.amdhsa_system_sgpr_workgroup_id_y 1
		.amdhsa_system_sgpr_workgroup_id_z 0
		.amdhsa_system_sgpr_workgroup_info 0
		.amdhsa_system_vgpr_workitem_id 1
		.amdhsa_next_free_vgpr 64
		.amdhsa_next_free_sgpr 26
		.amdhsa_accum_offset 64
		.amdhsa_reserve_vcc 1
		.amdhsa_reserve_flat_scratch 0
		.amdhsa_float_round_mode_32 0
		.amdhsa_float_round_mode_16_64 0
		.amdhsa_float_denorm_mode_32 3
		.amdhsa_float_denorm_mode_16_64 3
		.amdhsa_dx10_clamp 1
		.amdhsa_ieee_mode 1
		.amdhsa_fp16_overflow 0
		.amdhsa_tg_split 0
		.amdhsa_exception_fp_ieee_invalid_op 0
		.amdhsa_exception_fp_denorm_src 0
		.amdhsa_exception_fp_ieee_div_zero 0
		.amdhsa_exception_fp_ieee_overflow 0
		.amdhsa_exception_fp_ieee_underflow 0
		.amdhsa_exception_fp_ieee_inexact 0
		.amdhsa_exception_int_div_zero 0
	.end_amdhsa_kernel
	.section	.text._ZN2at6native12_GLOBAL__N_135GammaBetaBackwardCUDAKernelTemplateIddLj32ELj16ELj128ELb0ELb1ELb1EEEvllPKT_S5_PKT0_S8_PS3_S9_,"axG",@progbits,_ZN2at6native12_GLOBAL__N_135GammaBetaBackwardCUDAKernelTemplateIddLj32ELj16ELj128ELb0ELb1ELb1EEEvllPKT_S5_PKT0_S8_PS3_S9_,comdat
.Lfunc_end135:
	.size	_ZN2at6native12_GLOBAL__N_135GammaBetaBackwardCUDAKernelTemplateIddLj32ELj16ELj128ELb0ELb1ELb1EEEvllPKT_S5_PKT0_S8_PS3_S9_, .Lfunc_end135-_ZN2at6native12_GLOBAL__N_135GammaBetaBackwardCUDAKernelTemplateIddLj32ELj16ELj128ELb0ELb1ELb1EEEvllPKT_S5_PKT0_S8_PS3_S9_
                                        ; -- End function
	.section	.AMDGPU.csdata,"",@progbits
; Kernel info:
; codeLenInByte = 1556
; NumSgprs: 30
; NumVgprs: 64
; NumAgprs: 0
; TotalNumVgprs: 64
; ScratchSize: 0
; MemoryBound: 0
; FloatMode: 240
; IeeeMode: 1
; LDSByteSize: 0 bytes/workgroup (compile time only)
; SGPRBlocks: 3
; VGPRBlocks: 7
; NumSGPRsForWavesPerEU: 30
; NumVGPRsForWavesPerEU: 64
; AccumOffset: 64
; Occupancy: 8
; WaveLimiterHint : 0
; COMPUTE_PGM_RSRC2:SCRATCH_EN: 0
; COMPUTE_PGM_RSRC2:USER_SGPR: 6
; COMPUTE_PGM_RSRC2:TRAP_HANDLER: 0
; COMPUTE_PGM_RSRC2:TGID_X_EN: 1
; COMPUTE_PGM_RSRC2:TGID_Y_EN: 1
; COMPUTE_PGM_RSRC2:TGID_Z_EN: 0
; COMPUTE_PGM_RSRC2:TIDIG_COMP_CNT: 1
; COMPUTE_PGM_RSRC3_GFX90A:ACCUM_OFFSET: 15
; COMPUTE_PGM_RSRC3_GFX90A:TG_SPLIT: 0
	.section	.text._ZN2at6native12_GLOBAL__N_135GammaBetaBackwardCUDAKernelTemplateIddLj32ELj16ELj128ELb0ELb0ELb1EEEvllPKT_S5_PKT0_S8_PS3_S9_,"axG",@progbits,_ZN2at6native12_GLOBAL__N_135GammaBetaBackwardCUDAKernelTemplateIddLj32ELj16ELj128ELb0ELb0ELb1EEEvllPKT_S5_PKT0_S8_PS3_S9_,comdat
	.globl	_ZN2at6native12_GLOBAL__N_135GammaBetaBackwardCUDAKernelTemplateIddLj32ELj16ELj128ELb0ELb0ELb1EEEvllPKT_S5_PKT0_S8_PS3_S9_ ; -- Begin function _ZN2at6native12_GLOBAL__N_135GammaBetaBackwardCUDAKernelTemplateIddLj32ELj16ELj128ELb0ELb0ELb1EEEvllPKT_S5_PKT0_S8_PS3_S9_
	.p2align	8
	.type	_ZN2at6native12_GLOBAL__N_135GammaBetaBackwardCUDAKernelTemplateIddLj32ELj16ELj128ELb0ELb0ELb1EEEvllPKT_S5_PKT0_S8_PS3_S9_,@function
_ZN2at6native12_GLOBAL__N_135GammaBetaBackwardCUDAKernelTemplateIddLj32ELj16ELj128ELb0ELb0ELb1EEEvllPKT_S5_PKT0_S8_PS3_S9_: ; @_ZN2at6native12_GLOBAL__N_135GammaBetaBackwardCUDAKernelTemplateIddLj32ELj16ELj128ELb0ELb0ELb1EEEvllPKT_S5_PKT0_S8_PS3_S9_
; %bb.0:
	s_load_dwordx8 s[36:43], s[4:5], 0x0
	s_load_dwordx2 s[28:29], s[4:5], 0x28
	s_lshl_b32 s33, s6, 5
	s_or_b32 s30, s33, 31
	s_mov_b32 s31, 0
	s_waitcnt lgkmcnt(0)
	v_pk_mov_b32 v[2:3], s[38:39], s[38:39] op_sel:[0,1]
	v_cmp_ge_i64_e32 vcc, s[30:31], v[2:3]
	s_lshl_b32 s30, s7, 7
	v_pk_mov_b32 v[2:3], s[36:37], s[36:37] op_sel:[0,1]
	v_cmp_lt_i64_e64 s[0:1], s[30:31], v[2:3]
	v_cndmask_b32_e64 v1, 0, 1, s[0:1]
	v_cmp_ne_u32_e64 s[0:1], 1, v1
	s_cbranch_vccz .LBB136_49
; %bb.1:
	s_and_b64 vcc, exec, s[0:1]
	v_pk_mov_b32 v[2:3], 0, 0
	s_cbranch_vccnz .LBB136_50
; %bb.2:
	v_bfe_u32 v85, v0, 10, 10
	v_lshlrev_b32_e32 v50, 3, v85
	v_mov_b32_e32 v1, s31
	v_add_co_u32_e32 v5, vcc, s30, v50
	v_and_b32_e32 v83, 0x3ff, v0
	v_mov_b32_e32 v4, 0
	v_addc_co_u32_e32 v6, vcc, 0, v1, vcc
	v_add_u32_e32 v2, s33, v83
	v_mov_b32_e32 v3, v4
	v_add_co_u32_e32 v1, vcc, 7, v5
	v_cmp_gt_i64_e64 s[2:3], s[38:39], v[2:3]
	v_lshlrev_b64 v[52:53], 3, v[2:3]
	v_addc_co_u32_e32 v2, vcc, 0, v6, vcc
	v_mul_lo_u32 v7, s39, v1
	v_mul_lo_u32 v8, s38, v2
	v_mad_u64_u32 v[2:3], s[8:9], s38, v1, 0
	s_load_dword s7, s[4:5], 0x44
	v_add3_u32 v3, v3, v8, v7
	v_lshlrev_b64 v[2:3], 3, v[2:3]
	v_mov_b32_e32 v7, s41
	v_add_co_u32_e32 v54, vcc, s40, v2
	v_addc_co_u32_e32 v1, vcc, v7, v3, vcc
	s_add_u32 s10, s4, 64
	v_mov_b32_e32 v8, s43
	v_add_co_u32_e32 v56, vcc, s42, v2
	s_addc_u32 s11, s5, 0
	s_waitcnt lgkmcnt(0)
	s_lshl_b32 s7, s7, 7
	v_addc_co_u32_e32 v51, vcc, v8, v3, vcc
	s_mul_i32 s8, s39, s7
	s_mul_hi_u32 s9, s38, s7
	v_add_co_u32_e32 v2, vcc, 6, v5
	s_add_i32 s9, s9, s8
	s_mul_i32 s8, s38, s7
	v_addc_co_u32_e32 v3, vcc, 0, v6, vcc
	s_lshl_b64 s[34:35], s[8:9], 3
	v_mul_lo_u32 v9, s39, v2
	v_mul_lo_u32 v10, s38, v3
	v_mad_u64_u32 v[2:3], s[8:9], s38, v2, 0
	v_add3_u32 v3, v3, v10, v9
	v_lshlrev_b64 v[2:3], 3, v[2:3]
	v_add_co_u32_e32 v58, vcc, s40, v2
	v_addc_co_u32_e32 v55, vcc, v7, v3, vcc
	v_add_co_u32_e32 v60, vcc, s42, v2
	v_addc_co_u32_e32 v57, vcc, v8, v3, vcc
	v_add_co_u32_e32 v2, vcc, 5, v5
	v_addc_co_u32_e32 v3, vcc, 0, v6, vcc
	v_mul_lo_u32 v9, s39, v2
	v_mul_lo_u32 v10, s38, v3
	v_mad_u64_u32 v[2:3], s[8:9], s38, v2, 0
	v_add3_u32 v3, v3, v10, v9
	v_lshlrev_b64 v[2:3], 3, v[2:3]
	v_add_co_u32_e32 v62, vcc, s40, v2
	v_addc_co_u32_e32 v59, vcc, v7, v3, vcc
	v_add_co_u32_e32 v64, vcc, s42, v2
	v_addc_co_u32_e32 v61, vcc, v8, v3, vcc
	v_add_co_u32_e32 v2, vcc, 4, v5
	v_addc_co_u32_e32 v3, vcc, 0, v6, vcc
	v_mul_lo_u32 v9, s39, v2
	v_mul_lo_u32 v10, s38, v3
	v_mad_u64_u32 v[2:3], s[8:9], s38, v2, 0
	v_add3_u32 v3, v3, v10, v9
	v_lshlrev_b64 v[2:3], 3, v[2:3]
	v_add_co_u32_e32 v66, vcc, s40, v2
	v_addc_co_u32_e32 v63, vcc, v7, v3, vcc
	v_add_co_u32_e32 v68, vcc, s42, v2
	v_addc_co_u32_e32 v65, vcc, v8, v3, vcc
	v_add_co_u32_e32 v2, vcc, 3, v5
	v_addc_co_u32_e32 v3, vcc, 0, v6, vcc
	v_mul_lo_u32 v9, s39, v2
	v_mul_lo_u32 v10, s38, v3
	v_mad_u64_u32 v[2:3], s[8:9], s38, v2, 0
	v_add3_u32 v3, v3, v10, v9
	v_lshlrev_b64 v[2:3], 3, v[2:3]
	v_add_co_u32_e32 v70, vcc, s40, v2
	v_addc_co_u32_e32 v67, vcc, v7, v3, vcc
	v_add_co_u32_e32 v72, vcc, s42, v2
	v_addc_co_u32_e32 v69, vcc, v8, v3, vcc
	v_add_co_u32_e32 v2, vcc, 2, v5
	v_addc_co_u32_e32 v3, vcc, 0, v6, vcc
	v_mul_lo_u32 v9, s39, v2
	v_mul_lo_u32 v10, s38, v3
	v_mad_u64_u32 v[2:3], s[8:9], s38, v2, 0
	v_add3_u32 v3, v3, v10, v9
	v_lshlrev_b64 v[2:3], 3, v[2:3]
	v_add_co_u32_e32 v74, vcc, s40, v2
	v_addc_co_u32_e32 v71, vcc, v7, v3, vcc
	v_add_co_u32_e32 v76, vcc, s42, v2
	v_addc_co_u32_e32 v73, vcc, v8, v3, vcc
	v_pk_mov_b32 v[2:3], s[38:39], s[38:39] op_sel:[0,1]
	v_mad_u64_u32 v[2:3], s[8:9], s38, v5, v[2:3]
	v_mul_lo_u32 v6, s38, v6
	v_mul_lo_u32 v9, s39, v5
	v_add3_u32 v3, v9, v3, v6
	v_lshlrev_b64 v[2:3], 3, v[2:3]
	v_add_co_u32_e32 v78, vcc, s40, v2
	v_addc_co_u32_e32 v75, vcc, v7, v3, vcc
	v_add_co_u32_e32 v80, vcc, s42, v2
	v_addc_co_u32_e32 v77, vcc, v8, v3, vcc
	v_mad_u64_u32 v[2:3], s[8:9], s38, v5, 0
	v_add3_u32 v3, v3, v6, v9
	v_lshlrev_b64 v[2:3], 3, v[2:3]
	v_add_co_u32_e32 v82, vcc, s40, v2
	v_addc_co_u32_e32 v79, vcc, v7, v3, vcc
	v_add_co_u32_e32 v84, vcc, s42, v2
	v_mbcnt_lo_u32_b32 v2, -1, 0
	v_mbcnt_hi_u32_b32 v2, -1, v2
	s_add_u32 s44, s30, 0x7f
	v_lshlrev_b32_e32 v2, 2, v2
	s_mov_b32 s12, 0
	s_addc_u32 s45, 0, 0
	v_addc_co_u32_e32 v81, vcc, v8, v3, vcc
	v_pk_mov_b32 v[86:87], 0, 0
	v_and_b32_e32 v90, 0x100, v2
	s_mov_b64 s[46:47], s[30:31]
.LBB136_3:                              ; =>This Inner Loop Header: Depth=1
	v_pk_mov_b32 v[2:3], s[36:37], s[36:37] op_sel:[0,1]
	v_cmp_ge_i64_e32 vcc, s[44:45], v[2:3]
	v_mov_b32_e32 v2, s45
	v_add_co_u32_e64 v91, s[8:9], s44, v50
	v_addc_co_u32_e64 v92, s[8:9], 0, v2, s[8:9]
	s_cbranch_vccz .LBB136_25
; %bb.4:                                ;   in Loop: Header=BB136_3 Depth=1
	s_load_dword s8, s[10:11], 0xc
	v_pk_mov_b32 v[88:89], 0, 0
	s_waitcnt lgkmcnt(0)
	s_and_b32 s8, s8, 0xffff
	v_mad_u32_u24 v2, v85, s8, v83
	v_and_b32_e32 v2, 63, v2
	v_cmp_gt_u32_e32 vcc, 8, v2
	s_and_saveexec_b64 s[8:9], vcc
	s_cbranch_execz .LBB136_8
; %bb.5:                                ;   in Loop: Header=BB136_3 Depth=1
	v_add_co_u32_e32 v2, vcc, v91, v2
	v_addc_co_u32_e32 v3, vcc, 0, v92, vcc
	v_add_co_u32_e32 v2, vcc, 0xffffff81, v2
	v_addc_co_u32_e32 v3, vcc, -1, v3, vcc
	v_cmp_gt_i64_e32 vcc, s[36:37], v[2:3]
	v_pk_mov_b32 v[88:89], 0, 0
	s_and_saveexec_b64 s[14:15], vcc
	s_cbranch_execz .LBB136_7
; %bb.6:                                ;   in Loop: Header=BB136_3 Depth=1
	v_lshlrev_b64 v[2:3], 3, v[2:3]
	v_mov_b32_e32 v5, s29
	v_add_co_u32_e32 v2, vcc, s28, v2
	v_addc_co_u32_e32 v3, vcc, v5, v3, vcc
	global_load_dwordx2 v[88:89], v[2:3], off
.LBB136_7:                              ;   in Loop: Header=BB136_3 Depth=1
	s_or_b64 exec, exec, s[14:15]
.LBB136_8:                              ;   in Loop: Header=BB136_3 Depth=1
	s_or_b64 exec, exec, s[8:9]
	v_add_co_u32_e32 v2, vcc, 0xffffff81, v91
	s_mov_b32 s26, s12
	s_mov_b32 s27, s12
	v_addc_co_u32_e32 v3, vcc, -1, v92, vcc
	s_mov_b32 s13, s12
	s_mov_b32 s14, s12
	;; [unrolled: 1-line block ×13, first 2 shown]
	v_pk_mov_b32 v[32:33], s[26:27], s[26:27] op_sel:[0,1]
	v_cmp_gt_i64_e32 vcc, s[36:37], v[2:3]
	v_pk_mov_b32 v[30:31], s[24:25], s[24:25] op_sel:[0,1]
	v_pk_mov_b32 v[28:29], s[22:23], s[22:23] op_sel:[0,1]
	v_pk_mov_b32 v[26:27], s[20:21], s[20:21] op_sel:[0,1]
	v_pk_mov_b32 v[24:25], s[18:19], s[18:19] op_sel:[0,1]
	v_pk_mov_b32 v[22:23], s[16:17], s[16:17] op_sel:[0,1]
	v_pk_mov_b32 v[20:21], s[14:15], s[14:15] op_sel:[0,1]
	v_pk_mov_b32 v[18:19], s[12:13], s[12:13] op_sel:[0,1]
	v_pk_mov_b32 v[48:49], v[32:33], v[32:33] op_sel:[0,1]
	s_and_b64 s[48:49], s[2:3], vcc
	v_pk_mov_b32 v[46:47], v[30:31], v[30:31] op_sel:[0,1]
	v_pk_mov_b32 v[44:45], v[28:29], v[28:29] op_sel:[0,1]
	;; [unrolled: 1-line block ×7, first 2 shown]
	s_and_saveexec_b64 s[8:9], s[48:49]
	s_cbranch_execz .LBB136_10
; %bb.9:                                ;   in Loop: Header=BB136_3 Depth=1
	v_add_co_u32_e32 v2, vcc, v82, v52
	v_addc_co_u32_e32 v3, vcc, v79, v53, vcc
	v_add_co_u32_e32 v6, vcc, v84, v52
	global_load_dwordx2 v[2:3], v[2:3], off
	v_addc_co_u32_e32 v7, vcc, v81, v53, vcc
	global_load_dwordx2 v[18:19], v[6:7], off
	v_mov_b32_e32 v16, v4
	v_mov_b32_e32 v17, v4
	;; [unrolled: 1-line block ×13, first 2 shown]
	s_waitcnt vmcnt(1)
	v_pk_mov_b32 v[48:49], v[16:17], v[16:17] op_sel:[0,1]
	v_mov_b32_e32 v20, v4
	v_mov_b32_e32 v21, v4
	;; [unrolled: 1-line block ×14, first 2 shown]
	v_pk_mov_b32 v[46:47], v[14:15], v[14:15] op_sel:[0,1]
	v_pk_mov_b32 v[44:45], v[12:13], v[12:13] op_sel:[0,1]
	;; [unrolled: 1-line block ×7, first 2 shown]
.LBB136_10:                             ;   in Loop: Header=BB136_3 Depth=1
	s_or_b64 exec, exec, s[8:9]
	v_add_co_u32_e32 v2, vcc, 0xffffff82, v91
	v_addc_co_u32_e32 v3, vcc, -1, v92, vcc
	v_cmp_gt_i64_e32 vcc, s[36:37], v[2:3]
	s_and_b64 s[14:15], s[2:3], vcc
	s_and_saveexec_b64 s[8:9], s[14:15]
	s_cbranch_execz .LBB136_12
; %bb.11:                               ;   in Loop: Header=BB136_3 Depth=1
	v_add_co_u32_e32 v2, vcc, v78, v52
	v_addc_co_u32_e32 v3, vcc, v75, v53, vcc
	global_load_dwordx2 v[36:37], v[2:3], off
	v_add_co_u32_e32 v2, vcc, v80, v52
	v_addc_co_u32_e32 v3, vcc, v77, v53, vcc
	global_load_dwordx2 v[20:21], v[2:3], off
.LBB136_12:                             ;   in Loop: Header=BB136_3 Depth=1
	s_or_b64 exec, exec, s[8:9]
	v_add_co_u32_e32 v2, vcc, 0xffffff83, v91
	v_addc_co_u32_e32 v3, vcc, -1, v92, vcc
	v_cmp_gt_i64_e32 vcc, s[36:37], v[2:3]
	s_and_b64 s[14:15], s[2:3], vcc
	s_and_saveexec_b64 s[8:9], s[14:15]
	s_cbranch_execz .LBB136_14
; %bb.13:                               ;   in Loop: Header=BB136_3 Depth=1
	v_add_co_u32_e32 v2, vcc, v74, v52
	v_addc_co_u32_e32 v3, vcc, v71, v53, vcc
	global_load_dwordx2 v[38:39], v[2:3], off
	v_add_co_u32_e32 v2, vcc, v76, v52
	v_addc_co_u32_e32 v3, vcc, v73, v53, vcc
	global_load_dwordx2 v[22:23], v[2:3], off
.LBB136_14:                             ;   in Loop: Header=BB136_3 Depth=1
	;; [unrolled: 15-line block ×7, first 2 shown]
	s_or_b64 exec, exec, s[8:9]
	s_waitcnt vmcnt(0)
	ds_bpermute_b32 v2, v90, v88
	ds_bpermute_b32 v3, v90, v89
	ds_bpermute_b32 v6, v90, v88 offset:4
	ds_bpermute_b32 v7, v90, v89 offset:4
	v_mul_f64 v[8:9], v[18:19], v[34:35]
	ds_bpermute_b32 v10, v90, v88 offset:12
	s_waitcnt lgkmcnt(3)
	v_fma_f64 v[2:3], v[8:9], v[2:3], v[86:87]
	v_mul_f64 v[8:9], v[20:21], v[36:37]
	s_waitcnt lgkmcnt(1)
	v_fmac_f64_e32 v[2:3], v[8:9], v[6:7]
	ds_bpermute_b32 v6, v90, v88 offset:8
	ds_bpermute_b32 v7, v90, v89 offset:8
	;; [unrolled: 1-line block ×5, first 2 shown]
	v_mul_f64 v[8:9], v[22:23], v[38:39]
	s_waitcnt lgkmcnt(3)
	v_fmac_f64_e32 v[2:3], v[8:9], v[6:7]
	v_mul_f64 v[6:7], v[24:25], v[40:41]
	s_waitcnt lgkmcnt(2)
	v_fmac_f64_e32 v[2:3], v[6:7], v[10:11]
	v_mul_f64 v[6:7], v[26:27], v[42:43]
	ds_bpermute_b32 v8, v90, v88 offset:20
	ds_bpermute_b32 v9, v90, v89 offset:20
	s_waitcnt lgkmcnt(2)
	v_fmac_f64_e32 v[2:3], v[6:7], v[12:13]
	ds_bpermute_b32 v12, v90, v88 offset:24
	ds_bpermute_b32 v13, v90, v89 offset:24
	;; [unrolled: 1-line block ×4, first 2 shown]
	v_mul_f64 v[10:11], v[28:29], v[44:45]
	s_waitcnt lgkmcnt(4)
	v_fmac_f64_e32 v[2:3], v[10:11], v[8:9]
	v_mul_f64 v[8:9], v[30:31], v[46:47]
	s_waitcnt lgkmcnt(2)
	v_fmac_f64_e32 v[2:3], v[8:9], v[12:13]
	s_branch .LBB136_40
.LBB136_25:                             ;   in Loop: Header=BB136_3 Depth=1
                                        ; implicit-def: $vgpr2_vgpr3
                                        ; implicit-def: $vgpr18_vgpr19_vgpr20_vgpr21_vgpr22_vgpr23_vgpr24_vgpr25_vgpr26_vgpr27_vgpr28_vgpr29_vgpr30_vgpr31_vgpr32_vgpr33
                                        ; implicit-def: $vgpr34_vgpr35_vgpr36_vgpr37_vgpr38_vgpr39_vgpr40_vgpr41_vgpr42_vgpr43_vgpr44_vgpr45_vgpr46_vgpr47_vgpr48_vgpr49
                                        ; implicit-def: $vgpr6
	s_cbranch_execz .LBB136_40
; %bb.26:                               ;   in Loop: Header=BB136_3 Depth=1
	s_load_dword s8, s[10:11], 0x0
	v_pk_mov_b32 v[88:89], 0, 0
	s_waitcnt lgkmcnt(0)
	s_cmp_lt_u32 s6, s8
	s_cselect_b32 s8, 12, 18
	s_add_u32 s8, s10, s8
	s_addc_u32 s9, s11, 0
	global_load_ushort v2, v4, s[8:9]
	s_waitcnt vmcnt(0)
	v_mad_u32_u24 v2, v85, v2, v83
	v_and_b32_e32 v2, 63, v2
	v_cmp_gt_u32_e32 vcc, 8, v2
	s_and_saveexec_b64 s[8:9], vcc
	s_cbranch_execz .LBB136_30
; %bb.27:                               ;   in Loop: Header=BB136_3 Depth=1
	v_add_co_u32_e32 v2, vcc, v91, v2
	v_addc_co_u32_e32 v3, vcc, 0, v92, vcc
	v_add_co_u32_e32 v2, vcc, 0xffffff81, v2
	v_addc_co_u32_e32 v3, vcc, -1, v3, vcc
	v_cmp_gt_i64_e32 vcc, s[36:37], v[2:3]
	v_pk_mov_b32 v[88:89], 0, 0
	s_and_saveexec_b64 s[14:15], vcc
	s_cbranch_execz .LBB136_29
; %bb.28:                               ;   in Loop: Header=BB136_3 Depth=1
	v_lshlrev_b64 v[2:3], 3, v[2:3]
	v_mov_b32_e32 v5, s29
	v_add_co_u32_e32 v2, vcc, s28, v2
	v_addc_co_u32_e32 v3, vcc, v5, v3, vcc
	global_load_dwordx2 v[88:89], v[2:3], off
.LBB136_29:                             ;   in Loop: Header=BB136_3 Depth=1
	s_or_b64 exec, exec, s[14:15]
.LBB136_30:                             ;   in Loop: Header=BB136_3 Depth=1
	s_or_b64 exec, exec, s[8:9]
	s_mov_b32 s26, s12
	s_mov_b32 s27, s12
	;; [unrolled: 1-line block ×15, first 2 shown]
	v_pk_mov_b32 v[32:33], s[26:27], s[26:27] op_sel:[0,1]
	v_pk_mov_b32 v[30:31], s[24:25], s[24:25] op_sel:[0,1]
	;; [unrolled: 1-line block ×16, first 2 shown]
	s_and_saveexec_b64 s[8:9], s[2:3]
	s_cbranch_execnz .LBB136_42
; %bb.31:                               ;   in Loop: Header=BB136_3 Depth=1
	s_or_b64 exec, exec, s[8:9]
	s_and_saveexec_b64 s[8:9], s[2:3]
	s_cbranch_execnz .LBB136_43
.LBB136_32:                             ;   in Loop: Header=BB136_3 Depth=1
	s_or_b64 exec, exec, s[8:9]
	s_and_saveexec_b64 s[8:9], s[2:3]
	s_cbranch_execnz .LBB136_44
.LBB136_33:                             ;   in Loop: Header=BB136_3 Depth=1
	s_or_b64 exec, exec, s[8:9]
	s_and_saveexec_b64 s[8:9], s[2:3]
	s_cbranch_execnz .LBB136_45
.LBB136_34:                             ;   in Loop: Header=BB136_3 Depth=1
	s_or_b64 exec, exec, s[8:9]
	s_and_saveexec_b64 s[8:9], s[2:3]
	s_cbranch_execnz .LBB136_46
.LBB136_35:                             ;   in Loop: Header=BB136_3 Depth=1
	s_or_b64 exec, exec, s[8:9]
	s_and_saveexec_b64 s[8:9], s[2:3]
	s_cbranch_execnz .LBB136_47
.LBB136_36:                             ;   in Loop: Header=BB136_3 Depth=1
	s_or_b64 exec, exec, s[8:9]
	s_and_saveexec_b64 s[8:9], s[2:3]
	s_cbranch_execnz .LBB136_48
.LBB136_37:                             ;   in Loop: Header=BB136_3 Depth=1
	s_or_b64 exec, exec, s[8:9]
	s_and_saveexec_b64 s[8:9], s[2:3]
	s_cbranch_execz .LBB136_39
.LBB136_38:                             ;   in Loop: Header=BB136_3 Depth=1
	v_add_co_u32_e32 v2, vcc, v54, v52
	v_addc_co_u32_e32 v3, vcc, v1, v53, vcc
	global_load_dwordx2 v[48:49], v[2:3], off
	v_add_co_u32_e32 v2, vcc, v56, v52
	v_addc_co_u32_e32 v3, vcc, v51, v53, vcc
	global_load_dwordx2 v[32:33], v[2:3], off
.LBB136_39:                             ;   in Loop: Header=BB136_3 Depth=1
	s_or_b64 exec, exec, s[8:9]
	s_waitcnt vmcnt(0)
	ds_bpermute_b32 v2, v90, v88
	ds_bpermute_b32 v3, v90, v89
	ds_bpermute_b32 v6, v90, v88 offset:4
	ds_bpermute_b32 v7, v90, v89 offset:4
	v_mul_f64 v[8:9], v[18:19], v[34:35]
	ds_bpermute_b32 v10, v90, v88 offset:16
	s_waitcnt lgkmcnt(3)
	v_fmac_f64_e32 v[86:87], v[8:9], v[2:3]
	v_mul_f64 v[2:3], v[20:21], v[36:37]
	s_waitcnt lgkmcnt(1)
	v_fmac_f64_e32 v[86:87], v[2:3], v[6:7]
	ds_bpermute_b32 v2, v90, v88 offset:8
	ds_bpermute_b32 v3, v90, v89 offset:8
	;; [unrolled: 1-line block ×5, first 2 shown]
	v_mul_f64 v[6:7], v[22:23], v[38:39]
	s_waitcnt lgkmcnt(3)
	v_fmac_f64_e32 v[86:87], v[6:7], v[2:3]
	v_mul_f64 v[2:3], v[24:25], v[40:41]
	s_waitcnt lgkmcnt(1)
	v_fmac_f64_e32 v[86:87], v[2:3], v[8:9]
	;; [unrolled: 3-line block ×3, first 2 shown]
	ds_bpermute_b32 v2, v90, v88 offset:20
	ds_bpermute_b32 v3, v90, v89 offset:20
	;; [unrolled: 1-line block ×4, first 2 shown]
	v_mul_f64 v[8:9], v[28:29], v[44:45]
	ds_bpermute_b32 v6, v90, v88 offset:28
	s_waitcnt lgkmcnt(3)
	v_fmac_f64_e32 v[86:87], v[8:9], v[2:3]
	v_mul_f64 v[2:3], v[30:31], v[46:47]
	s_waitcnt lgkmcnt(1)
	v_fmac_f64_e32 v[86:87], v[2:3], v[10:11]
	ds_bpermute_b32 v7, v90, v89 offset:28
	v_pk_mov_b32 v[2:3], v[86:87], v[86:87] op_sel:[0,1]
.LBB136_40:                             ;   in Loop: Header=BB136_3 Depth=1
	v_mov_b32_e32 v5, s35
	v_add_co_u32_e32 v54, vcc, s34, v54
	v_addc_co_u32_e32 v1, vcc, v1, v5, vcc
	v_add_co_u32_e32 v56, vcc, s34, v56
	v_addc_co_u32_e32 v51, vcc, v51, v5, vcc
	;; [unrolled: 2-line block ×15, first 2 shown]
	v_mul_f64 v[8:9], v[48:49], v[32:33]
	s_add_u32 s46, s46, s7
	v_add_co_u32_e32 v84, vcc, s34, v84
	s_waitcnt lgkmcnt(0)
	v_fmac_f64_e32 v[2:3], v[8:9], v[6:7]
	s_addc_u32 s47, s47, 0
	v_addc_co_u32_e32 v81, vcc, v81, v5, vcc
	v_pk_mov_b32 v[6:7], s[36:37], s[36:37] op_sel:[0,1]
	s_add_u32 s44, s44, s7
	v_cmp_lt_i64_e32 vcc, s[46:47], v[6:7]
	s_addc_u32 s45, s45, 0
	s_cbranch_vccz .LBB136_50
; %bb.41:                               ;   in Loop: Header=BB136_3 Depth=1
	v_pk_mov_b32 v[86:87], v[2:3], v[2:3] op_sel:[0,1]
	s_branch .LBB136_3
.LBB136_42:                             ;   in Loop: Header=BB136_3 Depth=1
	v_add_co_u32_e32 v2, vcc, v82, v52
	v_addc_co_u32_e32 v3, vcc, v79, v53, vcc
	v_add_co_u32_e32 v6, vcc, v84, v52
	global_load_dwordx2 v[2:3], v[2:3], off
	v_addc_co_u32_e32 v7, vcc, v81, v53, vcc
	global_load_dwordx2 v[18:19], v[6:7], off
	v_mov_b32_e32 v16, v4
	v_mov_b32_e32 v17, v4
	;; [unrolled: 1-line block ×13, first 2 shown]
	s_waitcnt vmcnt(1)
	v_pk_mov_b32 v[48:49], v[16:17], v[16:17] op_sel:[0,1]
	v_mov_b32_e32 v20, v4
	v_mov_b32_e32 v21, v4
	;; [unrolled: 1-line block ×14, first 2 shown]
	v_pk_mov_b32 v[46:47], v[14:15], v[14:15] op_sel:[0,1]
	v_pk_mov_b32 v[44:45], v[12:13], v[12:13] op_sel:[0,1]
	;; [unrolled: 1-line block ×7, first 2 shown]
	s_or_b64 exec, exec, s[8:9]
	s_and_saveexec_b64 s[8:9], s[2:3]
	s_cbranch_execz .LBB136_32
.LBB136_43:                             ;   in Loop: Header=BB136_3 Depth=1
	v_add_co_u32_e32 v2, vcc, v78, v52
	v_addc_co_u32_e32 v3, vcc, v75, v53, vcc
	global_load_dwordx2 v[36:37], v[2:3], off
	v_add_co_u32_e32 v2, vcc, v80, v52
	v_addc_co_u32_e32 v3, vcc, v77, v53, vcc
	global_load_dwordx2 v[20:21], v[2:3], off
	s_or_b64 exec, exec, s[8:9]
	s_and_saveexec_b64 s[8:9], s[2:3]
	s_cbranch_execz .LBB136_33
.LBB136_44:                             ;   in Loop: Header=BB136_3 Depth=1
	v_add_co_u32_e32 v2, vcc, v74, v52
	v_addc_co_u32_e32 v3, vcc, v71, v53, vcc
	global_load_dwordx2 v[38:39], v[2:3], off
	v_add_co_u32_e32 v2, vcc, v76, v52
	v_addc_co_u32_e32 v3, vcc, v73, v53, vcc
	global_load_dwordx2 v[22:23], v[2:3], off
	s_or_b64 exec, exec, s[8:9]
	s_and_saveexec_b64 s[8:9], s[2:3]
	s_cbranch_execz .LBB136_34
.LBB136_45:                             ;   in Loop: Header=BB136_3 Depth=1
	v_add_co_u32_e32 v2, vcc, v70, v52
	v_addc_co_u32_e32 v3, vcc, v67, v53, vcc
	global_load_dwordx2 v[40:41], v[2:3], off
	v_add_co_u32_e32 v2, vcc, v72, v52
	v_addc_co_u32_e32 v3, vcc, v69, v53, vcc
	global_load_dwordx2 v[24:25], v[2:3], off
	s_or_b64 exec, exec, s[8:9]
	s_and_saveexec_b64 s[8:9], s[2:3]
	s_cbranch_execz .LBB136_35
.LBB136_46:                             ;   in Loop: Header=BB136_3 Depth=1
	v_add_co_u32_e32 v2, vcc, v66, v52
	v_addc_co_u32_e32 v3, vcc, v63, v53, vcc
	global_load_dwordx2 v[42:43], v[2:3], off
	v_add_co_u32_e32 v2, vcc, v68, v52
	v_addc_co_u32_e32 v3, vcc, v65, v53, vcc
	global_load_dwordx2 v[26:27], v[2:3], off
	s_or_b64 exec, exec, s[8:9]
	s_and_saveexec_b64 s[8:9], s[2:3]
	s_cbranch_execz .LBB136_36
.LBB136_47:                             ;   in Loop: Header=BB136_3 Depth=1
	v_add_co_u32_e32 v2, vcc, v62, v52
	v_addc_co_u32_e32 v3, vcc, v59, v53, vcc
	global_load_dwordx2 v[44:45], v[2:3], off
	v_add_co_u32_e32 v2, vcc, v64, v52
	v_addc_co_u32_e32 v3, vcc, v61, v53, vcc
	global_load_dwordx2 v[28:29], v[2:3], off
	s_or_b64 exec, exec, s[8:9]
	s_and_saveexec_b64 s[8:9], s[2:3]
	s_cbranch_execz .LBB136_37
.LBB136_48:                             ;   in Loop: Header=BB136_3 Depth=1
	v_add_co_u32_e32 v2, vcc, v58, v52
	v_addc_co_u32_e32 v3, vcc, v55, v53, vcc
	global_load_dwordx2 v[46:47], v[2:3], off
	v_add_co_u32_e32 v2, vcc, v60, v52
	v_addc_co_u32_e32 v3, vcc, v57, v53, vcc
	global_load_dwordx2 v[30:31], v[2:3], off
	s_or_b64 exec, exec, s[8:9]
	s_and_saveexec_b64 s[8:9], s[2:3]
	s_cbranch_execnz .LBB136_38
	s_branch .LBB136_39
.LBB136_49:
                                        ; implicit-def: $vgpr2_vgpr3
	s_branch .LBB136_51
.LBB136_50:
	s_cbranch_execnz .LBB136_83
.LBB136_51:
	s_and_b64 vcc, exec, s[0:1]
	v_pk_mov_b32 v[2:3], 0, 0
	s_cbranch_vccnz .LBB136_83
; %bb.52:
	s_load_dword s0, s[4:5], 0x44
	s_add_u32 s2, s4, 64
	s_addc_u32 s3, s5, 0
	v_bfe_u32 v109, v0, 10, 10
	v_lshlrev_b32_e32 v1, 6, v109
	s_waitcnt lgkmcnt(0)
	s_lshl_b32 s7, s0, 7
	s_add_u32 s24, s30, 0x7f
	s_addc_u32 s25, 0, 0
	s_lshl_b64 s[0:1], s[30:31], 3
	v_mov_b32_e32 v2, s1
	v_add_co_u32_e32 v1, vcc, s0, v1
	v_addc_co_u32_e32 v4, vcc, 0, v2, vcc
	v_add_co_u32_e32 v6, vcc, 8, v1
	v_addc_co_u32_e32 v5, vcc, 0, v4, vcc
	v_add_co_u32_e32 v9, vcc, 16, v1
	v_mul_lo_u32 v7, s38, v5
	v_addc_co_u32_e32 v5, vcc, 0, v4, vcc
	v_add_co_u32_e32 v12, vcc, 24, v1
	v_mul_lo_u32 v10, s38, v5
	;; [unrolled: 3-line block ×5, first 2 shown]
	v_addc_co_u32_e32 v5, vcc, 0, v4, vcc
	v_add_co_u32_e32 v24, vcc, 56, v1
	v_lshlrev_b32_e32 v50, 3, v109
	v_addc_co_u32_e32 v1, vcc, 0, v4, vcc
	v_mul_lo_u32 v25, s38, v1
	v_mov_b32_e32 v1, s31
	v_add_co_u32_e32 v27, vcc, s30, v50
	v_pk_mov_b32 v[2:3], s[40:41], s[40:41] op_sel:[0,1]
	v_addc_co_u32_e32 v28, vcc, 0, v1, vcc
	v_mad_u64_u32 v[52:53], s[0:1], s38, v6, v[2:3]
	v_mad_u64_u32 v[54:55], s[0:1], s38, v9, v[2:3]
	;; [unrolled: 1-line block ×7, first 2 shown]
	v_mul_lo_u32 v29, s39, v27
	v_mul_lo_u32 v30, s38, v28
	v_mad_u64_u32 v[2:3], s[0:1], s38, v27, 0
	v_add3_u32 v3, v3, v30, v29
	v_lshlrev_b64 v[2:3], 3, v[2:3]
	v_mul_lo_u32 v22, s38, v5
	v_mov_b32_e32 v31, s41
	v_add_co_u32_e32 v66, vcc, s40, v2
	v_pk_mov_b32 v[4:5], s[42:43], s[42:43] op_sel:[0,1]
	v_mul_lo_u32 v17, s39, v15
	v_addc_co_u32_e32 v1, vcc, v31, v3, vcc
	v_mad_u64_u32 v[74:75], s[0:1], s38, v15, v[4:5]
	v_add3_u32 v59, v17, v59, v16
	v_add3_u32 v75, v17, v75, v16
	v_mov_b32_e32 v16, s43
	v_add_co_u32_e32 v82, vcc, s42, v2
	v_addc_co_u32_e32 v51, vcc, v16, v3, vcc
	v_add_co_u32_e32 v2, vcc, 7, v27
	v_addc_co_u32_e32 v3, vcc, 0, v28, vcc
	v_mad_u64_u32 v[68:69], s[0:1], s38, v6, v[4:5]
	v_mad_u64_u32 v[70:71], s[0:1], s38, v9, v[4:5]
	;; [unrolled: 1-line block ×6, first 2 shown]
	v_mul_lo_u32 v4, s39, v2
	v_mul_lo_u32 v5, s38, v3
	v_mad_u64_u32 v[2:3], s[0:1], s38, v2, 0
	v_add3_u32 v3, v3, v5, v4
	v_add_co_u32_e32 v4, vcc, 6, v27
	v_mul_lo_u32 v8, s39, v6
	v_addc_co_u32_e32 v5, vcc, 0, v28, vcc
	v_add3_u32 v53, v8, v53, v7
	v_add3_u32 v69, v8, v69, v7
	v_mul_lo_u32 v6, s39, v4
	v_mul_lo_u32 v7, s38, v5
	v_mad_u64_u32 v[4:5], s[0:1], s38, v4, 0
	v_add3_u32 v5, v5, v7, v6
	v_add_co_u32_e32 v6, vcc, 5, v27
	v_addc_co_u32_e32 v7, vcc, 0, v28, vcc
	v_mul_lo_u32 v11, s39, v9
	v_mul_lo_u32 v8, s39, v6
	v_mul_lo_u32 v9, s38, v7
	v_mad_u64_u32 v[6:7], s[0:1], s38, v6, 0
	v_add3_u32 v7, v7, v9, v8
	v_add_co_u32_e32 v8, vcc, 4, v27
	v_addc_co_u32_e32 v9, vcc, 0, v28, vcc
	v_add3_u32 v55, v11, v55, v10
	v_add3_u32 v71, v11, v71, v10
	v_mul_lo_u32 v10, s39, v8
	v_mul_lo_u32 v11, s38, v9
	v_mad_u64_u32 v[8:9], s[0:1], s38, v8, 0
	v_add3_u32 v9, v9, v11, v10
	v_add_co_u32_e32 v10, vcc, 3, v27
	v_mul_lo_u32 v14, s39, v12
	v_addc_co_u32_e32 v11, vcc, 0, v28, vcc
	v_add3_u32 v57, v14, v57, v13
	v_add3_u32 v73, v14, v73, v13
	v_mul_lo_u32 v12, s39, v10
	v_mul_lo_u32 v13, s38, v11
	v_mad_u64_u32 v[10:11], s[0:1], s38, v10, 0
	v_add3_u32 v11, v11, v13, v12
	v_add_co_u32_e32 v12, vcc, 2, v27
	v_lshlrev_b64 v[2:3], 3, v[2:3]
	v_addc_co_u32_e32 v13, vcc, 0, v28, vcc
	v_add_co_u32_e32 v84, vcc, s40, v2
	v_addc_co_u32_e32 v67, vcc, v31, v3, vcc
	v_add_co_u32_e32 v86, vcc, s42, v2
	v_addc_co_u32_e32 v83, vcc, v16, v3, vcc
	v_lshlrev_b64 v[2:3], 3, v[4:5]
	v_add_co_u32_e32 v88, vcc, s40, v2
	v_addc_co_u32_e32 v85, vcc, v31, v3, vcc
	v_add_co_u32_e32 v90, vcc, s42, v2
	v_addc_co_u32_e32 v87, vcc, v16, v3, vcc
	v_lshlrev_b64 v[2:3], 3, v[6:7]
	v_add_co_u32_e32 v92, vcc, s40, v2
	v_addc_co_u32_e32 v89, vcc, v31, v3, vcc
	v_add_co_u32_e32 v94, vcc, s42, v2
	v_addc_co_u32_e32 v91, vcc, v16, v3, vcc
	v_lshlrev_b64 v[2:3], 3, v[8:9]
	v_add_co_u32_e32 v96, vcc, s40, v2
	v_addc_co_u32_e32 v93, vcc, v31, v3, vcc
	v_add_co_u32_e32 v98, vcc, s42, v2
	v_addc_co_u32_e32 v95, vcc, v16, v3, vcc
	v_lshlrev_b64 v[2:3], 3, v[10:11]
	v_add_co_u32_e32 v100, vcc, s40, v2
	v_mul_lo_u32 v14, s39, v12
	v_mul_lo_u32 v15, s38, v13
	v_mad_u64_u32 v[12:13], s[0:1], s38, v12, 0
	v_addc_co_u32_e32 v97, vcc, v31, v3, vcc
	v_add3_u32 v13, v13, v15, v14
	v_add_co_u32_e32 v102, vcc, s42, v2
	v_addc_co_u32_e32 v99, vcc, v16, v3, vcc
	v_lshlrev_b64 v[2:3], 3, v[12:13]
	v_pk_mov_b32 v[14:15], s[38:39], s[38:39] op_sel:[0,1]
	v_add_co_u32_e32 v104, vcc, s40, v2
	v_mad_u64_u32 v[14:15], s[0:1], s38, v27, v[14:15]
	v_addc_co_u32_e32 v101, vcc, v31, v3, vcc
	v_add3_u32 v15, v29, v15, v30
	v_add_co_u32_e32 v106, vcc, s42, v2
	v_addc_co_u32_e32 v103, vcc, v16, v3, vcc
	v_lshlrev_b64 v[2:3], 3, v[14:15]
	v_add_co_u32_e32 v108, vcc, s40, v2
	v_addc_co_u32_e32 v105, vcc, v31, v3, vcc
	v_add_co_u32_e32 v110, vcc, s42, v2
	v_and_b32_e32 v111, 0x3ff, v0
	v_mov_b32_e32 v4, 0
	v_addc_co_u32_e32 v107, vcc, v16, v3, vcc
	v_add_u32_e32 v2, s33, v111
	v_mov_b32_e32 v3, v4
	v_lshlrev_b64 v[112:113], 3, v[2:3]
	v_mbcnt_lo_u32_b32 v2, -1, 0
	s_mul_i32 s0, s39, s7
	s_mul_hi_u32 s1, s38, s7
	v_mbcnt_hi_u32_b32 v2, -1, v2
	v_mul_lo_u32 v20, s39, v18
	v_mul_lo_u32 v23, s39, v21
	;; [unrolled: 1-line block ×3, first 2 shown]
	s_add_i32 s1, s1, s0
	s_mul_i32 s0, s38, s7
	v_lshlrev_b32_e32 v2, 2, v2
	v_add3_u32 v61, v20, v61, v19
	v_add3_u32 v63, v23, v63, v22
	;; [unrolled: 1-line block ×6, first 2 shown]
	s_mov_b32 s8, 0
	s_lshl_b64 s[26:27], s[0:1], 3
	v_and_b32_e32 v118, 0x100, v2
	v_pk_mov_b32 v[114:115], 0, 0
.LBB136_53:                             ; =>This Inner Loop Header: Depth=1
	v_pk_mov_b32 v[2:3], s[36:37], s[36:37] op_sel:[0,1]
	v_cmp_ge_i64_e32 vcc, s[24:25], v[2:3]
	v_mov_b32_e32 v2, s25
	v_add_co_u32_e64 v119, s[0:1], s24, v50
	v_addc_co_u32_e64 v120, s[0:1], 0, v2, s[0:1]
	s_cbranch_vccz .LBB136_75
; %bb.54:                               ;   in Loop: Header=BB136_53 Depth=1
	s_load_dword s0, s[2:3], 0xc
	v_pk_mov_b32 v[116:117], 0, 0
	s_waitcnt lgkmcnt(0)
	s_and_b32 s0, s0, 0xffff
	v_mad_u32_u24 v2, v109, s0, v111
	v_and_b32_e32 v2, 63, v2
	v_cmp_gt_u32_e32 vcc, 8, v2
	s_and_saveexec_b64 s[0:1], vcc
	s_cbranch_execz .LBB136_58
; %bb.55:                               ;   in Loop: Header=BB136_53 Depth=1
	v_add_co_u32_e32 v2, vcc, v119, v2
	v_addc_co_u32_e32 v3, vcc, 0, v120, vcc
	v_add_co_u32_e32 v2, vcc, 0xffffff81, v2
	v_addc_co_u32_e32 v3, vcc, -1, v3, vcc
	v_cmp_gt_i64_e32 vcc, s[36:37], v[2:3]
	v_pk_mov_b32 v[116:117], 0, 0
	s_and_saveexec_b64 s[10:11], vcc
	s_cbranch_execz .LBB136_57
; %bb.56:                               ;   in Loop: Header=BB136_53 Depth=1
	v_lshlrev_b64 v[2:3], 3, v[2:3]
	v_mov_b32_e32 v5, s29
	v_add_co_u32_e32 v2, vcc, s28, v2
	v_addc_co_u32_e32 v3, vcc, v5, v3, vcc
	global_load_dwordx2 v[116:117], v[2:3], off
.LBB136_57:                             ;   in Loop: Header=BB136_53 Depth=1
	s_or_b64 exec, exec, s[10:11]
.LBB136_58:                             ;   in Loop: Header=BB136_53 Depth=1
	s_or_b64 exec, exec, s[0:1]
	s_mov_b32 s22, s8
	s_mov_b32 s23, s8
	v_add_co_u32_e32 v2, vcc, 0xffffff81, v119
	s_mov_b32 s9, s8
	s_mov_b32 s10, s8
	s_mov_b32 s11, s8
	s_mov_b32 s12, s8
	s_mov_b32 s13, s8
	s_mov_b32 s14, s8
	s_mov_b32 s15, s8
	s_mov_b32 s16, s8
	s_mov_b32 s17, s8
	s_mov_b32 s18, s8
	s_mov_b32 s19, s8
	s_mov_b32 s20, s8
	s_mov_b32 s21, s8
	v_pk_mov_b32 v[32:33], s[22:23], s[22:23] op_sel:[0,1]
	v_addc_co_u32_e32 v3, vcc, -1, v120, vcc
	v_pk_mov_b32 v[30:31], s[20:21], s[20:21] op_sel:[0,1]
	v_pk_mov_b32 v[28:29], s[18:19], s[18:19] op_sel:[0,1]
	;; [unrolled: 1-line block ×8, first 2 shown]
	v_cmp_gt_i64_e32 vcc, s[36:37], v[2:3]
	v_pk_mov_b32 v[46:47], v[30:31], v[30:31] op_sel:[0,1]
	v_pk_mov_b32 v[44:45], v[28:29], v[28:29] op_sel:[0,1]
	;; [unrolled: 1-line block ×7, first 2 shown]
	s_and_saveexec_b64 s[0:1], vcc
	s_cbranch_execz .LBB136_60
; %bb.59:                               ;   in Loop: Header=BB136_53 Depth=1
	v_add_co_u32_e32 v2, vcc, v66, v112
	v_addc_co_u32_e32 v3, vcc, v1, v113, vcc
	v_add_co_u32_e32 v6, vcc, v82, v112
	global_load_dwordx2 v[2:3], v[2:3], off
	v_addc_co_u32_e32 v7, vcc, v51, v113, vcc
	global_load_dwordx2 v[18:19], v[6:7], off
	v_mov_b32_e32 v16, v4
	v_mov_b32_e32 v17, v4
	;; [unrolled: 1-line block ×13, first 2 shown]
	s_waitcnt vmcnt(1)
	v_pk_mov_b32 v[48:49], v[16:17], v[16:17] op_sel:[0,1]
	v_mov_b32_e32 v20, v4
	v_mov_b32_e32 v21, v4
	;; [unrolled: 1-line block ×14, first 2 shown]
	v_pk_mov_b32 v[46:47], v[14:15], v[14:15] op_sel:[0,1]
	v_pk_mov_b32 v[44:45], v[12:13], v[12:13] op_sel:[0,1]
	;; [unrolled: 1-line block ×7, first 2 shown]
.LBB136_60:                             ;   in Loop: Header=BB136_53 Depth=1
	s_or_b64 exec, exec, s[0:1]
	v_add_co_u32_e32 v2, vcc, 0xffffff82, v119
	v_addc_co_u32_e32 v3, vcc, -1, v120, vcc
	v_cmp_gt_i64_e32 vcc, s[36:37], v[2:3]
	s_and_saveexec_b64 s[0:1], vcc
	s_cbranch_execz .LBB136_62
; %bb.61:                               ;   in Loop: Header=BB136_53 Depth=1
	v_add_co_u32_e32 v2, vcc, v108, v112
	v_addc_co_u32_e32 v3, vcc, v105, v113, vcc
	global_load_dwordx2 v[36:37], v[2:3], off
	v_add_co_u32_e32 v2, vcc, v110, v112
	v_addc_co_u32_e32 v3, vcc, v107, v113, vcc
	global_load_dwordx2 v[20:21], v[2:3], off
.LBB136_62:                             ;   in Loop: Header=BB136_53 Depth=1
	s_or_b64 exec, exec, s[0:1]
	v_add_co_u32_e32 v2, vcc, 0xffffff83, v119
	v_addc_co_u32_e32 v3, vcc, -1, v120, vcc
	v_cmp_gt_i64_e32 vcc, s[36:37], v[2:3]
	s_and_saveexec_b64 s[0:1], vcc
	s_cbranch_execz .LBB136_64
; %bb.63:                               ;   in Loop: Header=BB136_53 Depth=1
	v_add_co_u32_e32 v2, vcc, v104, v112
	v_addc_co_u32_e32 v3, vcc, v101, v113, vcc
	global_load_dwordx2 v[38:39], v[2:3], off
	v_add_co_u32_e32 v2, vcc, v106, v112
	v_addc_co_u32_e32 v3, vcc, v103, v113, vcc
	global_load_dwordx2 v[22:23], v[2:3], off
.LBB136_64:                             ;   in Loop: Header=BB136_53 Depth=1
	;; [unrolled: 14-line block ×7, first 2 shown]
	s_or_b64 exec, exec, s[0:1]
	s_waitcnt vmcnt(0)
	ds_bpermute_b32 v2, v118, v116
	ds_bpermute_b32 v3, v118, v117
	ds_bpermute_b32 v6, v118, v116 offset:4
	ds_bpermute_b32 v7, v118, v117 offset:4
	v_mul_f64 v[8:9], v[18:19], v[34:35]
	ds_bpermute_b32 v10, v118, v116 offset:12
	s_waitcnt lgkmcnt(3)
	v_fma_f64 v[2:3], v[8:9], v[2:3], v[114:115]
	v_mul_f64 v[8:9], v[20:21], v[36:37]
	s_waitcnt lgkmcnt(1)
	v_fmac_f64_e32 v[2:3], v[8:9], v[6:7]
	ds_bpermute_b32 v6, v118, v116 offset:8
	ds_bpermute_b32 v7, v118, v117 offset:8
	;; [unrolled: 1-line block ×5, first 2 shown]
	v_mul_f64 v[8:9], v[22:23], v[38:39]
	s_waitcnt lgkmcnt(3)
	v_fmac_f64_e32 v[2:3], v[8:9], v[6:7]
	v_mul_f64 v[6:7], v[24:25], v[40:41]
	s_waitcnt lgkmcnt(2)
	v_fmac_f64_e32 v[2:3], v[6:7], v[10:11]
	;; [unrolled: 3-line block ×3, first 2 shown]
	ds_bpermute_b32 v6, v118, v116 offset:20
	ds_bpermute_b32 v7, v118, v117 offset:20
	;; [unrolled: 1-line block ×6, first 2 shown]
	v_mul_f64 v[8:9], v[28:29], v[44:45]
	s_waitcnt lgkmcnt(4)
	v_fmac_f64_e32 v[2:3], v[8:9], v[6:7]
	v_mul_f64 v[6:7], v[30:31], v[46:47]
	s_waitcnt lgkmcnt(2)
	v_fmac_f64_e32 v[2:3], v[6:7], v[10:11]
	v_mul_f64 v[6:7], v[32:33], v[48:49]
	s_waitcnt lgkmcnt(0)
	v_fmac_f64_e32 v[2:3], v[6:7], v[12:13]
	s_branch .LBB136_81
.LBB136_75:                             ;   in Loop: Header=BB136_53 Depth=1
                                        ; implicit-def: $vgpr2_vgpr3
	s_cbranch_execz .LBB136_81
; %bb.76:                               ;   in Loop: Header=BB136_53 Depth=1
	s_load_dword s0, s[2:3], 0x0
	s_waitcnt lgkmcnt(0)
	s_cmp_lt_u32 s6, s0
	s_cselect_b32 s0, 12, 18
	s_add_u32 s0, s2, s0
	s_addc_u32 s1, s3, 0
	global_load_ushort v2, v4, s[0:1]
	s_waitcnt vmcnt(0)
	v_mad_u32_u24 v2, v109, v2, v111
	v_and_b32_e32 v5, 63, v2
	v_cmp_gt_u32_e32 vcc, 8, v5
	v_pk_mov_b32 v[2:3], 0, 0
	s_and_saveexec_b64 s[0:1], vcc
	s_cbranch_execz .LBB136_80
; %bb.77:                               ;   in Loop: Header=BB136_53 Depth=1
	v_add_co_u32_e32 v2, vcc, v119, v5
	v_addc_co_u32_e32 v3, vcc, 0, v120, vcc
	v_add_co_u32_e32 v6, vcc, 0xffffff81, v2
	v_addc_co_u32_e32 v7, vcc, -1, v3, vcc
	v_cmp_gt_i64_e32 vcc, s[36:37], v[6:7]
	v_pk_mov_b32 v[2:3], 0, 0
	s_and_saveexec_b64 s[10:11], vcc
	s_cbranch_execz .LBB136_79
; %bb.78:                               ;   in Loop: Header=BB136_53 Depth=1
	v_lshlrev_b64 v[2:3], 3, v[6:7]
	v_mov_b32_e32 v5, s29
	v_add_co_u32_e32 v2, vcc, s28, v2
	v_addc_co_u32_e32 v3, vcc, v5, v3, vcc
	global_load_dwordx2 v[2:3], v[2:3], off
.LBB136_79:                             ;   in Loop: Header=BB136_53 Depth=1
	s_or_b64 exec, exec, s[10:11]
.LBB136_80:                             ;   in Loop: Header=BB136_53 Depth=1
	s_or_b64 exec, exec, s[0:1]
	v_add_co_u32_e32 v6, vcc, v66, v112
	v_addc_co_u32_e32 v7, vcc, v1, v113, vcc
	v_add_co_u32_e32 v8, vcc, v82, v112
	v_addc_co_u32_e32 v9, vcc, v51, v113, vcc
	;; [unrolled: 2-line block ×8, first 2 shown]
	v_add_co_u32_e32 v22, vcc, v58, v112
	global_load_dwordx2 v[6:7], v[6:7], off
	v_addc_co_u32_e32 v23, vcc, v59, v113, vcc
	global_load_dwordx2 v[8:9], v[8:9], off
	v_add_co_u32_e32 v24, vcc, v74, v112
	global_load_dwordx2 v[10:11], v[10:11], off
	v_addc_co_u32_e32 v25, vcc, v75, v113, vcc
	global_load_dwordx2 v[12:13], v[12:13], off
	v_add_co_u32_e32 v26, vcc, v60, v112
	v_addc_co_u32_e32 v27, vcc, v61, v113, vcc
	v_add_co_u32_e32 v28, vcc, v76, v112
	global_load_dwordx2 v[14:15], v[14:15], off
	v_addc_co_u32_e32 v29, vcc, v77, v113, vcc
	global_load_dwordx2 v[16:17], v[16:17], off
	v_add_co_u32_e32 v30, vcc, v62, v112
	global_load_dwordx2 v[18:19], v[18:19], off
	v_addc_co_u32_e32 v31, vcc, v63, v113, vcc
	global_load_dwordx2 v[20:21], v[20:21], off
	;; [unrolled: 4-line block ×3, first 2 shown]
	v_add_co_u32_e32 v34, vcc, v64, v112
	v_addc_co_u32_e32 v35, vcc, v65, v113, vcc
	global_load_dwordx2 v[26:27], v[26:27], off
	v_add_co_u32_e32 v36, vcc, v80, v112
	global_load_dwordx2 v[28:29], v[28:29], off
	v_addc_co_u32_e32 v37, vcc, v81, v113, vcc
	global_load_dwordx2 v[30:31], v[30:31], off
	s_waitcnt vmcnt(13)
	ds_bpermute_b32 v38, v118, v2
	global_load_dwordx2 v[32:33], v[32:33], off
	ds_bpermute_b32 v39, v118, v3
	global_load_dwordx2 v[34:35], v[34:35], off
	ds_bpermute_b32 v40, v118, v2 offset:4
	global_load_dwordx2 v[36:37], v[36:37], off
	ds_bpermute_b32 v41, v118, v3 offset:4
	s_waitcnt vmcnt(14)
	v_mul_f64 v[6:7], v[6:7], v[8:9]
	s_waitcnt lgkmcnt(2)
	v_fmac_f64_e32 v[114:115], v[6:7], v[38:39]
	s_waitcnt vmcnt(12)
	v_mul_f64 v[6:7], v[10:11], v[12:13]
	s_waitcnt lgkmcnt(0)
	v_fmac_f64_e32 v[114:115], v[6:7], v[40:41]
	ds_bpermute_b32 v6, v118, v2 offset:8
	ds_bpermute_b32 v7, v118, v3 offset:8
	;; [unrolled: 1-line block ×6, first 2 shown]
	s_waitcnt vmcnt(10)
	v_mul_f64 v[8:9], v[14:15], v[16:17]
	s_waitcnt lgkmcnt(4)
	v_fmac_f64_e32 v[114:115], v[8:9], v[6:7]
	s_waitcnt vmcnt(8)
	v_mul_f64 v[6:7], v[18:19], v[20:21]
	s_waitcnt lgkmcnt(2)
	v_fmac_f64_e32 v[114:115], v[6:7], v[10:11]
	ds_bpermute_b32 v10, v118, v2 offset:24
	ds_bpermute_b32 v11, v118, v3 offset:24
	s_waitcnt vmcnt(6)
	v_mul_f64 v[6:7], v[22:23], v[24:25]
	s_waitcnt lgkmcnt(2)
	v_fmac_f64_e32 v[114:115], v[6:7], v[12:13]
	ds_bpermute_b32 v6, v118, v2 offset:20
	ds_bpermute_b32 v7, v118, v3 offset:20
	;; [unrolled: 1-line block ×4, first 2 shown]
	s_waitcnt vmcnt(4)
	v_mul_f64 v[8:9], v[26:27], v[28:29]
	s_waitcnt lgkmcnt(2)
	v_fmac_f64_e32 v[114:115], v[8:9], v[6:7]
	s_waitcnt vmcnt(2)
	v_mul_f64 v[6:7], v[30:31], v[32:33]
	v_fmac_f64_e32 v[114:115], v[6:7], v[10:11]
	s_waitcnt vmcnt(0)
	v_mul_f64 v[6:7], v[34:35], v[36:37]
	s_waitcnt lgkmcnt(0)
	v_fmac_f64_e32 v[114:115], v[6:7], v[2:3]
	v_pk_mov_b32 v[2:3], v[114:115], v[114:115] op_sel:[0,1]
.LBB136_81:                             ;   in Loop: Header=BB136_53 Depth=1
	v_mov_b32_e32 v5, s27
	v_add_co_u32_e32 v52, vcc, s26, v52
	v_addc_co_u32_e32 v53, vcc, v53, v5, vcc
	v_add_co_u32_e32 v54, vcc, s26, v54
	v_addc_co_u32_e32 v55, vcc, v55, v5, vcc
	;; [unrolled: 2-line block ×29, first 2 shown]
	s_add_u32 s30, s30, s7
	v_add_co_u32_e32 v110, vcc, s26, v110
	s_addc_u32 s31, s31, 0
	v_addc_co_u32_e32 v107, vcc, v107, v5, vcc
	v_pk_mov_b32 v[6:7], s[36:37], s[36:37] op_sel:[0,1]
	s_add_u32 s24, s24, s7
	v_cmp_ge_i64_e32 vcc, s[30:31], v[6:7]
	s_addc_u32 s25, s25, 0
	s_cbranch_vccnz .LBB136_83
; %bb.82:                               ;   in Loop: Header=BB136_53 Depth=1
	v_pk_mov_b32 v[114:115], v[2:3], v[2:3] op_sel:[0,1]
	s_branch .LBB136_53
.LBB136_83:
	v_and_b32_e32 v1, 0x3ff, v0
	v_bfe_u32 v0, v0, 10, 10
	v_mad_u32_u24 v4, v0, 33, v1
	v_lshl_add_u32 v5, v4, 3, 0
	ds_write_b64 v5, v[2:3]
	v_mov_b32_e32 v2, 0
	v_mov_b32_e32 v3, v2
	ds_write_b64 v5, v[2:3] offset:4224
	v_sub_u32_e32 v3, v4, v0
	s_movk_i32 s0, 0x800
	s_mov_b32 s7, 0
	v_cmp_gt_u32_e32 vcc, s0, v3
	s_waitcnt lgkmcnt(0)
	s_barrier
	s_and_saveexec_b64 s[0:1], vcc
	s_cbranch_execz .LBB136_90
; %bb.84:
	v_mbcnt_lo_u32_b32 v4, -1, 0
	v_mbcnt_hi_u32_b32 v4, -1, v4
	v_lshrrev_b32_e32 v0, 6, v3
	v_and_b32_e32 v3, 63, v3
	v_and_b32_e32 v5, 64, v4
	v_cmp_gt_u32_e32 vcc, 16, v3
	v_add_u32_e32 v5, 64, v5
	v_cmp_ne_u32_e64 s[0:1], 0, v1
	v_mul_u32_u24_e32 v1, 0x108, v3
	v_xor_b32_e32 v3, 8, v4
	v_cmp_lt_i32_e64 s[2:3], v3, v5
	v_cndmask_b32_e64 v3, v4, v3, s[2:3]
	v_lshlrev_b32_e32 v6, 2, v3
	v_xor_b32_e32 v3, 4, v4
	v_cmp_lt_i32_e64 s[2:3], v3, v5
	s_load_dwordx2 s[12:13], s[4:5], 0x30
	v_cndmask_b32_e64 v3, v4, v3, s[2:3]
	v_lshlrev_b32_e32 v7, 2, v3
	v_xor_b32_e32 v3, 2, v4
	v_cmp_lt_i32_e64 s[2:3], v3, v5
	v_cndmask_b32_e64 v3, v4, v3, s[2:3]
	s_lshl_b64 s[4:5], s[6:7], 5
	v_lshlrev_b32_e32 v8, 2, v3
	v_xor_b32_e32 v3, 1, v4
	s_waitcnt lgkmcnt(0)
	s_cmp_eq_u64 s[12:13], 0
	v_cmp_lt_i32_e64 s[2:3], v3, v5
	s_cselect_b64 s[10:11], -1, 0
	v_cndmask_b32_e64 v3, v4, v3, s[2:3]
	s_lshl_b64 s[2:3], s[6:7], 8
	s_add_u32 s2, s12, s2
	v_lshlrev_b32_e32 v9, 2, v3
	v_lshlrev_b32_e32 v3, 3, v0
	s_addc_u32 s3, s13, s3
	v_add3_u32 v10, v1, v3, 0
	v_mov_b32_e32 v1, v2
	v_mov_b32_e32 v4, s3
	v_add_co_u32_e64 v2, s[2:3], s2, v3
	s_mov_b64 s[8:9], 0
	v_addc_co_u32_e64 v3, s[2:3], 0, v4, s[2:3]
	v_mov_b32_e32 v11, s5
                                        ; implicit-def: $vgpr4_vgpr5
	s_branch .LBB136_86
.LBB136_85:                             ;   in Loop: Header=BB136_86 Depth=1
	s_or_b64 exec, exec, s[2:3]
	v_add_co_u32_e64 v0, s[2:3], 8, v0
	v_addc_co_u32_e64 v1, s[2:3], 0, v1, s[2:3]
	v_add_u32_e32 v12, -8, v0
	v_cmp_lt_u32_e64 s[2:3], 23, v12
	s_or_b64 s[8:9], s[2:3], s[8:9]
	v_add_co_u32_e64 v2, s[2:3], 64, v2
	v_add_u32_e32 v10, 64, v10
	v_addc_co_u32_e64 v3, s[2:3], 0, v3, s[2:3]
	s_andn2_b64 exec, exec, s[8:9]
	s_cbranch_execz .LBB136_90
.LBB136_86:                             ; =>This Inner Loop Header: Depth=1
	s_and_saveexec_b64 s[2:3], vcc
	s_cbranch_execz .LBB136_88
; %bb.87:                               ;   in Loop: Header=BB136_86 Depth=1
	ds_read_b64 v[4:5], v10
.LBB136_88:                             ;   in Loop: Header=BB136_86 Depth=1
	s_or_b64 exec, exec, s[2:3]
	s_waitcnt lgkmcnt(0)
	ds_bpermute_b32 v12, v6, v4
	ds_bpermute_b32 v13, v6, v5
	v_add_co_u32_e64 v14, s[2:3], s4, v0
	v_addc_co_u32_e64 v15, s[2:3], v11, v1, s[2:3]
	s_waitcnt lgkmcnt(0)
	v_add_f64 v[4:5], v[4:5], v[12:13]
	ds_bpermute_b32 v12, v7, v4
	ds_bpermute_b32 v13, v7, v5
	v_cmp_le_i64_e64 s[2:3], s[38:39], v[14:15]
	s_or_b64 s[2:3], s[0:1], s[2:3]
	s_or_b64 s[2:3], s[10:11], s[2:3]
	s_xor_b64 s[6:7], s[2:3], -1
	s_waitcnt lgkmcnt(0)
	v_add_f64 v[4:5], v[4:5], v[12:13]
	ds_bpermute_b32 v12, v8, v4
	ds_bpermute_b32 v13, v8, v5
	s_waitcnt lgkmcnt(0)
	v_add_f64 v[4:5], v[4:5], v[12:13]
	ds_bpermute_b32 v12, v9, v4
	ds_bpermute_b32 v13, v9, v5
	s_waitcnt lgkmcnt(0)
	v_add_f64 v[4:5], v[4:5], v[12:13]
	s_and_saveexec_b64 s[2:3], s[6:7]
	s_cbranch_execz .LBB136_85
; %bb.89:                               ;   in Loop: Header=BB136_86 Depth=1
	global_store_dwordx2 v[2:3], v[4:5], off
	s_branch .LBB136_85
.LBB136_90:
	s_endpgm
	.section	.rodata,"a",@progbits
	.p2align	6, 0x0
	.amdhsa_kernel _ZN2at6native12_GLOBAL__N_135GammaBetaBackwardCUDAKernelTemplateIddLj32ELj16ELj128ELb0ELb0ELb1EEEvllPKT_S5_PKT0_S8_PS3_S9_
		.amdhsa_group_segment_fixed_size 0
		.amdhsa_private_segment_fixed_size 0
		.amdhsa_kernarg_size 320
		.amdhsa_user_sgpr_count 6
		.amdhsa_user_sgpr_private_segment_buffer 1
		.amdhsa_user_sgpr_dispatch_ptr 0
		.amdhsa_user_sgpr_queue_ptr 0
		.amdhsa_user_sgpr_kernarg_segment_ptr 1
		.amdhsa_user_sgpr_dispatch_id 0
		.amdhsa_user_sgpr_flat_scratch_init 0
		.amdhsa_user_sgpr_kernarg_preload_length 0
		.amdhsa_user_sgpr_kernarg_preload_offset 0
		.amdhsa_user_sgpr_private_segment_size 0
		.amdhsa_uses_dynamic_stack 0
		.amdhsa_system_sgpr_private_segment_wavefront_offset 0
		.amdhsa_system_sgpr_workgroup_id_x 1
		.amdhsa_system_sgpr_workgroup_id_y 1
		.amdhsa_system_sgpr_workgroup_id_z 0
		.amdhsa_system_sgpr_workgroup_info 0
		.amdhsa_system_vgpr_workitem_id 1
		.amdhsa_next_free_vgpr 121
		.amdhsa_next_free_sgpr 50
		.amdhsa_accum_offset 124
		.amdhsa_reserve_vcc 1
		.amdhsa_reserve_flat_scratch 0
		.amdhsa_float_round_mode_32 0
		.amdhsa_float_round_mode_16_64 0
		.amdhsa_float_denorm_mode_32 3
		.amdhsa_float_denorm_mode_16_64 3
		.amdhsa_dx10_clamp 1
		.amdhsa_ieee_mode 1
		.amdhsa_fp16_overflow 0
		.amdhsa_tg_split 0
		.amdhsa_exception_fp_ieee_invalid_op 0
		.amdhsa_exception_fp_denorm_src 0
		.amdhsa_exception_fp_ieee_div_zero 0
		.amdhsa_exception_fp_ieee_overflow 0
		.amdhsa_exception_fp_ieee_underflow 0
		.amdhsa_exception_fp_ieee_inexact 0
		.amdhsa_exception_int_div_zero 0
	.end_amdhsa_kernel
	.section	.text._ZN2at6native12_GLOBAL__N_135GammaBetaBackwardCUDAKernelTemplateIddLj32ELj16ELj128ELb0ELb0ELb1EEEvllPKT_S5_PKT0_S8_PS3_S9_,"axG",@progbits,_ZN2at6native12_GLOBAL__N_135GammaBetaBackwardCUDAKernelTemplateIddLj32ELj16ELj128ELb0ELb0ELb1EEEvllPKT_S5_PKT0_S8_PS3_S9_,comdat
.Lfunc_end136:
	.size	_ZN2at6native12_GLOBAL__N_135GammaBetaBackwardCUDAKernelTemplateIddLj32ELj16ELj128ELb0ELb0ELb1EEEvllPKT_S5_PKT0_S8_PS3_S9_, .Lfunc_end136-_ZN2at6native12_GLOBAL__N_135GammaBetaBackwardCUDAKernelTemplateIddLj32ELj16ELj128ELb0ELb0ELb1EEEvllPKT_S5_PKT0_S8_PS3_S9_
                                        ; -- End function
	.section	.AMDGPU.csdata,"",@progbits
; Kernel info:
; codeLenInByte = 7392
; NumSgprs: 54
; NumVgprs: 121
; NumAgprs: 0
; TotalNumVgprs: 121
; ScratchSize: 0
; MemoryBound: 1
; FloatMode: 240
; IeeeMode: 1
; LDSByteSize: 0 bytes/workgroup (compile time only)
; SGPRBlocks: 6
; VGPRBlocks: 15
; NumSGPRsForWavesPerEU: 54
; NumVGPRsForWavesPerEU: 121
; AccumOffset: 124
; Occupancy: 4
; WaveLimiterHint : 0
; COMPUTE_PGM_RSRC2:SCRATCH_EN: 0
; COMPUTE_PGM_RSRC2:USER_SGPR: 6
; COMPUTE_PGM_RSRC2:TRAP_HANDLER: 0
; COMPUTE_PGM_RSRC2:TGID_X_EN: 1
; COMPUTE_PGM_RSRC2:TGID_Y_EN: 1
; COMPUTE_PGM_RSRC2:TGID_Z_EN: 0
; COMPUTE_PGM_RSRC2:TIDIG_COMP_CNT: 1
; COMPUTE_PGM_RSRC3_GFX90A:ACCUM_OFFSET: 30
; COMPUTE_PGM_RSRC3_GFX90A:TG_SPLIT: 0
	.section	.text._ZN2at6native12_GLOBAL__N_135GammaBetaBackwardCUDAKernelTemplateIddLj32ELj32ELj256ELb0ELb1ELb1EEEvllPKT_S5_PKT0_S8_PS3_S9_,"axG",@progbits,_ZN2at6native12_GLOBAL__N_135GammaBetaBackwardCUDAKernelTemplateIddLj32ELj32ELj256ELb0ELb1ELb1EEEvllPKT_S5_PKT0_S8_PS3_S9_,comdat
	.globl	_ZN2at6native12_GLOBAL__N_135GammaBetaBackwardCUDAKernelTemplateIddLj32ELj32ELj256ELb0ELb1ELb1EEEvllPKT_S5_PKT0_S8_PS3_S9_ ; -- Begin function _ZN2at6native12_GLOBAL__N_135GammaBetaBackwardCUDAKernelTemplateIddLj32ELj32ELj256ELb0ELb1ELb1EEEvllPKT_S5_PKT0_S8_PS3_S9_
	.p2align	8
	.type	_ZN2at6native12_GLOBAL__N_135GammaBetaBackwardCUDAKernelTemplateIddLj32ELj32ELj256ELb0ELb1ELb1EEEvllPKT_S5_PKT0_S8_PS3_S9_,@function
_ZN2at6native12_GLOBAL__N_135GammaBetaBackwardCUDAKernelTemplateIddLj32ELj32ELj256ELb0ELb1ELb1EEEvllPKT_S5_PKT0_S8_PS3_S9_: ; @_ZN2at6native12_GLOBAL__N_135GammaBetaBackwardCUDAKernelTemplateIddLj32ELj32ELj256ELb0ELb1ELb1EEEvllPKT_S5_PKT0_S8_PS3_S9_
; %bb.0:
	s_load_dwordx4 s[8:11], s[4:5], 0x0
	s_lshl_b32 s16, s7, 8
	s_mov_b32 s17, 0
	v_bfe_u32 v44, v0, 10, 10
	s_waitcnt lgkmcnt(0)
	v_pk_mov_b32 v[2:3], s[8:9], s[8:9] op_sel:[0,1]
	v_cmp_lt_i64_e32 vcc, s[16:17], v[2:3]
	s_cbranch_vccnz .LBB137_2
; %bb.1:
	s_mov_b64 s[0:1], 0
	s_mov_b64 s[12:13], 0
	v_bfe_u32 v1, v0, 10, 10
	s_branch .LBB137_3
.LBB137_2:
	s_mov_b64 s[0:1], -1
                                        ; implicit-def: $sgpr12_sgpr13
                                        ; implicit-def: $vgpr1
.LBB137_3:
	s_load_dwordx2 s[2:3], s[4:5], 0x30
	v_and_b32_e32 v42, 0x3ff, v0
	s_andn2_b64 vcc, exec, s[0:1]
	v_pk_mov_b32 v[6:7], s[12:13], s[12:13] op_sel:[0,1]
	v_mbcnt_lo_u32_b32 v43, -1, 0
	s_cbranch_vccnz .LBB137_11
; %bb.4:
	s_load_dword s0, s[4:5], 0x4c
	s_load_dword s7, s[4:5], 0x44
	s_load_dwordx4 s[12:15], s[4:5], 0x10
	s_load_dwordx2 s[18:19], s[4:5], 0x28
	v_mbcnt_hi_u32_b32 v2, -1, v43
	v_lshlrev_b32_e32 v0, 3, v44
	s_waitcnt lgkmcnt(0)
	s_and_b32 s0, s0, 0xffff
	v_lshlrev_b32_e32 v2, 2, v2
	v_mad_u32_u24 v1, v44, s0, v42
	v_and_b32_e32 v45, 0x100, v2
	v_mov_b32_e32 v2, s17
	v_add_co_u32_e32 v6, vcc, s16, v0
	v_and_b32_e32 v1, 63, v1
	v_addc_co_u32_e32 v7, vcc, 0, v2, vcc
	v_add_co_u32_e32 v0, vcc, v6, v1
	v_cmp_gt_u32_e64 s[0:1], 8, v1
	v_addc_co_u32_e32 v1, vcc, 0, v7, vcc
	v_lshlrev_b64 v[2:3], 3, v[0:1]
	v_mov_b32_e32 v8, s19
	v_add_co_u32_e32 v2, vcc, s18, v2
	s_lshl_b32 s4, s7, 8
	v_addc_co_u32_e32 v3, vcc, v8, v3, vcc
	v_mul_lo_u32 v8, s11, v6
	v_mul_lo_u32 v9, s10, v7
	v_mad_u64_u32 v[6:7], s[20:21], s10, v6, 0
	v_mov_b32_e32 v5, 0
	v_lshl_add_u32 v4, s6, 5, v42
	v_add3_u32 v7, v7, v9, v8
	s_mul_i32 s7, s11, s4
	s_mul_hi_u32 s20, s10, s4
	s_mov_b32 s5, 0
	v_lshlrev_b64 v[6:7], 3, v[6:7]
	v_lshlrev_b64 v[4:5], 3, v[4:5]
	s_add_i32 s21, s20, s7
	s_mul_i32 s20, s10, s4
	s_lshl_b64 s[18:19], s[4:5], 3
	v_add_co_u32_e32 v4, vcc, v6, v4
	s_lshl_b64 s[20:21], s[20:21], 3
	s_lshl_b64 s[10:11], s[10:11], 3
	v_pk_mov_b32 v[8:9], 0, 0
	v_or_b32_e32 v46, 4, v45
	v_or_b32_e32 v47, 8, v45
	;; [unrolled: 1-line block ×7, first 2 shown]
	v_addc_co_u32_e32 v5, vcc, v7, v5, vcc
	v_mov_b32_e32 v53, s13
	v_mov_b32_e32 v54, s15
	;; [unrolled: 1-line block ×6, first 2 shown]
	v_pk_mov_b32 v[10:11], s[8:9], s[8:9] op_sel:[0,1]
	v_pk_mov_b32 v[6:7], v[8:9], v[8:9] op_sel:[0,1]
	s_branch .LBB137_7
.LBB137_5:                              ;   in Loop: Header=BB137_7 Depth=1
	s_or_b64 exec, exec, s[24:25]
.LBB137_6:                              ;   in Loop: Header=BB137_7 Depth=1
	s_or_b64 exec, exec, s[22:23]
	v_add_co_u32_e32 v14, vcc, s12, v4
	v_addc_co_u32_e32 v15, vcc, v53, v5, vcc
	v_add_co_u32_e32 v16, vcc, s14, v4
	v_addc_co_u32_e32 v17, vcc, v54, v5, vcc
	global_load_dwordx2 v[60:61], v[14:15], off
	v_add_co_u32_e32 v14, vcc, s10, v14
	v_addc_co_u32_e32 v15, vcc, v15, v55, vcc
	global_load_dwordx2 v[62:63], v[16:17], off
	;; [unrolled: 3-line block ×10, first 2 shown]
	v_add_co_u32_e32 v16, vcc, s10, v16
	v_addc_co_u32_e32 v17, vcc, v17, v55, vcc
	v_add_co_u32_e32 v18, vcc, s10, v14
	v_addc_co_u32_e32 v19, vcc, v15, v55, vcc
	global_load_dwordx2 v[30:31], v[16:17], off
	v_add_co_u32_e32 v16, vcc, s10, v16
	v_addc_co_u32_e32 v17, vcc, v17, v55, vcc
	global_load_dwordx2 v[22:23], v[14:15], off
	s_add_u32 s16, s16, s4
	global_load_dwordx2 v[14:15], v[18:19], off
	v_add_co_u32_e32 v18, vcc, s10, v18
	v_addc_co_u32_e32 v19, vcc, v19, v55, vcc
	v_add_co_u32_e32 v64, vcc, s10, v16
	v_addc_co_u32_e32 v65, vcc, v17, v55, vcc
	global_load_dwordx2 v[24:25], v[16:17], off
	s_nop 0
	global_load_dwordx2 v[16:17], v[18:19], off
	s_nop 0
	global_load_dwordx2 v[18:19], v[64:65], off
	v_add_co_u32_e32 v2, vcc, s18, v2
	v_addc_co_u32_e32 v3, vcc, v3, v56, vcc
	v_add_co_u32_e32 v0, vcc, s4, v0
	v_addc_co_u32_e32 v1, vcc, v1, v57, vcc
	v_add_co_u32_e32 v4, vcc, s20, v4
	s_addc_u32 s17, s17, 0
	v_addc_co_u32_e32 v5, vcc, v5, v58, vcc
	v_cmp_lt_i64_e32 vcc, s[16:17], v[10:11]
	s_waitcnt vmcnt(14)
	v_mul_f64 v[60:61], v[60:61], v[62:63]
	ds_bpermute_b32 v62, v45, v12
	ds_bpermute_b32 v63, v45, v13
	s_and_b64 vcc, exec, vcc
	s_waitcnt lgkmcnt(0)
	v_fmac_f64_e32 v[6:7], v[60:61], v[62:63]
	ds_bpermute_b32 v60, v46, v12
	ds_bpermute_b32 v61, v46, v13
	s_waitcnt vmcnt(12)
	v_mul_f64 v[38:39], v[38:39], v[40:41]
	ds_bpermute_b32 v40, v49, v12
	ds_bpermute_b32 v41, v49, v13
	s_waitcnt lgkmcnt(2)
	v_fmac_f64_e32 v[6:7], v[38:39], v[60:61]
	ds_bpermute_b32 v38, v47, v12
	ds_bpermute_b32 v39, v47, v13
	s_waitcnt vmcnt(10)
	v_mul_f64 v[34:35], v[34:35], v[36:37]
	ds_bpermute_b32 v36, v48, v12
	ds_bpermute_b32 v37, v48, v13
	s_waitcnt lgkmcnt(2)
	v_fmac_f64_e32 v[6:7], v[34:35], v[38:39]
	s_waitcnt vmcnt(8)
	v_mul_f64 v[20:21], v[20:21], v[28:29]
	s_waitcnt lgkmcnt(0)
	v_fmac_f64_e32 v[6:7], v[20:21], v[36:37]
	s_waitcnt vmcnt(6)
	v_mul_f64 v[20:21], v[26:27], v[32:33]
	v_fmac_f64_e32 v[6:7], v[20:21], v[40:41]
	ds_bpermute_b32 v20, v50, v12
	ds_bpermute_b32 v21, v50, v13
	;; [unrolled: 1-line block ×6, first 2 shown]
	s_waitcnt vmcnt(4)
	v_mul_f64 v[22:23], v[22:23], v[30:31]
	s_waitcnt lgkmcnt(4)
	v_fmac_f64_e32 v[6:7], v[22:23], v[20:21]
	s_waitcnt vmcnt(2)
	v_mul_f64 v[14:15], v[14:15], v[24:25]
	s_waitcnt lgkmcnt(2)
	v_fmac_f64_e32 v[6:7], v[14:15], v[26:27]
	s_waitcnt vmcnt(0)
	v_mul_f64 v[14:15], v[16:17], v[18:19]
	s_waitcnt lgkmcnt(0)
	v_fmac_f64_e32 v[6:7], v[14:15], v[12:13]
	s_cbranch_vccz .LBB137_10
.LBB137_7:                              ; =>This Inner Loop Header: Depth=1
	v_pk_mov_b32 v[12:13], v[8:9], v[8:9] op_sel:[0,1]
	s_and_saveexec_b64 s[22:23], s[0:1]
	s_cbranch_execz .LBB137_6
; %bb.8:                                ;   in Loop: Header=BB137_7 Depth=1
	v_cmp_gt_i64_e32 vcc, s[8:9], v[0:1]
	v_pk_mov_b32 v[12:13], 0, 0
	s_and_saveexec_b64 s[24:25], vcc
	s_cbranch_execz .LBB137_5
; %bb.9:                                ;   in Loop: Header=BB137_7 Depth=1
	global_load_dwordx2 v[12:13], v[2:3], off
	s_branch .LBB137_5
.LBB137_10:
	v_mov_b32_e32 v1, v44
.LBB137_11:
	v_mad_u32_u24 v0, v1, 33, v42
	v_lshl_add_u32 v4, v0, 3, 0
	v_mov_b32_e32 v2, 0
	v_sub_u32_e32 v0, v0, v1
	s_movk_i32 s0, 0x800
	s_mov_b32 s7, 0
	v_mov_b32_e32 v3, v2
	v_cmp_gt_u32_e32 vcc, s0, v0
	ds_write_b64 v4, v[6:7]
	ds_write_b64 v4, v[2:3] offset:8448
	s_waitcnt lgkmcnt(0)
	s_barrier
	s_and_saveexec_b64 s[0:1], vcc
	s_cbranch_execz .LBB137_18
; %bb.12:
	v_mbcnt_hi_u32_b32 v2, -1, v43
	v_and_b32_e32 v3, 64, v2
	s_cmp_lg_u64 s[2:3], 0
	v_add_u32_e32 v3, 64, v3
	v_cmp_eq_u32_e32 vcc, 0, v42
	s_cselect_b64 s[8:9], -1, 0
	v_xor_b32_e32 v4, 16, v2
	s_and_b64 s[8:9], vcc, s[8:9]
	v_cmp_lt_i32_e32 vcc, v4, v3
	v_xor_b32_e32 v5, 8, v2
	v_cndmask_b32_e32 v4, v2, v4, vcc
	v_cmp_lt_i32_e32 vcc, v5, v3
	v_xor_b32_e32 v6, 4, v2
	v_cndmask_b32_e32 v5, v2, v5, vcc
	;; [unrolled: 3-line block ×4, first 2 shown]
	v_cmp_lt_i32_e32 vcc, v8, v3
	s_lshl_b64 s[6:7], s[6:7], 8
	v_lshrrev_b32_e32 v1, 6, v0
	v_and_b32_e32 v0, 63, v0
	v_cndmask_b32_e32 v2, v2, v8, vcc
	s_add_u32 s2, s2, s6
	v_cmp_gt_u32_e64 s[0:1], 32, v0
	v_mul_u32_u24_e32 v0, 0x108, v0
	v_lshlrev_b32_e32 v8, 2, v2
	v_lshlrev_b32_e32 v2, 3, v1
	s_addc_u32 s3, s3, s7
	v_add3_u32 v9, v0, v2, 0
	v_add_u32_e32 v10, -16, v1
	v_mov_b32_e32 v1, s3
	v_add_co_u32_e32 v0, vcc, s2, v2
	s_mov_b64 s[4:5], 0
	v_lshlrev_b32_e32 v4, 2, v4
	v_lshlrev_b32_e32 v5, 2, v5
	v_lshlrev_b32_e32 v6, 2, v6
	v_lshlrev_b32_e32 v7, 2, v7
	v_addc_co_u32_e32 v1, vcc, 0, v1, vcc
                                        ; implicit-def: $vgpr2_vgpr3
	s_branch .LBB137_14
.LBB137_13:                             ;   in Loop: Header=BB137_14 Depth=1
	s_or_b64 exec, exec, s[2:3]
	v_add_co_u32_e32 v10, vcc, 16, v10
	s_xor_b64 s[2:3], vcc, -1
	v_add_co_u32_e32 v0, vcc, 0x80, v0
	s_and_b64 s[2:3], exec, s[2:3]
	v_add_u32_e32 v9, 0x80, v9
	s_or_b64 s[4:5], s[2:3], s[4:5]
	v_addc_co_u32_e32 v1, vcc, 0, v1, vcc
	s_andn2_b64 exec, exec, s[4:5]
	s_cbranch_execz .LBB137_18
.LBB137_14:                             ; =>This Inner Loop Header: Depth=1
	s_and_saveexec_b64 s[2:3], s[0:1]
	s_cbranch_execz .LBB137_16
; %bb.15:                               ;   in Loop: Header=BB137_14 Depth=1
	ds_read_b64 v[2:3], v9
.LBB137_16:                             ;   in Loop: Header=BB137_14 Depth=1
	s_or_b64 exec, exec, s[2:3]
	s_waitcnt lgkmcnt(0)
	ds_bpermute_b32 v12, v4, v2
	ds_bpermute_b32 v13, v4, v3
	s_waitcnt lgkmcnt(0)
	v_add_f64 v[2:3], v[2:3], v[12:13]
	ds_bpermute_b32 v12, v5, v2
	ds_bpermute_b32 v13, v5, v3
	s_waitcnt lgkmcnt(0)
	v_add_f64 v[2:3], v[2:3], v[12:13]
	;; [unrolled: 4-line block ×5, first 2 shown]
	s_and_saveexec_b64 s[2:3], s[8:9]
	s_cbranch_execz .LBB137_13
; %bb.17:                               ;   in Loop: Header=BB137_14 Depth=1
	global_store_dwordx2 v[0:1], v[2:3], off
	s_branch .LBB137_13
.LBB137_18:
	s_endpgm
	.section	.rodata,"a",@progbits
	.p2align	6, 0x0
	.amdhsa_kernel _ZN2at6native12_GLOBAL__N_135GammaBetaBackwardCUDAKernelTemplateIddLj32ELj32ELj256ELb0ELb1ELb1EEEvllPKT_S5_PKT0_S8_PS3_S9_
		.amdhsa_group_segment_fixed_size 0
		.amdhsa_private_segment_fixed_size 0
		.amdhsa_kernarg_size 320
		.amdhsa_user_sgpr_count 6
		.amdhsa_user_sgpr_private_segment_buffer 1
		.amdhsa_user_sgpr_dispatch_ptr 0
		.amdhsa_user_sgpr_queue_ptr 0
		.amdhsa_user_sgpr_kernarg_segment_ptr 1
		.amdhsa_user_sgpr_dispatch_id 0
		.amdhsa_user_sgpr_flat_scratch_init 0
		.amdhsa_user_sgpr_kernarg_preload_length 0
		.amdhsa_user_sgpr_kernarg_preload_offset 0
		.amdhsa_user_sgpr_private_segment_size 0
		.amdhsa_uses_dynamic_stack 0
		.amdhsa_system_sgpr_private_segment_wavefront_offset 0
		.amdhsa_system_sgpr_workgroup_id_x 1
		.amdhsa_system_sgpr_workgroup_id_y 1
		.amdhsa_system_sgpr_workgroup_id_z 0
		.amdhsa_system_sgpr_workgroup_info 0
		.amdhsa_system_vgpr_workitem_id 1
		.amdhsa_next_free_vgpr 66
		.amdhsa_next_free_sgpr 26
		.amdhsa_accum_offset 68
		.amdhsa_reserve_vcc 1
		.amdhsa_reserve_flat_scratch 0
		.amdhsa_float_round_mode_32 0
		.amdhsa_float_round_mode_16_64 0
		.amdhsa_float_denorm_mode_32 3
		.amdhsa_float_denorm_mode_16_64 3
		.amdhsa_dx10_clamp 1
		.amdhsa_ieee_mode 1
		.amdhsa_fp16_overflow 0
		.amdhsa_tg_split 0
		.amdhsa_exception_fp_ieee_invalid_op 0
		.amdhsa_exception_fp_denorm_src 0
		.amdhsa_exception_fp_ieee_div_zero 0
		.amdhsa_exception_fp_ieee_overflow 0
		.amdhsa_exception_fp_ieee_underflow 0
		.amdhsa_exception_fp_ieee_inexact 0
		.amdhsa_exception_int_div_zero 0
	.end_amdhsa_kernel
	.section	.text._ZN2at6native12_GLOBAL__N_135GammaBetaBackwardCUDAKernelTemplateIddLj32ELj32ELj256ELb0ELb1ELb1EEEvllPKT_S5_PKT0_S8_PS3_S9_,"axG",@progbits,_ZN2at6native12_GLOBAL__N_135GammaBetaBackwardCUDAKernelTemplateIddLj32ELj32ELj256ELb0ELb1ELb1EEEvllPKT_S5_PKT0_S8_PS3_S9_,comdat
.Lfunc_end137:
	.size	_ZN2at6native12_GLOBAL__N_135GammaBetaBackwardCUDAKernelTemplateIddLj32ELj32ELj256ELb0ELb1ELb1EEEvllPKT_S5_PKT0_S8_PS3_S9_, .Lfunc_end137-_ZN2at6native12_GLOBAL__N_135GammaBetaBackwardCUDAKernelTemplateIddLj32ELj32ELj256ELb0ELb1ELb1EEEvllPKT_S5_PKT0_S8_PS3_S9_
                                        ; -- End function
	.section	.AMDGPU.csdata,"",@progbits
; Kernel info:
; codeLenInByte = 1564
; NumSgprs: 30
; NumVgprs: 66
; NumAgprs: 0
; TotalNumVgprs: 66
; ScratchSize: 0
; MemoryBound: 0
; FloatMode: 240
; IeeeMode: 1
; LDSByteSize: 0 bytes/workgroup (compile time only)
; SGPRBlocks: 3
; VGPRBlocks: 8
; NumSGPRsForWavesPerEU: 30
; NumVGPRsForWavesPerEU: 66
; AccumOffset: 68
; Occupancy: 7
; WaveLimiterHint : 0
; COMPUTE_PGM_RSRC2:SCRATCH_EN: 0
; COMPUTE_PGM_RSRC2:USER_SGPR: 6
; COMPUTE_PGM_RSRC2:TRAP_HANDLER: 0
; COMPUTE_PGM_RSRC2:TGID_X_EN: 1
; COMPUTE_PGM_RSRC2:TGID_Y_EN: 1
; COMPUTE_PGM_RSRC2:TGID_Z_EN: 0
; COMPUTE_PGM_RSRC2:TIDIG_COMP_CNT: 1
; COMPUTE_PGM_RSRC3_GFX90A:ACCUM_OFFSET: 16
; COMPUTE_PGM_RSRC3_GFX90A:TG_SPLIT: 0
	.section	.text._ZN2at6native12_GLOBAL__N_135GammaBetaBackwardCUDAKernelTemplateIddLj32ELj32ELj256ELb0ELb0ELb1EEEvllPKT_S5_PKT0_S8_PS3_S9_,"axG",@progbits,_ZN2at6native12_GLOBAL__N_135GammaBetaBackwardCUDAKernelTemplateIddLj32ELj32ELj256ELb0ELb0ELb1EEEvllPKT_S5_PKT0_S8_PS3_S9_,comdat
	.globl	_ZN2at6native12_GLOBAL__N_135GammaBetaBackwardCUDAKernelTemplateIddLj32ELj32ELj256ELb0ELb0ELb1EEEvllPKT_S5_PKT0_S8_PS3_S9_ ; -- Begin function _ZN2at6native12_GLOBAL__N_135GammaBetaBackwardCUDAKernelTemplateIddLj32ELj32ELj256ELb0ELb0ELb1EEEvllPKT_S5_PKT0_S8_PS3_S9_
	.p2align	8
	.type	_ZN2at6native12_GLOBAL__N_135GammaBetaBackwardCUDAKernelTemplateIddLj32ELj32ELj256ELb0ELb0ELb1EEEvllPKT_S5_PKT0_S8_PS3_S9_,@function
_ZN2at6native12_GLOBAL__N_135GammaBetaBackwardCUDAKernelTemplateIddLj32ELj32ELj256ELb0ELb0ELb1EEEvllPKT_S5_PKT0_S8_PS3_S9_: ; @_ZN2at6native12_GLOBAL__N_135GammaBetaBackwardCUDAKernelTemplateIddLj32ELj32ELj256ELb0ELb0ELb1EEEvllPKT_S5_PKT0_S8_PS3_S9_
; %bb.0:
	s_load_dwordx8 s[36:43], s[4:5], 0x0
	s_load_dwordx2 s[28:29], s[4:5], 0x28
	s_lshl_b32 s33, s6, 5
	s_or_b32 s30, s33, 31
	s_mov_b32 s31, 0
	s_waitcnt lgkmcnt(0)
	v_pk_mov_b32 v[2:3], s[38:39], s[38:39] op_sel:[0,1]
	v_cmp_ge_i64_e32 vcc, s[30:31], v[2:3]
	s_lshl_b32 s30, s7, 8
	v_pk_mov_b32 v[2:3], s[36:37], s[36:37] op_sel:[0,1]
	v_cmp_lt_i64_e64 s[0:1], s[30:31], v[2:3]
	v_cndmask_b32_e64 v1, 0, 1, s[0:1]
	v_cmp_ne_u32_e64 s[0:1], 1, v1
	s_cbranch_vccz .LBB138_49
; %bb.1:
	s_and_b64 vcc, exec, s[0:1]
	v_pk_mov_b32 v[2:3], 0, 0
	s_cbranch_vccnz .LBB138_50
; %bb.2:
	v_bfe_u32 v85, v0, 10, 10
	v_lshlrev_b32_e32 v50, 3, v85
	v_mov_b32_e32 v1, s31
	v_add_co_u32_e32 v5, vcc, s30, v50
	v_and_b32_e32 v83, 0x3ff, v0
	v_mov_b32_e32 v4, 0
	v_addc_co_u32_e32 v6, vcc, 0, v1, vcc
	v_add_u32_e32 v2, s33, v83
	v_mov_b32_e32 v3, v4
	v_add_co_u32_e32 v1, vcc, 7, v5
	v_cmp_gt_i64_e64 s[2:3], s[38:39], v[2:3]
	v_lshlrev_b64 v[52:53], 3, v[2:3]
	v_addc_co_u32_e32 v2, vcc, 0, v6, vcc
	v_mul_lo_u32 v7, s39, v1
	v_mul_lo_u32 v8, s38, v2
	v_mad_u64_u32 v[2:3], s[8:9], s38, v1, 0
	s_load_dword s7, s[4:5], 0x44
	v_add3_u32 v3, v3, v8, v7
	v_lshlrev_b64 v[2:3], 3, v[2:3]
	v_mov_b32_e32 v7, s41
	v_add_co_u32_e32 v54, vcc, s40, v2
	v_addc_co_u32_e32 v1, vcc, v7, v3, vcc
	s_add_u32 s10, s4, 64
	v_mov_b32_e32 v8, s43
	v_add_co_u32_e32 v56, vcc, s42, v2
	s_addc_u32 s11, s5, 0
	s_waitcnt lgkmcnt(0)
	s_lshl_b32 s7, s7, 8
	v_addc_co_u32_e32 v51, vcc, v8, v3, vcc
	s_mul_i32 s8, s39, s7
	s_mul_hi_u32 s9, s38, s7
	v_add_co_u32_e32 v2, vcc, 6, v5
	s_add_i32 s9, s9, s8
	s_mul_i32 s8, s38, s7
	v_addc_co_u32_e32 v3, vcc, 0, v6, vcc
	s_lshl_b64 s[34:35], s[8:9], 3
	v_mul_lo_u32 v9, s39, v2
	v_mul_lo_u32 v10, s38, v3
	v_mad_u64_u32 v[2:3], s[8:9], s38, v2, 0
	v_add3_u32 v3, v3, v10, v9
	v_lshlrev_b64 v[2:3], 3, v[2:3]
	v_add_co_u32_e32 v58, vcc, s40, v2
	v_addc_co_u32_e32 v55, vcc, v7, v3, vcc
	v_add_co_u32_e32 v60, vcc, s42, v2
	v_addc_co_u32_e32 v57, vcc, v8, v3, vcc
	v_add_co_u32_e32 v2, vcc, 5, v5
	v_addc_co_u32_e32 v3, vcc, 0, v6, vcc
	v_mul_lo_u32 v9, s39, v2
	v_mul_lo_u32 v10, s38, v3
	v_mad_u64_u32 v[2:3], s[8:9], s38, v2, 0
	v_add3_u32 v3, v3, v10, v9
	v_lshlrev_b64 v[2:3], 3, v[2:3]
	v_add_co_u32_e32 v62, vcc, s40, v2
	v_addc_co_u32_e32 v59, vcc, v7, v3, vcc
	v_add_co_u32_e32 v64, vcc, s42, v2
	v_addc_co_u32_e32 v61, vcc, v8, v3, vcc
	v_add_co_u32_e32 v2, vcc, 4, v5
	v_addc_co_u32_e32 v3, vcc, 0, v6, vcc
	;; [unrolled: 11-line block ×4, first 2 shown]
	v_mul_lo_u32 v9, s39, v2
	v_mul_lo_u32 v10, s38, v3
	v_mad_u64_u32 v[2:3], s[8:9], s38, v2, 0
	v_add3_u32 v3, v3, v10, v9
	v_lshlrev_b64 v[2:3], 3, v[2:3]
	v_add_co_u32_e32 v74, vcc, s40, v2
	v_addc_co_u32_e32 v71, vcc, v7, v3, vcc
	v_add_co_u32_e32 v76, vcc, s42, v2
	v_addc_co_u32_e32 v73, vcc, v8, v3, vcc
	v_pk_mov_b32 v[2:3], s[38:39], s[38:39] op_sel:[0,1]
	v_mad_u64_u32 v[2:3], s[8:9], s38, v5, v[2:3]
	v_mul_lo_u32 v6, s38, v6
	v_mul_lo_u32 v9, s39, v5
	v_add3_u32 v3, v9, v3, v6
	v_lshlrev_b64 v[2:3], 3, v[2:3]
	v_add_co_u32_e32 v78, vcc, s40, v2
	v_addc_co_u32_e32 v75, vcc, v7, v3, vcc
	v_add_co_u32_e32 v80, vcc, s42, v2
	v_addc_co_u32_e32 v77, vcc, v8, v3, vcc
	v_mad_u64_u32 v[2:3], s[8:9], s38, v5, 0
	v_add3_u32 v3, v3, v6, v9
	v_lshlrev_b64 v[2:3], 3, v[2:3]
	v_add_co_u32_e32 v82, vcc, s40, v2
	v_addc_co_u32_e32 v79, vcc, v7, v3, vcc
	v_add_co_u32_e32 v84, vcc, s42, v2
	v_mbcnt_lo_u32_b32 v2, -1, 0
	v_mbcnt_hi_u32_b32 v2, -1, v2
	s_add_u32 s44, s30, 0xff
	v_lshlrev_b32_e32 v2, 2, v2
	s_mov_b32 s12, 0
	s_addc_u32 s45, 0, 0
	v_addc_co_u32_e32 v81, vcc, v8, v3, vcc
	v_pk_mov_b32 v[86:87], 0, 0
	v_and_b32_e32 v90, 0x100, v2
	s_mov_b64 s[46:47], s[30:31]
.LBB138_3:                              ; =>This Inner Loop Header: Depth=1
	v_pk_mov_b32 v[2:3], s[36:37], s[36:37] op_sel:[0,1]
	v_cmp_ge_i64_e32 vcc, s[44:45], v[2:3]
	v_mov_b32_e32 v2, s45
	v_add_co_u32_e64 v91, s[8:9], s44, v50
	v_addc_co_u32_e64 v92, s[8:9], 0, v2, s[8:9]
	s_cbranch_vccz .LBB138_25
; %bb.4:                                ;   in Loop: Header=BB138_3 Depth=1
	s_load_dword s8, s[10:11], 0xc
	v_pk_mov_b32 v[88:89], 0, 0
	s_waitcnt lgkmcnt(0)
	s_and_b32 s8, s8, 0xffff
	v_mad_u32_u24 v2, v85, s8, v83
	v_and_b32_e32 v2, 63, v2
	v_cmp_gt_u32_e32 vcc, 8, v2
	s_and_saveexec_b64 s[8:9], vcc
	s_cbranch_execz .LBB138_8
; %bb.5:                                ;   in Loop: Header=BB138_3 Depth=1
	v_add_co_u32_e32 v2, vcc, v91, v2
	v_addc_co_u32_e32 v3, vcc, 0, v92, vcc
	v_add_co_u32_e32 v2, vcc, 0xffffff01, v2
	v_addc_co_u32_e32 v3, vcc, -1, v3, vcc
	v_cmp_gt_i64_e32 vcc, s[36:37], v[2:3]
	v_pk_mov_b32 v[88:89], 0, 0
	s_and_saveexec_b64 s[14:15], vcc
	s_cbranch_execz .LBB138_7
; %bb.6:                                ;   in Loop: Header=BB138_3 Depth=1
	v_lshlrev_b64 v[2:3], 3, v[2:3]
	v_mov_b32_e32 v5, s29
	v_add_co_u32_e32 v2, vcc, s28, v2
	v_addc_co_u32_e32 v3, vcc, v5, v3, vcc
	global_load_dwordx2 v[88:89], v[2:3], off
.LBB138_7:                              ;   in Loop: Header=BB138_3 Depth=1
	s_or_b64 exec, exec, s[14:15]
.LBB138_8:                              ;   in Loop: Header=BB138_3 Depth=1
	s_or_b64 exec, exec, s[8:9]
	v_add_co_u32_e32 v2, vcc, 0xffffff01, v91
	s_mov_b32 s26, s12
	s_mov_b32 s27, s12
	v_addc_co_u32_e32 v3, vcc, -1, v92, vcc
	s_mov_b32 s13, s12
	s_mov_b32 s14, s12
	;; [unrolled: 1-line block ×13, first 2 shown]
	v_pk_mov_b32 v[32:33], s[26:27], s[26:27] op_sel:[0,1]
	v_cmp_gt_i64_e32 vcc, s[36:37], v[2:3]
	v_pk_mov_b32 v[30:31], s[24:25], s[24:25] op_sel:[0,1]
	v_pk_mov_b32 v[28:29], s[22:23], s[22:23] op_sel:[0,1]
	;; [unrolled: 1-line block ×8, first 2 shown]
	s_and_b64 s[48:49], s[2:3], vcc
	v_pk_mov_b32 v[46:47], v[30:31], v[30:31] op_sel:[0,1]
	v_pk_mov_b32 v[44:45], v[28:29], v[28:29] op_sel:[0,1]
	;; [unrolled: 1-line block ×7, first 2 shown]
	s_and_saveexec_b64 s[8:9], s[48:49]
	s_cbranch_execz .LBB138_10
; %bb.9:                                ;   in Loop: Header=BB138_3 Depth=1
	v_add_co_u32_e32 v2, vcc, v82, v52
	v_addc_co_u32_e32 v3, vcc, v79, v53, vcc
	v_add_co_u32_e32 v6, vcc, v84, v52
	global_load_dwordx2 v[2:3], v[2:3], off
	v_addc_co_u32_e32 v7, vcc, v81, v53, vcc
	global_load_dwordx2 v[18:19], v[6:7], off
	v_mov_b32_e32 v16, v4
	v_mov_b32_e32 v17, v4
	;; [unrolled: 1-line block ×13, first 2 shown]
	s_waitcnt vmcnt(1)
	v_pk_mov_b32 v[48:49], v[16:17], v[16:17] op_sel:[0,1]
	v_mov_b32_e32 v20, v4
	v_mov_b32_e32 v21, v4
	v_mov_b32_e32 v22, v4
	v_mov_b32_e32 v23, v4
	v_mov_b32_e32 v24, v4
	v_mov_b32_e32 v25, v4
	v_mov_b32_e32 v26, v4
	v_mov_b32_e32 v27, v4
	v_mov_b32_e32 v28, v4
	v_mov_b32_e32 v29, v4
	v_mov_b32_e32 v30, v4
	v_mov_b32_e32 v31, v4
	v_mov_b32_e32 v32, v4
	v_mov_b32_e32 v33, v4
	v_pk_mov_b32 v[46:47], v[14:15], v[14:15] op_sel:[0,1]
	v_pk_mov_b32 v[44:45], v[12:13], v[12:13] op_sel:[0,1]
	;; [unrolled: 1-line block ×7, first 2 shown]
.LBB138_10:                             ;   in Loop: Header=BB138_3 Depth=1
	s_or_b64 exec, exec, s[8:9]
	v_add_co_u32_e32 v2, vcc, 0xffffff02, v91
	v_addc_co_u32_e32 v3, vcc, -1, v92, vcc
	v_cmp_gt_i64_e32 vcc, s[36:37], v[2:3]
	s_and_b64 s[14:15], s[2:3], vcc
	s_and_saveexec_b64 s[8:9], s[14:15]
	s_cbranch_execz .LBB138_12
; %bb.11:                               ;   in Loop: Header=BB138_3 Depth=1
	v_add_co_u32_e32 v2, vcc, v78, v52
	v_addc_co_u32_e32 v3, vcc, v75, v53, vcc
	global_load_dwordx2 v[36:37], v[2:3], off
	v_add_co_u32_e32 v2, vcc, v80, v52
	v_addc_co_u32_e32 v3, vcc, v77, v53, vcc
	global_load_dwordx2 v[20:21], v[2:3], off
.LBB138_12:                             ;   in Loop: Header=BB138_3 Depth=1
	s_or_b64 exec, exec, s[8:9]
	v_add_co_u32_e32 v2, vcc, 0xffffff03, v91
	v_addc_co_u32_e32 v3, vcc, -1, v92, vcc
	v_cmp_gt_i64_e32 vcc, s[36:37], v[2:3]
	s_and_b64 s[14:15], s[2:3], vcc
	s_and_saveexec_b64 s[8:9], s[14:15]
	s_cbranch_execz .LBB138_14
; %bb.13:                               ;   in Loop: Header=BB138_3 Depth=1
	v_add_co_u32_e32 v2, vcc, v74, v52
	v_addc_co_u32_e32 v3, vcc, v71, v53, vcc
	global_load_dwordx2 v[38:39], v[2:3], off
	v_add_co_u32_e32 v2, vcc, v76, v52
	v_addc_co_u32_e32 v3, vcc, v73, v53, vcc
	global_load_dwordx2 v[22:23], v[2:3], off
.LBB138_14:                             ;   in Loop: Header=BB138_3 Depth=1
	;; [unrolled: 15-line block ×7, first 2 shown]
	s_or_b64 exec, exec, s[8:9]
	s_waitcnt vmcnt(0)
	ds_bpermute_b32 v2, v90, v88
	ds_bpermute_b32 v3, v90, v89
	ds_bpermute_b32 v6, v90, v88 offset:4
	ds_bpermute_b32 v7, v90, v89 offset:4
	v_mul_f64 v[8:9], v[18:19], v[34:35]
	ds_bpermute_b32 v10, v90, v88 offset:12
	s_waitcnt lgkmcnt(3)
	v_fma_f64 v[2:3], v[8:9], v[2:3], v[86:87]
	v_mul_f64 v[8:9], v[20:21], v[36:37]
	s_waitcnt lgkmcnt(1)
	v_fmac_f64_e32 v[2:3], v[8:9], v[6:7]
	ds_bpermute_b32 v6, v90, v88 offset:8
	ds_bpermute_b32 v7, v90, v89 offset:8
	;; [unrolled: 1-line block ×5, first 2 shown]
	v_mul_f64 v[8:9], v[22:23], v[38:39]
	s_waitcnt lgkmcnt(3)
	v_fmac_f64_e32 v[2:3], v[8:9], v[6:7]
	v_mul_f64 v[6:7], v[24:25], v[40:41]
	s_waitcnt lgkmcnt(2)
	v_fmac_f64_e32 v[2:3], v[6:7], v[10:11]
	v_mul_f64 v[6:7], v[26:27], v[42:43]
	ds_bpermute_b32 v8, v90, v88 offset:20
	ds_bpermute_b32 v9, v90, v89 offset:20
	s_waitcnt lgkmcnt(2)
	v_fmac_f64_e32 v[2:3], v[6:7], v[12:13]
	ds_bpermute_b32 v12, v90, v88 offset:24
	ds_bpermute_b32 v13, v90, v89 offset:24
	;; [unrolled: 1-line block ×4, first 2 shown]
	v_mul_f64 v[10:11], v[28:29], v[44:45]
	s_waitcnt lgkmcnt(4)
	v_fmac_f64_e32 v[2:3], v[10:11], v[8:9]
	v_mul_f64 v[8:9], v[30:31], v[46:47]
	s_waitcnt lgkmcnt(2)
	v_fmac_f64_e32 v[2:3], v[8:9], v[12:13]
	s_branch .LBB138_40
.LBB138_25:                             ;   in Loop: Header=BB138_3 Depth=1
                                        ; implicit-def: $vgpr2_vgpr3
                                        ; implicit-def: $vgpr18_vgpr19_vgpr20_vgpr21_vgpr22_vgpr23_vgpr24_vgpr25_vgpr26_vgpr27_vgpr28_vgpr29_vgpr30_vgpr31_vgpr32_vgpr33
                                        ; implicit-def: $vgpr34_vgpr35_vgpr36_vgpr37_vgpr38_vgpr39_vgpr40_vgpr41_vgpr42_vgpr43_vgpr44_vgpr45_vgpr46_vgpr47_vgpr48_vgpr49
                                        ; implicit-def: $vgpr6
	s_cbranch_execz .LBB138_40
; %bb.26:                               ;   in Loop: Header=BB138_3 Depth=1
	s_load_dword s8, s[10:11], 0x0
	v_pk_mov_b32 v[88:89], 0, 0
	s_waitcnt lgkmcnt(0)
	s_cmp_lt_u32 s6, s8
	s_cselect_b32 s8, 12, 18
	s_add_u32 s8, s10, s8
	s_addc_u32 s9, s11, 0
	global_load_ushort v2, v4, s[8:9]
	s_waitcnt vmcnt(0)
	v_mad_u32_u24 v2, v85, v2, v83
	v_and_b32_e32 v2, 63, v2
	v_cmp_gt_u32_e32 vcc, 8, v2
	s_and_saveexec_b64 s[8:9], vcc
	s_cbranch_execz .LBB138_30
; %bb.27:                               ;   in Loop: Header=BB138_3 Depth=1
	v_add_co_u32_e32 v2, vcc, v91, v2
	v_addc_co_u32_e32 v3, vcc, 0, v92, vcc
	v_add_co_u32_e32 v2, vcc, 0xffffff01, v2
	v_addc_co_u32_e32 v3, vcc, -1, v3, vcc
	v_cmp_gt_i64_e32 vcc, s[36:37], v[2:3]
	v_pk_mov_b32 v[88:89], 0, 0
	s_and_saveexec_b64 s[14:15], vcc
	s_cbranch_execz .LBB138_29
; %bb.28:                               ;   in Loop: Header=BB138_3 Depth=1
	v_lshlrev_b64 v[2:3], 3, v[2:3]
	v_mov_b32_e32 v5, s29
	v_add_co_u32_e32 v2, vcc, s28, v2
	v_addc_co_u32_e32 v3, vcc, v5, v3, vcc
	global_load_dwordx2 v[88:89], v[2:3], off
.LBB138_29:                             ;   in Loop: Header=BB138_3 Depth=1
	s_or_b64 exec, exec, s[14:15]
.LBB138_30:                             ;   in Loop: Header=BB138_3 Depth=1
	s_or_b64 exec, exec, s[8:9]
	s_mov_b32 s26, s12
	s_mov_b32 s27, s12
	;; [unrolled: 1-line block ×15, first 2 shown]
	v_pk_mov_b32 v[32:33], s[26:27], s[26:27] op_sel:[0,1]
	v_pk_mov_b32 v[30:31], s[24:25], s[24:25] op_sel:[0,1]
	v_pk_mov_b32 v[28:29], s[22:23], s[22:23] op_sel:[0,1]
	v_pk_mov_b32 v[26:27], s[20:21], s[20:21] op_sel:[0,1]
	v_pk_mov_b32 v[24:25], s[18:19], s[18:19] op_sel:[0,1]
	v_pk_mov_b32 v[22:23], s[16:17], s[16:17] op_sel:[0,1]
	v_pk_mov_b32 v[20:21], s[14:15], s[14:15] op_sel:[0,1]
	v_pk_mov_b32 v[18:19], s[12:13], s[12:13] op_sel:[0,1]
	v_pk_mov_b32 v[48:49], v[32:33], v[32:33] op_sel:[0,1]
	v_pk_mov_b32 v[46:47], v[30:31], v[30:31] op_sel:[0,1]
	v_pk_mov_b32 v[44:45], v[28:29], v[28:29] op_sel:[0,1]
	v_pk_mov_b32 v[42:43], v[26:27], v[26:27] op_sel:[0,1]
	v_pk_mov_b32 v[40:41], v[24:25], v[24:25] op_sel:[0,1]
	v_pk_mov_b32 v[38:39], v[22:23], v[22:23] op_sel:[0,1]
	v_pk_mov_b32 v[36:37], v[20:21], v[20:21] op_sel:[0,1]
	v_pk_mov_b32 v[34:35], v[18:19], v[18:19] op_sel:[0,1]
	s_and_saveexec_b64 s[8:9], s[2:3]
	s_cbranch_execnz .LBB138_42
; %bb.31:                               ;   in Loop: Header=BB138_3 Depth=1
	s_or_b64 exec, exec, s[8:9]
	s_and_saveexec_b64 s[8:9], s[2:3]
	s_cbranch_execnz .LBB138_43
.LBB138_32:                             ;   in Loop: Header=BB138_3 Depth=1
	s_or_b64 exec, exec, s[8:9]
	s_and_saveexec_b64 s[8:9], s[2:3]
	s_cbranch_execnz .LBB138_44
.LBB138_33:                             ;   in Loop: Header=BB138_3 Depth=1
	s_or_b64 exec, exec, s[8:9]
	s_and_saveexec_b64 s[8:9], s[2:3]
	s_cbranch_execnz .LBB138_45
.LBB138_34:                             ;   in Loop: Header=BB138_3 Depth=1
	s_or_b64 exec, exec, s[8:9]
	s_and_saveexec_b64 s[8:9], s[2:3]
	s_cbranch_execnz .LBB138_46
.LBB138_35:                             ;   in Loop: Header=BB138_3 Depth=1
	s_or_b64 exec, exec, s[8:9]
	s_and_saveexec_b64 s[8:9], s[2:3]
	s_cbranch_execnz .LBB138_47
.LBB138_36:                             ;   in Loop: Header=BB138_3 Depth=1
	s_or_b64 exec, exec, s[8:9]
	s_and_saveexec_b64 s[8:9], s[2:3]
	s_cbranch_execnz .LBB138_48
.LBB138_37:                             ;   in Loop: Header=BB138_3 Depth=1
	s_or_b64 exec, exec, s[8:9]
	s_and_saveexec_b64 s[8:9], s[2:3]
	s_cbranch_execz .LBB138_39
.LBB138_38:                             ;   in Loop: Header=BB138_3 Depth=1
	v_add_co_u32_e32 v2, vcc, v54, v52
	v_addc_co_u32_e32 v3, vcc, v1, v53, vcc
	global_load_dwordx2 v[48:49], v[2:3], off
	v_add_co_u32_e32 v2, vcc, v56, v52
	v_addc_co_u32_e32 v3, vcc, v51, v53, vcc
	global_load_dwordx2 v[32:33], v[2:3], off
.LBB138_39:                             ;   in Loop: Header=BB138_3 Depth=1
	s_or_b64 exec, exec, s[8:9]
	s_waitcnt vmcnt(0)
	ds_bpermute_b32 v2, v90, v88
	ds_bpermute_b32 v3, v90, v89
	ds_bpermute_b32 v6, v90, v88 offset:4
	ds_bpermute_b32 v7, v90, v89 offset:4
	v_mul_f64 v[8:9], v[18:19], v[34:35]
	ds_bpermute_b32 v10, v90, v88 offset:16
	s_waitcnt lgkmcnt(3)
	v_fmac_f64_e32 v[86:87], v[8:9], v[2:3]
	v_mul_f64 v[2:3], v[20:21], v[36:37]
	s_waitcnt lgkmcnt(1)
	v_fmac_f64_e32 v[86:87], v[2:3], v[6:7]
	ds_bpermute_b32 v2, v90, v88 offset:8
	ds_bpermute_b32 v3, v90, v89 offset:8
	;; [unrolled: 1-line block ×5, first 2 shown]
	v_mul_f64 v[6:7], v[22:23], v[38:39]
	s_waitcnt lgkmcnt(3)
	v_fmac_f64_e32 v[86:87], v[6:7], v[2:3]
	v_mul_f64 v[2:3], v[24:25], v[40:41]
	s_waitcnt lgkmcnt(1)
	v_fmac_f64_e32 v[86:87], v[2:3], v[8:9]
	;; [unrolled: 3-line block ×3, first 2 shown]
	ds_bpermute_b32 v2, v90, v88 offset:20
	ds_bpermute_b32 v3, v90, v89 offset:20
	;; [unrolled: 1-line block ×4, first 2 shown]
	v_mul_f64 v[8:9], v[28:29], v[44:45]
	ds_bpermute_b32 v6, v90, v88 offset:28
	s_waitcnt lgkmcnt(3)
	v_fmac_f64_e32 v[86:87], v[8:9], v[2:3]
	v_mul_f64 v[2:3], v[30:31], v[46:47]
	s_waitcnt lgkmcnt(1)
	v_fmac_f64_e32 v[86:87], v[2:3], v[10:11]
	ds_bpermute_b32 v7, v90, v89 offset:28
	v_pk_mov_b32 v[2:3], v[86:87], v[86:87] op_sel:[0,1]
.LBB138_40:                             ;   in Loop: Header=BB138_3 Depth=1
	v_mov_b32_e32 v5, s35
	v_add_co_u32_e32 v54, vcc, s34, v54
	v_addc_co_u32_e32 v1, vcc, v1, v5, vcc
	v_add_co_u32_e32 v56, vcc, s34, v56
	v_addc_co_u32_e32 v51, vcc, v51, v5, vcc
	;; [unrolled: 2-line block ×15, first 2 shown]
	v_mul_f64 v[8:9], v[48:49], v[32:33]
	s_add_u32 s46, s46, s7
	v_add_co_u32_e32 v84, vcc, s34, v84
	s_waitcnt lgkmcnt(0)
	v_fmac_f64_e32 v[2:3], v[8:9], v[6:7]
	s_addc_u32 s47, s47, 0
	v_addc_co_u32_e32 v81, vcc, v81, v5, vcc
	v_pk_mov_b32 v[6:7], s[36:37], s[36:37] op_sel:[0,1]
	s_add_u32 s44, s44, s7
	v_cmp_lt_i64_e32 vcc, s[46:47], v[6:7]
	s_addc_u32 s45, s45, 0
	s_cbranch_vccz .LBB138_50
; %bb.41:                               ;   in Loop: Header=BB138_3 Depth=1
	v_pk_mov_b32 v[86:87], v[2:3], v[2:3] op_sel:[0,1]
	s_branch .LBB138_3
.LBB138_42:                             ;   in Loop: Header=BB138_3 Depth=1
	v_add_co_u32_e32 v2, vcc, v82, v52
	v_addc_co_u32_e32 v3, vcc, v79, v53, vcc
	v_add_co_u32_e32 v6, vcc, v84, v52
	global_load_dwordx2 v[2:3], v[2:3], off
	v_addc_co_u32_e32 v7, vcc, v81, v53, vcc
	global_load_dwordx2 v[18:19], v[6:7], off
	v_mov_b32_e32 v16, v4
	v_mov_b32_e32 v17, v4
	;; [unrolled: 1-line block ×13, first 2 shown]
	s_waitcnt vmcnt(1)
	v_pk_mov_b32 v[48:49], v[16:17], v[16:17] op_sel:[0,1]
	v_mov_b32_e32 v20, v4
	v_mov_b32_e32 v21, v4
	;; [unrolled: 1-line block ×14, first 2 shown]
	v_pk_mov_b32 v[46:47], v[14:15], v[14:15] op_sel:[0,1]
	v_pk_mov_b32 v[44:45], v[12:13], v[12:13] op_sel:[0,1]
	;; [unrolled: 1-line block ×7, first 2 shown]
	s_or_b64 exec, exec, s[8:9]
	s_and_saveexec_b64 s[8:9], s[2:3]
	s_cbranch_execz .LBB138_32
.LBB138_43:                             ;   in Loop: Header=BB138_3 Depth=1
	v_add_co_u32_e32 v2, vcc, v78, v52
	v_addc_co_u32_e32 v3, vcc, v75, v53, vcc
	global_load_dwordx2 v[36:37], v[2:3], off
	v_add_co_u32_e32 v2, vcc, v80, v52
	v_addc_co_u32_e32 v3, vcc, v77, v53, vcc
	global_load_dwordx2 v[20:21], v[2:3], off
	s_or_b64 exec, exec, s[8:9]
	s_and_saveexec_b64 s[8:9], s[2:3]
	s_cbranch_execz .LBB138_33
.LBB138_44:                             ;   in Loop: Header=BB138_3 Depth=1
	v_add_co_u32_e32 v2, vcc, v74, v52
	v_addc_co_u32_e32 v3, vcc, v71, v53, vcc
	global_load_dwordx2 v[38:39], v[2:3], off
	v_add_co_u32_e32 v2, vcc, v76, v52
	v_addc_co_u32_e32 v3, vcc, v73, v53, vcc
	global_load_dwordx2 v[22:23], v[2:3], off
	s_or_b64 exec, exec, s[8:9]
	s_and_saveexec_b64 s[8:9], s[2:3]
	s_cbranch_execz .LBB138_34
.LBB138_45:                             ;   in Loop: Header=BB138_3 Depth=1
	v_add_co_u32_e32 v2, vcc, v70, v52
	v_addc_co_u32_e32 v3, vcc, v67, v53, vcc
	global_load_dwordx2 v[40:41], v[2:3], off
	v_add_co_u32_e32 v2, vcc, v72, v52
	v_addc_co_u32_e32 v3, vcc, v69, v53, vcc
	global_load_dwordx2 v[24:25], v[2:3], off
	s_or_b64 exec, exec, s[8:9]
	s_and_saveexec_b64 s[8:9], s[2:3]
	s_cbranch_execz .LBB138_35
.LBB138_46:                             ;   in Loop: Header=BB138_3 Depth=1
	v_add_co_u32_e32 v2, vcc, v66, v52
	v_addc_co_u32_e32 v3, vcc, v63, v53, vcc
	global_load_dwordx2 v[42:43], v[2:3], off
	v_add_co_u32_e32 v2, vcc, v68, v52
	v_addc_co_u32_e32 v3, vcc, v65, v53, vcc
	global_load_dwordx2 v[26:27], v[2:3], off
	s_or_b64 exec, exec, s[8:9]
	s_and_saveexec_b64 s[8:9], s[2:3]
	s_cbranch_execz .LBB138_36
.LBB138_47:                             ;   in Loop: Header=BB138_3 Depth=1
	v_add_co_u32_e32 v2, vcc, v62, v52
	v_addc_co_u32_e32 v3, vcc, v59, v53, vcc
	global_load_dwordx2 v[44:45], v[2:3], off
	v_add_co_u32_e32 v2, vcc, v64, v52
	v_addc_co_u32_e32 v3, vcc, v61, v53, vcc
	global_load_dwordx2 v[28:29], v[2:3], off
	s_or_b64 exec, exec, s[8:9]
	s_and_saveexec_b64 s[8:9], s[2:3]
	s_cbranch_execz .LBB138_37
.LBB138_48:                             ;   in Loop: Header=BB138_3 Depth=1
	v_add_co_u32_e32 v2, vcc, v58, v52
	v_addc_co_u32_e32 v3, vcc, v55, v53, vcc
	global_load_dwordx2 v[46:47], v[2:3], off
	v_add_co_u32_e32 v2, vcc, v60, v52
	v_addc_co_u32_e32 v3, vcc, v57, v53, vcc
	global_load_dwordx2 v[30:31], v[2:3], off
	s_or_b64 exec, exec, s[8:9]
	s_and_saveexec_b64 s[8:9], s[2:3]
	s_cbranch_execnz .LBB138_38
	s_branch .LBB138_39
.LBB138_49:
                                        ; implicit-def: $vgpr2_vgpr3
	s_branch .LBB138_51
.LBB138_50:
	s_cbranch_execnz .LBB138_83
.LBB138_51:
	s_and_b64 vcc, exec, s[0:1]
	v_pk_mov_b32 v[2:3], 0, 0
	s_cbranch_vccnz .LBB138_83
; %bb.52:
	s_load_dword s0, s[4:5], 0x44
	s_add_u32 s2, s4, 64
	s_addc_u32 s3, s5, 0
	v_bfe_u32 v109, v0, 10, 10
	v_lshlrev_b32_e32 v1, 6, v109
	s_waitcnt lgkmcnt(0)
	s_lshl_b32 s7, s0, 8
	s_add_u32 s24, s30, 0xff
	s_addc_u32 s25, 0, 0
	s_lshl_b64 s[0:1], s[30:31], 3
	v_mov_b32_e32 v2, s1
	v_add_co_u32_e32 v1, vcc, s0, v1
	v_addc_co_u32_e32 v4, vcc, 0, v2, vcc
	v_add_co_u32_e32 v6, vcc, 8, v1
	v_addc_co_u32_e32 v5, vcc, 0, v4, vcc
	v_add_co_u32_e32 v9, vcc, 16, v1
	v_mul_lo_u32 v7, s38, v5
	v_addc_co_u32_e32 v5, vcc, 0, v4, vcc
	v_add_co_u32_e32 v12, vcc, 24, v1
	v_mul_lo_u32 v10, s38, v5
	;; [unrolled: 3-line block ×5, first 2 shown]
	v_addc_co_u32_e32 v5, vcc, 0, v4, vcc
	v_add_co_u32_e32 v24, vcc, 56, v1
	v_lshlrev_b32_e32 v50, 3, v109
	v_addc_co_u32_e32 v1, vcc, 0, v4, vcc
	v_mul_lo_u32 v25, s38, v1
	v_mov_b32_e32 v1, s31
	v_add_co_u32_e32 v27, vcc, s30, v50
	v_pk_mov_b32 v[2:3], s[40:41], s[40:41] op_sel:[0,1]
	v_addc_co_u32_e32 v28, vcc, 0, v1, vcc
	v_mad_u64_u32 v[52:53], s[0:1], s38, v6, v[2:3]
	v_mad_u64_u32 v[54:55], s[0:1], s38, v9, v[2:3]
	;; [unrolled: 1-line block ×7, first 2 shown]
	v_mul_lo_u32 v29, s39, v27
	v_mul_lo_u32 v30, s38, v28
	v_mad_u64_u32 v[2:3], s[0:1], s38, v27, 0
	v_add3_u32 v3, v3, v30, v29
	v_lshlrev_b64 v[2:3], 3, v[2:3]
	v_mul_lo_u32 v22, s38, v5
	v_mov_b32_e32 v31, s41
	v_add_co_u32_e32 v66, vcc, s40, v2
	v_pk_mov_b32 v[4:5], s[42:43], s[42:43] op_sel:[0,1]
	v_mul_lo_u32 v17, s39, v15
	v_addc_co_u32_e32 v1, vcc, v31, v3, vcc
	v_mad_u64_u32 v[74:75], s[0:1], s38, v15, v[4:5]
	v_add3_u32 v59, v17, v59, v16
	v_add3_u32 v75, v17, v75, v16
	v_mov_b32_e32 v16, s43
	v_add_co_u32_e32 v82, vcc, s42, v2
	v_addc_co_u32_e32 v51, vcc, v16, v3, vcc
	v_add_co_u32_e32 v2, vcc, 7, v27
	v_addc_co_u32_e32 v3, vcc, 0, v28, vcc
	v_mad_u64_u32 v[68:69], s[0:1], s38, v6, v[4:5]
	v_mad_u64_u32 v[70:71], s[0:1], s38, v9, v[4:5]
	;; [unrolled: 1-line block ×6, first 2 shown]
	v_mul_lo_u32 v4, s39, v2
	v_mul_lo_u32 v5, s38, v3
	v_mad_u64_u32 v[2:3], s[0:1], s38, v2, 0
	v_add3_u32 v3, v3, v5, v4
	v_add_co_u32_e32 v4, vcc, 6, v27
	v_mul_lo_u32 v8, s39, v6
	v_addc_co_u32_e32 v5, vcc, 0, v28, vcc
	v_add3_u32 v53, v8, v53, v7
	v_add3_u32 v69, v8, v69, v7
	v_mul_lo_u32 v6, s39, v4
	v_mul_lo_u32 v7, s38, v5
	v_mad_u64_u32 v[4:5], s[0:1], s38, v4, 0
	v_add3_u32 v5, v5, v7, v6
	v_add_co_u32_e32 v6, vcc, 5, v27
	v_addc_co_u32_e32 v7, vcc, 0, v28, vcc
	v_mul_lo_u32 v11, s39, v9
	v_mul_lo_u32 v8, s39, v6
	;; [unrolled: 1-line block ×3, first 2 shown]
	v_mad_u64_u32 v[6:7], s[0:1], s38, v6, 0
	v_add3_u32 v7, v7, v9, v8
	v_add_co_u32_e32 v8, vcc, 4, v27
	v_addc_co_u32_e32 v9, vcc, 0, v28, vcc
	v_add3_u32 v55, v11, v55, v10
	v_add3_u32 v71, v11, v71, v10
	v_mul_lo_u32 v10, s39, v8
	v_mul_lo_u32 v11, s38, v9
	v_mad_u64_u32 v[8:9], s[0:1], s38, v8, 0
	v_add3_u32 v9, v9, v11, v10
	v_add_co_u32_e32 v10, vcc, 3, v27
	v_mul_lo_u32 v14, s39, v12
	v_addc_co_u32_e32 v11, vcc, 0, v28, vcc
	v_add3_u32 v57, v14, v57, v13
	v_add3_u32 v73, v14, v73, v13
	v_mul_lo_u32 v12, s39, v10
	v_mul_lo_u32 v13, s38, v11
	v_mad_u64_u32 v[10:11], s[0:1], s38, v10, 0
	v_add3_u32 v11, v11, v13, v12
	v_add_co_u32_e32 v12, vcc, 2, v27
	v_lshlrev_b64 v[2:3], 3, v[2:3]
	v_addc_co_u32_e32 v13, vcc, 0, v28, vcc
	v_add_co_u32_e32 v84, vcc, s40, v2
	v_addc_co_u32_e32 v67, vcc, v31, v3, vcc
	v_add_co_u32_e32 v86, vcc, s42, v2
	v_addc_co_u32_e32 v83, vcc, v16, v3, vcc
	v_lshlrev_b64 v[2:3], 3, v[4:5]
	v_add_co_u32_e32 v88, vcc, s40, v2
	v_addc_co_u32_e32 v85, vcc, v31, v3, vcc
	v_add_co_u32_e32 v90, vcc, s42, v2
	v_addc_co_u32_e32 v87, vcc, v16, v3, vcc
	v_lshlrev_b64 v[2:3], 3, v[6:7]
	;; [unrolled: 5-line block ×4, first 2 shown]
	v_add_co_u32_e32 v100, vcc, s40, v2
	v_mul_lo_u32 v14, s39, v12
	v_mul_lo_u32 v15, s38, v13
	v_mad_u64_u32 v[12:13], s[0:1], s38, v12, 0
	v_addc_co_u32_e32 v97, vcc, v31, v3, vcc
	v_add3_u32 v13, v13, v15, v14
	v_add_co_u32_e32 v102, vcc, s42, v2
	v_addc_co_u32_e32 v99, vcc, v16, v3, vcc
	v_lshlrev_b64 v[2:3], 3, v[12:13]
	v_pk_mov_b32 v[14:15], s[38:39], s[38:39] op_sel:[0,1]
	v_add_co_u32_e32 v104, vcc, s40, v2
	v_mad_u64_u32 v[14:15], s[0:1], s38, v27, v[14:15]
	v_addc_co_u32_e32 v101, vcc, v31, v3, vcc
	v_add3_u32 v15, v29, v15, v30
	v_add_co_u32_e32 v106, vcc, s42, v2
	v_addc_co_u32_e32 v103, vcc, v16, v3, vcc
	v_lshlrev_b64 v[2:3], 3, v[14:15]
	v_add_co_u32_e32 v108, vcc, s40, v2
	v_addc_co_u32_e32 v105, vcc, v31, v3, vcc
	v_add_co_u32_e32 v110, vcc, s42, v2
	v_and_b32_e32 v111, 0x3ff, v0
	v_mov_b32_e32 v4, 0
	v_addc_co_u32_e32 v107, vcc, v16, v3, vcc
	v_add_u32_e32 v2, s33, v111
	v_mov_b32_e32 v3, v4
	v_lshlrev_b64 v[112:113], 3, v[2:3]
	v_mbcnt_lo_u32_b32 v2, -1, 0
	s_mul_i32 s0, s39, s7
	s_mul_hi_u32 s1, s38, s7
	v_mbcnt_hi_u32_b32 v2, -1, v2
	v_mul_lo_u32 v20, s39, v18
	v_mul_lo_u32 v23, s39, v21
	;; [unrolled: 1-line block ×3, first 2 shown]
	s_add_i32 s1, s1, s0
	s_mul_i32 s0, s38, s7
	v_lshlrev_b32_e32 v2, 2, v2
	v_add3_u32 v61, v20, v61, v19
	v_add3_u32 v63, v23, v63, v22
	v_add3_u32 v65, v26, v65, v25
	v_add3_u32 v77, v20, v77, v19
	v_add3_u32 v79, v23, v79, v22
	v_add3_u32 v81, v26, v81, v25
	s_mov_b32 s8, 0
	s_lshl_b64 s[26:27], s[0:1], 3
	v_and_b32_e32 v118, 0x100, v2
	v_pk_mov_b32 v[114:115], 0, 0
.LBB138_53:                             ; =>This Inner Loop Header: Depth=1
	v_pk_mov_b32 v[2:3], s[36:37], s[36:37] op_sel:[0,1]
	v_cmp_ge_i64_e32 vcc, s[24:25], v[2:3]
	v_mov_b32_e32 v2, s25
	v_add_co_u32_e64 v119, s[0:1], s24, v50
	v_addc_co_u32_e64 v120, s[0:1], 0, v2, s[0:1]
	s_cbranch_vccz .LBB138_75
; %bb.54:                               ;   in Loop: Header=BB138_53 Depth=1
	s_load_dword s0, s[2:3], 0xc
	v_pk_mov_b32 v[116:117], 0, 0
	s_waitcnt lgkmcnt(0)
	s_and_b32 s0, s0, 0xffff
	v_mad_u32_u24 v2, v109, s0, v111
	v_and_b32_e32 v2, 63, v2
	v_cmp_gt_u32_e32 vcc, 8, v2
	s_and_saveexec_b64 s[0:1], vcc
	s_cbranch_execz .LBB138_58
; %bb.55:                               ;   in Loop: Header=BB138_53 Depth=1
	v_add_co_u32_e32 v2, vcc, v119, v2
	v_addc_co_u32_e32 v3, vcc, 0, v120, vcc
	v_add_co_u32_e32 v2, vcc, 0xffffff01, v2
	v_addc_co_u32_e32 v3, vcc, -1, v3, vcc
	v_cmp_gt_i64_e32 vcc, s[36:37], v[2:3]
	v_pk_mov_b32 v[116:117], 0, 0
	s_and_saveexec_b64 s[10:11], vcc
	s_cbranch_execz .LBB138_57
; %bb.56:                               ;   in Loop: Header=BB138_53 Depth=1
	v_lshlrev_b64 v[2:3], 3, v[2:3]
	v_mov_b32_e32 v5, s29
	v_add_co_u32_e32 v2, vcc, s28, v2
	v_addc_co_u32_e32 v3, vcc, v5, v3, vcc
	global_load_dwordx2 v[116:117], v[2:3], off
.LBB138_57:                             ;   in Loop: Header=BB138_53 Depth=1
	s_or_b64 exec, exec, s[10:11]
.LBB138_58:                             ;   in Loop: Header=BB138_53 Depth=1
	s_or_b64 exec, exec, s[0:1]
	s_mov_b32 s22, s8
	s_mov_b32 s23, s8
	v_add_co_u32_e32 v2, vcc, 0xffffff01, v119
	s_mov_b32 s9, s8
	s_mov_b32 s10, s8
	;; [unrolled: 1-line block ×13, first 2 shown]
	v_pk_mov_b32 v[32:33], s[22:23], s[22:23] op_sel:[0,1]
	v_addc_co_u32_e32 v3, vcc, -1, v120, vcc
	v_pk_mov_b32 v[30:31], s[20:21], s[20:21] op_sel:[0,1]
	v_pk_mov_b32 v[28:29], s[18:19], s[18:19] op_sel:[0,1]
	v_pk_mov_b32 v[26:27], s[16:17], s[16:17] op_sel:[0,1]
	v_pk_mov_b32 v[24:25], s[14:15], s[14:15] op_sel:[0,1]
	v_pk_mov_b32 v[22:23], s[12:13], s[12:13] op_sel:[0,1]
	v_pk_mov_b32 v[20:21], s[10:11], s[10:11] op_sel:[0,1]
	v_pk_mov_b32 v[18:19], s[8:9], s[8:9] op_sel:[0,1]
	v_pk_mov_b32 v[48:49], v[32:33], v[32:33] op_sel:[0,1]
	v_cmp_gt_i64_e32 vcc, s[36:37], v[2:3]
	v_pk_mov_b32 v[46:47], v[30:31], v[30:31] op_sel:[0,1]
	v_pk_mov_b32 v[44:45], v[28:29], v[28:29] op_sel:[0,1]
	;; [unrolled: 1-line block ×7, first 2 shown]
	s_and_saveexec_b64 s[0:1], vcc
	s_cbranch_execz .LBB138_60
; %bb.59:                               ;   in Loop: Header=BB138_53 Depth=1
	v_add_co_u32_e32 v2, vcc, v66, v112
	v_addc_co_u32_e32 v3, vcc, v1, v113, vcc
	v_add_co_u32_e32 v6, vcc, v82, v112
	global_load_dwordx2 v[2:3], v[2:3], off
	v_addc_co_u32_e32 v7, vcc, v51, v113, vcc
	global_load_dwordx2 v[18:19], v[6:7], off
	v_mov_b32_e32 v16, v4
	v_mov_b32_e32 v17, v4
	;; [unrolled: 1-line block ×13, first 2 shown]
	s_waitcnt vmcnt(1)
	v_pk_mov_b32 v[48:49], v[16:17], v[16:17] op_sel:[0,1]
	v_mov_b32_e32 v20, v4
	v_mov_b32_e32 v21, v4
	;; [unrolled: 1-line block ×14, first 2 shown]
	v_pk_mov_b32 v[46:47], v[14:15], v[14:15] op_sel:[0,1]
	v_pk_mov_b32 v[44:45], v[12:13], v[12:13] op_sel:[0,1]
	;; [unrolled: 1-line block ×7, first 2 shown]
.LBB138_60:                             ;   in Loop: Header=BB138_53 Depth=1
	s_or_b64 exec, exec, s[0:1]
	v_add_co_u32_e32 v2, vcc, 0xffffff02, v119
	v_addc_co_u32_e32 v3, vcc, -1, v120, vcc
	v_cmp_gt_i64_e32 vcc, s[36:37], v[2:3]
	s_and_saveexec_b64 s[0:1], vcc
	s_cbranch_execz .LBB138_62
; %bb.61:                               ;   in Loop: Header=BB138_53 Depth=1
	v_add_co_u32_e32 v2, vcc, v108, v112
	v_addc_co_u32_e32 v3, vcc, v105, v113, vcc
	global_load_dwordx2 v[36:37], v[2:3], off
	v_add_co_u32_e32 v2, vcc, v110, v112
	v_addc_co_u32_e32 v3, vcc, v107, v113, vcc
	global_load_dwordx2 v[20:21], v[2:3], off
.LBB138_62:                             ;   in Loop: Header=BB138_53 Depth=1
	s_or_b64 exec, exec, s[0:1]
	v_add_co_u32_e32 v2, vcc, 0xffffff03, v119
	v_addc_co_u32_e32 v3, vcc, -1, v120, vcc
	v_cmp_gt_i64_e32 vcc, s[36:37], v[2:3]
	s_and_saveexec_b64 s[0:1], vcc
	s_cbranch_execz .LBB138_64
; %bb.63:                               ;   in Loop: Header=BB138_53 Depth=1
	v_add_co_u32_e32 v2, vcc, v104, v112
	v_addc_co_u32_e32 v3, vcc, v101, v113, vcc
	global_load_dwordx2 v[38:39], v[2:3], off
	v_add_co_u32_e32 v2, vcc, v106, v112
	v_addc_co_u32_e32 v3, vcc, v103, v113, vcc
	global_load_dwordx2 v[22:23], v[2:3], off
.LBB138_64:                             ;   in Loop: Header=BB138_53 Depth=1
	;; [unrolled: 14-line block ×7, first 2 shown]
	s_or_b64 exec, exec, s[0:1]
	s_waitcnt vmcnt(0)
	ds_bpermute_b32 v2, v118, v116
	ds_bpermute_b32 v3, v118, v117
	ds_bpermute_b32 v6, v118, v116 offset:4
	ds_bpermute_b32 v7, v118, v117 offset:4
	v_mul_f64 v[8:9], v[18:19], v[34:35]
	ds_bpermute_b32 v10, v118, v116 offset:12
	s_waitcnt lgkmcnt(3)
	v_fma_f64 v[2:3], v[8:9], v[2:3], v[114:115]
	v_mul_f64 v[8:9], v[20:21], v[36:37]
	s_waitcnt lgkmcnt(1)
	v_fmac_f64_e32 v[2:3], v[8:9], v[6:7]
	ds_bpermute_b32 v6, v118, v116 offset:8
	ds_bpermute_b32 v7, v118, v117 offset:8
	;; [unrolled: 1-line block ×5, first 2 shown]
	v_mul_f64 v[8:9], v[22:23], v[38:39]
	s_waitcnt lgkmcnt(3)
	v_fmac_f64_e32 v[2:3], v[8:9], v[6:7]
	v_mul_f64 v[6:7], v[24:25], v[40:41]
	s_waitcnt lgkmcnt(2)
	v_fmac_f64_e32 v[2:3], v[6:7], v[10:11]
	;; [unrolled: 3-line block ×3, first 2 shown]
	ds_bpermute_b32 v6, v118, v116 offset:20
	ds_bpermute_b32 v7, v118, v117 offset:20
	ds_bpermute_b32 v10, v118, v116 offset:24
	ds_bpermute_b32 v11, v118, v117 offset:24
	ds_bpermute_b32 v12, v118, v116 offset:28
	ds_bpermute_b32 v13, v118, v117 offset:28
	v_mul_f64 v[8:9], v[28:29], v[44:45]
	s_waitcnt lgkmcnt(4)
	v_fmac_f64_e32 v[2:3], v[8:9], v[6:7]
	v_mul_f64 v[6:7], v[30:31], v[46:47]
	s_waitcnt lgkmcnt(2)
	v_fmac_f64_e32 v[2:3], v[6:7], v[10:11]
	;; [unrolled: 3-line block ×3, first 2 shown]
	s_branch .LBB138_81
.LBB138_75:                             ;   in Loop: Header=BB138_53 Depth=1
                                        ; implicit-def: $vgpr2_vgpr3
	s_cbranch_execz .LBB138_81
; %bb.76:                               ;   in Loop: Header=BB138_53 Depth=1
	s_load_dword s0, s[2:3], 0x0
	s_waitcnt lgkmcnt(0)
	s_cmp_lt_u32 s6, s0
	s_cselect_b32 s0, 12, 18
	s_add_u32 s0, s2, s0
	s_addc_u32 s1, s3, 0
	global_load_ushort v2, v4, s[0:1]
	s_waitcnt vmcnt(0)
	v_mad_u32_u24 v2, v109, v2, v111
	v_and_b32_e32 v5, 63, v2
	v_cmp_gt_u32_e32 vcc, 8, v5
	v_pk_mov_b32 v[2:3], 0, 0
	s_and_saveexec_b64 s[0:1], vcc
	s_cbranch_execz .LBB138_80
; %bb.77:                               ;   in Loop: Header=BB138_53 Depth=1
	v_add_co_u32_e32 v2, vcc, v119, v5
	v_addc_co_u32_e32 v3, vcc, 0, v120, vcc
	v_add_co_u32_e32 v6, vcc, 0xffffff01, v2
	v_addc_co_u32_e32 v7, vcc, -1, v3, vcc
	v_cmp_gt_i64_e32 vcc, s[36:37], v[6:7]
	v_pk_mov_b32 v[2:3], 0, 0
	s_and_saveexec_b64 s[10:11], vcc
	s_cbranch_execz .LBB138_79
; %bb.78:                               ;   in Loop: Header=BB138_53 Depth=1
	v_lshlrev_b64 v[2:3], 3, v[6:7]
	v_mov_b32_e32 v5, s29
	v_add_co_u32_e32 v2, vcc, s28, v2
	v_addc_co_u32_e32 v3, vcc, v5, v3, vcc
	global_load_dwordx2 v[2:3], v[2:3], off
.LBB138_79:                             ;   in Loop: Header=BB138_53 Depth=1
	s_or_b64 exec, exec, s[10:11]
.LBB138_80:                             ;   in Loop: Header=BB138_53 Depth=1
	s_or_b64 exec, exec, s[0:1]
	v_add_co_u32_e32 v6, vcc, v66, v112
	v_addc_co_u32_e32 v7, vcc, v1, v113, vcc
	v_add_co_u32_e32 v8, vcc, v82, v112
	v_addc_co_u32_e32 v9, vcc, v51, v113, vcc
	;; [unrolled: 2-line block ×8, first 2 shown]
	v_add_co_u32_e32 v22, vcc, v58, v112
	global_load_dwordx2 v[6:7], v[6:7], off
	v_addc_co_u32_e32 v23, vcc, v59, v113, vcc
	global_load_dwordx2 v[8:9], v[8:9], off
	v_add_co_u32_e32 v24, vcc, v74, v112
	global_load_dwordx2 v[10:11], v[10:11], off
	v_addc_co_u32_e32 v25, vcc, v75, v113, vcc
	global_load_dwordx2 v[12:13], v[12:13], off
	v_add_co_u32_e32 v26, vcc, v60, v112
	v_addc_co_u32_e32 v27, vcc, v61, v113, vcc
	v_add_co_u32_e32 v28, vcc, v76, v112
	global_load_dwordx2 v[14:15], v[14:15], off
	v_addc_co_u32_e32 v29, vcc, v77, v113, vcc
	global_load_dwordx2 v[16:17], v[16:17], off
	v_add_co_u32_e32 v30, vcc, v62, v112
	global_load_dwordx2 v[18:19], v[18:19], off
	v_addc_co_u32_e32 v31, vcc, v63, v113, vcc
	global_load_dwordx2 v[20:21], v[20:21], off
	;; [unrolled: 4-line block ×3, first 2 shown]
	v_add_co_u32_e32 v34, vcc, v64, v112
	v_addc_co_u32_e32 v35, vcc, v65, v113, vcc
	global_load_dwordx2 v[26:27], v[26:27], off
	v_add_co_u32_e32 v36, vcc, v80, v112
	global_load_dwordx2 v[28:29], v[28:29], off
	v_addc_co_u32_e32 v37, vcc, v81, v113, vcc
	global_load_dwordx2 v[30:31], v[30:31], off
	s_waitcnt vmcnt(13)
	ds_bpermute_b32 v38, v118, v2
	global_load_dwordx2 v[32:33], v[32:33], off
	ds_bpermute_b32 v39, v118, v3
	global_load_dwordx2 v[34:35], v[34:35], off
	ds_bpermute_b32 v40, v118, v2 offset:4
	global_load_dwordx2 v[36:37], v[36:37], off
	ds_bpermute_b32 v41, v118, v3 offset:4
	s_waitcnt vmcnt(14)
	v_mul_f64 v[6:7], v[6:7], v[8:9]
	s_waitcnt lgkmcnt(2)
	v_fmac_f64_e32 v[114:115], v[6:7], v[38:39]
	s_waitcnt vmcnt(12)
	v_mul_f64 v[6:7], v[10:11], v[12:13]
	s_waitcnt lgkmcnt(0)
	v_fmac_f64_e32 v[114:115], v[6:7], v[40:41]
	ds_bpermute_b32 v6, v118, v2 offset:8
	ds_bpermute_b32 v7, v118, v3 offset:8
	;; [unrolled: 1-line block ×6, first 2 shown]
	s_waitcnt vmcnt(10)
	v_mul_f64 v[8:9], v[14:15], v[16:17]
	s_waitcnt lgkmcnt(4)
	v_fmac_f64_e32 v[114:115], v[8:9], v[6:7]
	s_waitcnt vmcnt(8)
	v_mul_f64 v[6:7], v[18:19], v[20:21]
	s_waitcnt lgkmcnt(2)
	v_fmac_f64_e32 v[114:115], v[6:7], v[10:11]
	ds_bpermute_b32 v10, v118, v2 offset:24
	ds_bpermute_b32 v11, v118, v3 offset:24
	s_waitcnt vmcnt(6)
	v_mul_f64 v[6:7], v[22:23], v[24:25]
	s_waitcnt lgkmcnt(2)
	v_fmac_f64_e32 v[114:115], v[6:7], v[12:13]
	ds_bpermute_b32 v6, v118, v2 offset:20
	ds_bpermute_b32 v7, v118, v3 offset:20
	;; [unrolled: 1-line block ×4, first 2 shown]
	s_waitcnt vmcnt(4)
	v_mul_f64 v[8:9], v[26:27], v[28:29]
	s_waitcnt lgkmcnt(2)
	v_fmac_f64_e32 v[114:115], v[8:9], v[6:7]
	s_waitcnt vmcnt(2)
	v_mul_f64 v[6:7], v[30:31], v[32:33]
	v_fmac_f64_e32 v[114:115], v[6:7], v[10:11]
	s_waitcnt vmcnt(0)
	v_mul_f64 v[6:7], v[34:35], v[36:37]
	s_waitcnt lgkmcnt(0)
	v_fmac_f64_e32 v[114:115], v[6:7], v[2:3]
	v_pk_mov_b32 v[2:3], v[114:115], v[114:115] op_sel:[0,1]
.LBB138_81:                             ;   in Loop: Header=BB138_53 Depth=1
	v_mov_b32_e32 v5, s27
	v_add_co_u32_e32 v52, vcc, s26, v52
	v_addc_co_u32_e32 v53, vcc, v53, v5, vcc
	v_add_co_u32_e32 v54, vcc, s26, v54
	v_addc_co_u32_e32 v55, vcc, v55, v5, vcc
	;; [unrolled: 2-line block ×29, first 2 shown]
	s_add_u32 s30, s30, s7
	v_add_co_u32_e32 v110, vcc, s26, v110
	s_addc_u32 s31, s31, 0
	v_addc_co_u32_e32 v107, vcc, v107, v5, vcc
	v_pk_mov_b32 v[6:7], s[36:37], s[36:37] op_sel:[0,1]
	s_add_u32 s24, s24, s7
	v_cmp_ge_i64_e32 vcc, s[30:31], v[6:7]
	s_addc_u32 s25, s25, 0
	s_cbranch_vccnz .LBB138_83
; %bb.82:                               ;   in Loop: Header=BB138_53 Depth=1
	v_pk_mov_b32 v[114:115], v[2:3], v[2:3] op_sel:[0,1]
	s_branch .LBB138_53
.LBB138_83:
	v_and_b32_e32 v1, 0x3ff, v0
	v_bfe_u32 v0, v0, 10, 10
	v_mad_u32_u24 v4, v0, 33, v1
	v_lshl_add_u32 v5, v4, 3, 0
	ds_write_b64 v5, v[2:3]
	v_mov_b32_e32 v2, 0
	v_mov_b32_e32 v3, v2
	ds_write_b64 v5, v[2:3] offset:8448
	v_sub_u32_e32 v3, v4, v0
	s_movk_i32 s0, 0x800
	s_mov_b32 s7, 0
	v_cmp_gt_u32_e32 vcc, s0, v3
	s_waitcnt lgkmcnt(0)
	s_barrier
	s_and_saveexec_b64 s[0:1], vcc
	s_cbranch_execz .LBB138_90
; %bb.84:
	v_mbcnt_lo_u32_b32 v4, -1, 0
	v_mbcnt_hi_u32_b32 v4, -1, v4
	v_lshrrev_b32_e32 v0, 6, v3
	v_and_b32_e32 v3, 63, v3
	v_and_b32_e32 v5, 64, v4
	v_cmp_gt_u32_e64 s[0:1], 32, v3
	v_add_u32_e32 v5, 64, v5
	v_cmp_ne_u32_e64 s[2:3], 0, v1
	v_mul_u32_u24_e32 v1, 0x108, v3
	v_xor_b32_e32 v3, 16, v4
	v_cmp_lt_i32_e32 vcc, v3, v5
	v_cndmask_b32_e32 v3, v4, v3, vcc
	v_lshlrev_b32_e32 v6, 2, v3
	v_xor_b32_e32 v3, 8, v4
	v_cmp_lt_i32_e32 vcc, v3, v5
	v_cndmask_b32_e32 v3, v4, v3, vcc
	v_lshlrev_b32_e32 v7, 2, v3
	v_xor_b32_e32 v3, 4, v4
	s_load_dwordx2 s[4:5], s[4:5], 0x30
	v_cmp_lt_i32_e32 vcc, v3, v5
	v_cndmask_b32_e32 v3, v4, v3, vcc
	v_lshlrev_b32_e32 v8, 2, v3
	v_xor_b32_e32 v3, 2, v4
	v_cmp_lt_i32_e32 vcc, v3, v5
	s_lshl_b64 s[8:9], s[6:7], 5
	v_cndmask_b32_e32 v3, v4, v3, vcc
	s_waitcnt lgkmcnt(0)
	s_cmp_eq_u64 s[4:5], 0
	v_lshlrev_b32_e32 v9, 2, v3
	v_xor_b32_e32 v3, 1, v4
	s_cselect_b64 s[12:13], -1, 0
	v_cmp_lt_i32_e32 vcc, v3, v5
	s_lshl_b64 s[6:7], s[6:7], 8
	v_cndmask_b32_e32 v3, v4, v3, vcc
	s_add_u32 s4, s4, s6
	v_lshlrev_b32_e32 v10, 2, v3
	v_lshlrev_b32_e32 v3, 3, v0
	s_addc_u32 s5, s5, s7
	v_add3_u32 v11, v1, v3, 0
	v_mov_b32_e32 v1, v2
	v_mov_b32_e32 v4, s5
	v_add_co_u32_e32 v2, vcc, s4, v3
	s_mov_b64 s[10:11], 0
	v_addc_co_u32_e32 v3, vcc, 0, v4, vcc
	v_mov_b32_e32 v12, s9
                                        ; implicit-def: $vgpr4_vgpr5
	s_branch .LBB138_86
.LBB138_85:                             ;   in Loop: Header=BB138_86 Depth=1
	s_or_b64 exec, exec, s[4:5]
	v_add_co_u32_e32 v0, vcc, 16, v0
	v_addc_co_u32_e32 v1, vcc, 0, v1, vcc
	v_add_u32_e32 v13, -16, v0
	v_add_co_u32_e32 v2, vcc, 0x80, v2
	v_cmp_lt_u32_e64 s[4:5], 15, v13
	v_add_u32_e32 v11, 0x80, v11
	s_or_b64 s[10:11], s[4:5], s[10:11]
	v_addc_co_u32_e32 v3, vcc, 0, v3, vcc
	s_andn2_b64 exec, exec, s[10:11]
	s_cbranch_execz .LBB138_90
.LBB138_86:                             ; =>This Inner Loop Header: Depth=1
	s_and_saveexec_b64 s[4:5], s[0:1]
	s_cbranch_execz .LBB138_88
; %bb.87:                               ;   in Loop: Header=BB138_86 Depth=1
	ds_read_b64 v[4:5], v11
.LBB138_88:                             ;   in Loop: Header=BB138_86 Depth=1
	s_or_b64 exec, exec, s[4:5]
	s_waitcnt lgkmcnt(0)
	ds_bpermute_b32 v14, v6, v4
	ds_bpermute_b32 v15, v6, v5
	v_add_co_u32_e32 v16, vcc, s8, v0
	v_addc_co_u32_e32 v17, vcc, v12, v1, vcc
	s_waitcnt lgkmcnt(0)
	v_add_f64 v[4:5], v[4:5], v[14:15]
	ds_bpermute_b32 v14, v7, v4
	ds_bpermute_b32 v15, v7, v5
	v_cmp_le_i64_e32 vcc, s[38:39], v[16:17]
	s_or_b64 s[4:5], s[2:3], vcc
	s_or_b64 s[4:5], s[12:13], s[4:5]
	s_xor_b64 s[6:7], s[4:5], -1
	s_waitcnt lgkmcnt(0)
	v_add_f64 v[4:5], v[4:5], v[14:15]
	ds_bpermute_b32 v14, v8, v4
	ds_bpermute_b32 v15, v8, v5
	s_waitcnt lgkmcnt(0)
	v_add_f64 v[4:5], v[4:5], v[14:15]
	ds_bpermute_b32 v14, v9, v4
	ds_bpermute_b32 v15, v9, v5
	;; [unrolled: 4-line block ×3, first 2 shown]
	s_waitcnt lgkmcnt(0)
	v_add_f64 v[4:5], v[4:5], v[14:15]
	s_and_saveexec_b64 s[4:5], s[6:7]
	s_cbranch_execz .LBB138_85
; %bb.89:                               ;   in Loop: Header=BB138_86 Depth=1
	global_store_dwordx2 v[2:3], v[4:5], off
	s_branch .LBB138_85
.LBB138_90:
	s_endpgm
	.section	.rodata,"a",@progbits
	.p2align	6, 0x0
	.amdhsa_kernel _ZN2at6native12_GLOBAL__N_135GammaBetaBackwardCUDAKernelTemplateIddLj32ELj32ELj256ELb0ELb0ELb1EEEvllPKT_S5_PKT0_S8_PS3_S9_
		.amdhsa_group_segment_fixed_size 0
		.amdhsa_private_segment_fixed_size 0
		.amdhsa_kernarg_size 320
		.amdhsa_user_sgpr_count 6
		.amdhsa_user_sgpr_private_segment_buffer 1
		.amdhsa_user_sgpr_dispatch_ptr 0
		.amdhsa_user_sgpr_queue_ptr 0
		.amdhsa_user_sgpr_kernarg_segment_ptr 1
		.amdhsa_user_sgpr_dispatch_id 0
		.amdhsa_user_sgpr_flat_scratch_init 0
		.amdhsa_user_sgpr_kernarg_preload_length 0
		.amdhsa_user_sgpr_kernarg_preload_offset 0
		.amdhsa_user_sgpr_private_segment_size 0
		.amdhsa_uses_dynamic_stack 0
		.amdhsa_system_sgpr_private_segment_wavefront_offset 0
		.amdhsa_system_sgpr_workgroup_id_x 1
		.amdhsa_system_sgpr_workgroup_id_y 1
		.amdhsa_system_sgpr_workgroup_id_z 0
		.amdhsa_system_sgpr_workgroup_info 0
		.amdhsa_system_vgpr_workitem_id 1
		.amdhsa_next_free_vgpr 121
		.amdhsa_next_free_sgpr 50
		.amdhsa_accum_offset 124
		.amdhsa_reserve_vcc 1
		.amdhsa_reserve_flat_scratch 0
		.amdhsa_float_round_mode_32 0
		.amdhsa_float_round_mode_16_64 0
		.amdhsa_float_denorm_mode_32 3
		.amdhsa_float_denorm_mode_16_64 3
		.amdhsa_dx10_clamp 1
		.amdhsa_ieee_mode 1
		.amdhsa_fp16_overflow 0
		.amdhsa_tg_split 0
		.amdhsa_exception_fp_ieee_invalid_op 0
		.amdhsa_exception_fp_denorm_src 0
		.amdhsa_exception_fp_ieee_div_zero 0
		.amdhsa_exception_fp_ieee_overflow 0
		.amdhsa_exception_fp_ieee_underflow 0
		.amdhsa_exception_fp_ieee_inexact 0
		.amdhsa_exception_int_div_zero 0
	.end_amdhsa_kernel
	.section	.text._ZN2at6native12_GLOBAL__N_135GammaBetaBackwardCUDAKernelTemplateIddLj32ELj32ELj256ELb0ELb0ELb1EEEvllPKT_S5_PKT0_S8_PS3_S9_,"axG",@progbits,_ZN2at6native12_GLOBAL__N_135GammaBetaBackwardCUDAKernelTemplateIddLj32ELj32ELj256ELb0ELb0ELb1EEEvllPKT_S5_PKT0_S8_PS3_S9_,comdat
.Lfunc_end138:
	.size	_ZN2at6native12_GLOBAL__N_135GammaBetaBackwardCUDAKernelTemplateIddLj32ELj32ELj256ELb0ELb0ELb1EEEvllPKT_S5_PKT0_S8_PS3_S9_, .Lfunc_end138-_ZN2at6native12_GLOBAL__N_135GammaBetaBackwardCUDAKernelTemplateIddLj32ELj32ELj256ELb0ELb0ELb1EEEvllPKT_S5_PKT0_S8_PS3_S9_
                                        ; -- End function
	.section	.AMDGPU.csdata,"",@progbits
; Kernel info:
; codeLenInByte = 7380
; NumSgprs: 54
; NumVgprs: 121
; NumAgprs: 0
; TotalNumVgprs: 121
; ScratchSize: 0
; MemoryBound: 1
; FloatMode: 240
; IeeeMode: 1
; LDSByteSize: 0 bytes/workgroup (compile time only)
; SGPRBlocks: 6
; VGPRBlocks: 15
; NumSGPRsForWavesPerEU: 54
; NumVGPRsForWavesPerEU: 121
; AccumOffset: 124
; Occupancy: 4
; WaveLimiterHint : 0
; COMPUTE_PGM_RSRC2:SCRATCH_EN: 0
; COMPUTE_PGM_RSRC2:USER_SGPR: 6
; COMPUTE_PGM_RSRC2:TRAP_HANDLER: 0
; COMPUTE_PGM_RSRC2:TGID_X_EN: 1
; COMPUTE_PGM_RSRC2:TGID_Y_EN: 1
; COMPUTE_PGM_RSRC2:TGID_Z_EN: 0
; COMPUTE_PGM_RSRC2:TIDIG_COMP_CNT: 1
; COMPUTE_PGM_RSRC3_GFX90A:ACCUM_OFFSET: 30
; COMPUTE_PGM_RSRC3_GFX90A:TG_SPLIT: 0
	.section	.text._ZN2at6native12_GLOBAL__N_118cuComputeGradInputIffLb1EEEvPKT_S5_llPKT0_S8_S5_PS3_,"axG",@progbits,_ZN2at6native12_GLOBAL__N_118cuComputeGradInputIffLb1EEEvPKT_S5_llPKT0_S8_S5_PS3_,comdat
	.globl	_ZN2at6native12_GLOBAL__N_118cuComputeGradInputIffLb1EEEvPKT_S5_llPKT0_S8_S5_PS3_ ; -- Begin function _ZN2at6native12_GLOBAL__N_118cuComputeGradInputIffLb1EEEvPKT_S5_llPKT0_S8_S5_PS3_
	.p2align	8
	.type	_ZN2at6native12_GLOBAL__N_118cuComputeGradInputIffLb1EEEvPKT_S5_llPKT0_S8_S5_PS3_,@function
_ZN2at6native12_GLOBAL__N_118cuComputeGradInputIffLb1EEEvPKT_S5_llPKT0_S8_S5_PS3_: ; @_ZN2at6native12_GLOBAL__N_118cuComputeGradInputIffLb1EEEvPKT_S5_llPKT0_S8_S5_PS3_
; %bb.0:
	s_load_dwordx4 s[16:19], s[4:5], 0x10
	s_mov_b32 s14, s7
	s_ashr_i32 s15, s7, 31
	s_waitcnt lgkmcnt(0)
	v_pk_mov_b32 v[2:3], s[16:17], s[16:17] op_sel:[0,1]
	v_cmp_ge_i64_e32 vcc, s[14:15], v[2:3]
	s_cbranch_vccnz .LBB139_49
; %bb.1:
	s_load_dword s10, s[4:5], 0x4c
	s_load_dwordx4 s[20:23], s[4:5], 0x30
	s_load_dword s33, s[4:5], 0x44
	s_load_dwordx4 s[24:27], s[4:5], 0x0
	s_load_dwordx2 s[28:29], s[4:5], 0x28
	s_waitcnt lgkmcnt(0)
	s_lshr_b32 s40, s10, 16
	s_and_b32 s41, s10, 0xffff
	s_cmp_lg_u64 s[20:21], 0
	s_cselect_b64 s[6:7], -1, 0
	s_xor_b32 s1, s18, s19
	s_flbit_i32 s0, s19
	s_ashr_i32 s1, s1, 31
	s_add_i32 s0, s0, -1
	s_add_i32 s1, s1, 32
	s_min_u32 s2, s0, s1
	s_lshl_b64 s[0:1], s[18:19], s2
	s_min_u32 s0, s0, 1
	s_or_b32 s0, s1, s0
	v_cvt_f32_i32_e32 v1, s0
	s_sub_i32 s0, 32, s2
	v_and_b32_e32 v12, 0x3ff, v0
	v_bfe_u32 v13, v0, 10, 10
	v_ldexp_f32 v15, v1, s0
	v_div_scale_f32 v1, s[0:1], v15, v15, 1.0
	v_rcp_f32_e32 v2, v1
	s_mul_i32 s42, s40, s41
	v_mad_u32_u24 v0, v13, s41, v12
	s_ashr_i32 s43, s42, 31
	v_fma_f32 v3, -v1, v2, 1.0
	v_fmac_f32_e32 v2, v3, v2
	v_div_scale_f32 v3, vcc, 1.0, v15, 1.0
	v_mul_f32_e32 v4, v3, v2
	v_fma_f32 v5, -v1, v4, v3
	v_fmac_f32_e32 v4, v5, v2
	v_fma_f32 v1, -v1, v4, v3
	v_div_fmas_f32 v1, v1, v2, v4
	v_add_u32_e32 v2, s42, v0
	v_ashrrev_i32_e32 v3, 31, v2
	v_mov_b32_e32 v4, s43
	v_subrev_co_u32_e32 v2, vcc, s42, v2
	v_mbcnt_lo_u32_b32 v8, -1, 0
	v_subb_co_u32_e32 v3, vcc, v3, v4, vcc
	v_cndmask_b32_e64 v4, 0, 1, s[6:7]
	v_cmp_gt_i64_e64 s[6:7], s[18:19], 0
	v_mbcnt_hi_u32_b32 v18, -1, v8
	v_div_fixup_f32 v17, v1, v15, 1.0
	v_mov_b32_e32 v1, 0
	v_cndmask_b32_e64 v5, 0, 1, s[6:7]
	v_and_b32_e32 v8, 64, v18
	v_lshl_add_u32 v14, v0, 3, 0
	v_cmp_eq_u32_e64 s[0:1], 0, v13
	v_cmp_ne_u32_e64 s[2:3], 0, v13
	v_lshl_add_u32 v16, v12, 3, 0
	v_cmp_gt_i64_e64 s[4:5], s[18:19], v[0:1]
	v_cmp_ne_u32_e64 s[6:7], 1, v4
	v_cmp_ne_u32_e64 s[8:9], 1, v5
	v_pk_mov_b32 v[4:5], s[18:19], s[18:19] op_sel:[0,1]
	v_pk_mov_b32 v[6:7], s[18:19], s[18:19] op_sel:[0,1]
	v_cmp_gt_u16_e64 s[30:31], s10, 1
	v_add_u32_e32 v19, 64, v8
	v_cmp_gt_u16_e64 s[34:35], s40, 1
	s_branch .LBB139_4
.LBB139_2:                              ;   in Loop: Header=BB139_4 Depth=1
	s_or_b64 exec, exec, s[12:13]
.LBB139_3:                              ;   in Loop: Header=BB139_4 Depth=1
	s_add_i32 s14, s33, s14
	s_ashr_i32 s15, s14, 31
	v_pk_mov_b32 v[8:9], s[16:17], s[16:17] op_sel:[0,1]
	v_cmp_ge_i64_e32 vcc, s[14:15], v[8:9]
	s_barrier
	s_cbranch_vccnz .LBB139_49
.LBB139_4:                              ; =>This Loop Header: Depth=1
                                        ;     Child Loop BB139_8 Depth 2
                                        ;     Child Loop BB139_20 Depth 2
	;; [unrolled: 1-line block ×6, first 2 shown]
	s_mul_i32 s10, s14, s19
	s_mul_hi_u32 s11, s14, s18
	s_add_i32 s10, s11, s10
	s_mul_i32 s11, s15, s18
	s_add_i32 s11, s10, s11
	s_lshl_b64 s[12:13], s[14:15], 2
	s_add_u32 s12, s28, s12
	s_mul_i32 s10, s14, s18
	s_addc_u32 s13, s29, s13
	s_load_dword s15, s[12:13], 0x0
	s_lshl_b64 s[36:37], s[10:11], 2
	s_add_u32 s44, s26, s36
	s_addc_u32 s45, s27, s37
	s_add_u32 s46, s24, s36
	s_addc_u32 s47, s25, s37
	s_and_b64 vcc, exec, s[6:7]
	s_cbranch_vccnz .LBB139_14
; %bb.5:                                ;   in Loop: Header=BB139_4 Depth=1
	s_and_b64 vcc, exec, s[8:9]
	s_cbranch_vccnz .LBB139_15
; %bb.6:                                ;   in Loop: Header=BB139_4 Depth=1
	s_mov_b32 s12, 0
	v_mov_b32_e32 v20, 0
	s_branch .LBB139_8
.LBB139_7:                              ;   in Loop: Header=BB139_8 Depth=2
	s_or_b64 exec, exec, s[10:11]
	s_add_i32 s12, s12, s42
	s_waitcnt vmcnt(0)
	v_mul_f32_e32 v8, v10, v21
	s_ashr_i32 s13, s12, 31
	v_mul_f32_e32 v8, v11, v8
	v_cmp_ge_i64_e32 vcc, s[12:13], v[4:5]
	s_waitcnt lgkmcnt(0)
	v_fmac_f32_e32 v20, s15, v8
	s_cbranch_vccnz .LBB139_16
.LBB139_8:                              ;   Parent Loop BB139_4 Depth=1
                                        ; =>  This Inner Loop Header: Depth=2
	v_add_u32_e32 v8, s12, v0
	v_ashrrev_i32_e32 v9, 31, v8
	v_cmp_gt_i64_e32 vcc, s[18:19], v[8:9]
	v_lshlrev_b64 v[8:9], 2, v[8:9]
	v_mov_b32_e32 v10, 0
	s_and_saveexec_b64 s[38:39], vcc
	s_cbranch_execz .LBB139_10
; %bb.9:                                ;   in Loop: Header=BB139_8 Depth=2
	v_mov_b32_e32 v11, s21
	v_add_co_u32_e64 v10, s[10:11], s20, v8
	v_addc_co_u32_e64 v11, s[10:11], v11, v9, s[10:11]
	global_load_dword v10, v[10:11], off
.LBB139_10:                             ;   in Loop: Header=BB139_8 Depth=2
	s_or_b64 exec, exec, s[38:39]
	v_mov_b32_e32 v21, 0
	v_mov_b32_e32 v11, 0
	s_and_saveexec_b64 s[38:39], vcc
	s_cbranch_execz .LBB139_12
; %bb.11:                               ;   in Loop: Header=BB139_8 Depth=2
	v_mov_b32_e32 v11, s45
	v_add_co_u32_e64 v22, s[10:11], s44, v8
	v_addc_co_u32_e64 v23, s[10:11], v11, v9, s[10:11]
	global_load_dword v11, v[22:23], off
.LBB139_12:                             ;   in Loop: Header=BB139_8 Depth=2
	s_or_b64 exec, exec, s[38:39]
	s_and_saveexec_b64 s[10:11], vcc
	s_cbranch_execz .LBB139_7
; %bb.13:                               ;   in Loop: Header=BB139_8 Depth=2
	v_mov_b32_e32 v21, s47
	v_add_co_u32_e32 v8, vcc, s46, v8
	v_addc_co_u32_e32 v9, vcc, v21, v9, vcc
	global_load_dword v21, v[8:9], off
	s_branch .LBB139_7
.LBB139_14:                             ;   in Loop: Header=BB139_4 Depth=1
                                        ; implicit-def: $vgpr20
	s_branch .LBB139_17
.LBB139_15:                             ;   in Loop: Header=BB139_4 Depth=1
	v_mov_b32_e32 v20, 0
.LBB139_16:                             ;   in Loop: Header=BB139_4 Depth=1
	s_cbranch_execnz .LBB139_25
.LBB139_17:                             ;   in Loop: Header=BB139_4 Depth=1
	s_and_b64 vcc, exec, s[8:9]
	s_cbranch_vccnz .LBB139_24
; %bb.18:                               ;   in Loop: Header=BB139_4 Depth=1
	s_mov_b32 s12, 0
	v_mov_b32_e32 v20, 0
	s_branch .LBB139_20
.LBB139_19:                             ;   in Loop: Header=BB139_20 Depth=2
	s_or_b64 exec, exec, s[10:11]
	s_add_i32 s12, s12, s42
	s_ashr_i32 s13, s12, 31
	s_waitcnt vmcnt(0)
	v_mul_f32_e32 v8, v10, v11
	v_cmp_ge_i64_e32 vcc, s[12:13], v[6:7]
	s_waitcnt lgkmcnt(0)
	v_fmac_f32_e32 v20, s15, v8
	s_cbranch_vccnz .LBB139_25
.LBB139_20:                             ;   Parent Loop BB139_4 Depth=1
                                        ; =>  This Inner Loop Header: Depth=2
	v_add_u32_e32 v8, s12, v0
	v_ashrrev_i32_e32 v9, 31, v8
	v_cmp_gt_i64_e32 vcc, s[18:19], v[8:9]
	v_lshlrev_b64 v[8:9], 2, v[8:9]
	v_mov_b32_e32 v10, 0
	s_and_saveexec_b64 s[38:39], vcc
	s_cbranch_execz .LBB139_22
; %bb.21:                               ;   in Loop: Header=BB139_20 Depth=2
	v_mov_b32_e32 v11, s45
	v_add_co_u32_e64 v10, s[10:11], s44, v8
	v_addc_co_u32_e64 v11, s[10:11], v11, v9, s[10:11]
	global_load_dword v10, v[10:11], off
.LBB139_22:                             ;   in Loop: Header=BB139_20 Depth=2
	s_or_b64 exec, exec, s[38:39]
	v_mov_b32_e32 v11, 0
	s_and_saveexec_b64 s[10:11], vcc
	s_cbranch_execz .LBB139_19
; %bb.23:                               ;   in Loop: Header=BB139_20 Depth=2
	v_mov_b32_e32 v11, s47
	v_add_co_u32_e32 v8, vcc, s46, v8
	v_addc_co_u32_e32 v9, vcc, v11, v9, vcc
	global_load_dword v11, v[8:9], off
	s_branch .LBB139_19
.LBB139_24:                             ;   in Loop: Header=BB139_4 Depth=1
	v_mov_b32_e32 v20, 0
.LBB139_25:                             ;   in Loop: Header=BB139_4 Depth=1
	s_andn2_b64 vcc, exec, s[30:31]
	s_cbranch_vccnz .LBB139_28
; %bb.26:                               ;   in Loop: Header=BB139_4 Depth=1
	s_mov_b32 s10, s41
.LBB139_27:                             ;   Parent Loop BB139_4 Depth=1
                                        ; =>  This Inner Loop Header: Depth=2
	s_lshr_b32 s11, s10, 1
	v_xor_b32_e32 v8, s11, v18
	v_cmp_lt_i32_e32 vcc, v8, v19
	v_cndmask_b32_e32 v8, v18, v8, vcc
	v_lshlrev_b32_e32 v8, 2, v8
	ds_bpermute_b32 v8, v8, v20
	s_cmp_lt_u32 s10, 4
	s_mov_b32 s10, s11
	s_waitcnt lgkmcnt(0)
	v_add_f32_e32 v20, v20, v8
	s_cbranch_scc0 .LBB139_27
.LBB139_28:                             ;   in Loop: Header=BB139_4 Depth=1
	s_andn2_b64 vcc, exec, s[34:35]
	s_mov_b32 s38, s40
	s_cbranch_vccnz .LBB139_40
.LBB139_29:                             ;   Parent Loop BB139_4 Depth=1
                                        ; =>  This Inner Loop Header: Depth=2
	s_lshr_b32 s39, s38, 1
	s_and_b32 s12, s38, 0xfffe
	v_cmp_le_u32_e64 s[10:11], s39, v13
	v_cmp_gt_u32_e64 s[12:13], s12, v13
	v_cmp_gt_u32_e32 vcc, s39, v13
	s_and_b64 s[12:13], s[10:11], s[12:13]
	s_and_saveexec_b64 s[10:11], s[12:13]
	s_cbranch_execz .LBB139_31
; %bb.30:                               ;   in Loop: Header=BB139_29 Depth=2
	v_subrev_u32_e32 v8, s39, v13
	v_mad_i32_i24 v8, v8, s41, v12
	v_lshl_add_u32 v8, v8, 3, 0
	ds_write_b32 v8, v20 offset:4
.LBB139_31:                             ;   in Loop: Header=BB139_29 Depth=2
	s_or_b64 exec, exec, s[10:11]
	s_waitcnt lgkmcnt(0)
	s_barrier
	s_and_saveexec_b64 s[10:11], vcc
	s_cbranch_execz .LBB139_33
; %bb.32:                               ;   in Loop: Header=BB139_29 Depth=2
	ds_read_b32 v8, v14 offset:4
	s_waitcnt lgkmcnt(0)
	v_add_f32_e32 v20, v20, v8
.LBB139_33:                             ;   in Loop: Header=BB139_29 Depth=2
	s_or_b64 exec, exec, s[10:11]
	s_cmp_lt_u32 s38, 4
	s_barrier
	s_cbranch_scc1 .LBB139_35
; %bb.34:                               ;   in Loop: Header=BB139_29 Depth=2
	s_mov_b32 s38, s39
	s_branch .LBB139_29
.LBB139_35:                             ;   in Loop: Header=BB139_4 Depth=1
	s_and_saveexec_b64 s[10:11], s[0:1]
	s_cbranch_execz .LBB139_37
; %bb.36:                               ;   in Loop: Header=BB139_4 Depth=1
	ds_write_b32 v16, v20 offset:4
.LBB139_37:                             ;   in Loop: Header=BB139_4 Depth=1
	s_or_b64 exec, exec, s[10:11]
	s_waitcnt lgkmcnt(0)
	s_barrier
	s_and_saveexec_b64 s[10:11], s[2:3]
	s_cbranch_execz .LBB139_39
; %bb.38:                               ;   in Loop: Header=BB139_4 Depth=1
	ds_read_b32 v20, v16 offset:4
.LBB139_39:                             ;   in Loop: Header=BB139_4 Depth=1
	s_or_b64 exec, exec, s[10:11]
.LBB139_40:                             ;   in Loop: Header=BB139_4 Depth=1
	s_add_u32 s38, s22, s36
	s_addc_u32 s39, s23, s37
	s_and_b64 vcc, exec, s[6:7]
	s_waitcnt lgkmcnt(0)
	v_mul_f32_e32 v21, s15, v17
	s_cbranch_vccnz .LBB139_45
; %bb.41:                               ;   in Loop: Header=BB139_4 Depth=1
	s_and_saveexec_b64 s[12:13], s[4:5]
	s_cbranch_execz .LBB139_44
; %bb.42:                               ;   in Loop: Header=BB139_4 Depth=1
	s_mov_b64 s[36:37], 0
	v_pk_mov_b32 v[8:9], v[2:3], v[2:3] op_sel:[0,1]
	v_pk_mov_b32 v[10:11], v[0:1], v[0:1] op_sel:[0,1]
.LBB139_43:                             ;   Parent Loop BB139_4 Depth=1
                                        ; =>  This Inner Loop Header: Depth=2
	v_lshlrev_b64 v[10:11], 2, v[10:11]
	v_mov_b32_e32 v23, s45
	v_add_co_u32_e32 v22, vcc, s44, v10
	v_addc_co_u32_e32 v23, vcc, v23, v11, vcc
	v_mov_b32_e32 v25, s47
	v_add_co_u32_e32 v24, vcc, s46, v10
	v_addc_co_u32_e32 v25, vcc, v25, v11, vcc
	;; [unrolled: 3-line block ×3, first 2 shown]
	global_load_dword v28, v[22:23], off
	global_load_dword v29, v[24:25], off
	;; [unrolled: 1-line block ×3, first 2 shown]
	v_mov_b32_e32 v24, s43
	v_add_co_u32_e32 v8, vcc, s42, v8
	v_addc_co_u32_e32 v9, vcc, v9, v24, vcc
	v_mov_b32_e32 v23, s39
	v_add_co_u32_e64 v22, s[10:11], s38, v10
	v_cmp_le_i64_e32 vcc, s[18:19], v[8:9]
	v_addc_co_u32_e64 v23, s[10:11], v23, v11, s[10:11]
	v_ashrrev_i32_e32 v11, 31, v8
	v_mov_b32_e32 v10, v8
	s_or_b64 s[36:37], vcc, s[36:37]
	s_waitcnt vmcnt(2)
	v_mul_f32_e32 v25, s15, v28
	s_waitcnt vmcnt(1)
	v_mul_f32_e32 v24, v29, v15
	v_mul_f32_e32 v25, v20, v25
	s_waitcnt vmcnt(0)
	v_fma_f32 v24, v24, v30, -v25
	v_mul_f32_e32 v24, v21, v24
	global_store_dword v[22:23], v24, off
	s_andn2_b64 exec, exec, s[36:37]
	s_cbranch_execnz .LBB139_43
.LBB139_44:                             ;   in Loop: Header=BB139_4 Depth=1
	s_or_b64 exec, exec, s[12:13]
	s_cbranch_execnz .LBB139_3
	s_branch .LBB139_46
.LBB139_45:                             ;   in Loop: Header=BB139_4 Depth=1
.LBB139_46:                             ;   in Loop: Header=BB139_4 Depth=1
	s_and_saveexec_b64 s[12:13], s[4:5]
	s_cbranch_execz .LBB139_2
; %bb.47:                               ;   in Loop: Header=BB139_4 Depth=1
	s_mov_b64 s[36:37], 0
	v_pk_mov_b32 v[8:9], v[2:3], v[2:3] op_sel:[0,1]
	v_pk_mov_b32 v[10:11], v[0:1], v[0:1] op_sel:[0,1]
.LBB139_48:                             ;   Parent Loop BB139_4 Depth=1
                                        ; =>  This Inner Loop Header: Depth=2
	v_lshlrev_b64 v[10:11], 2, v[10:11]
	v_mov_b32_e32 v23, s45
	v_add_co_u32_e32 v22, vcc, s44, v10
	v_addc_co_u32_e32 v23, vcc, v23, v11, vcc
	v_mov_b32_e32 v25, s47
	v_add_co_u32_e32 v24, vcc, s46, v10
	global_load_dword v26, v[22:23], off
	v_addc_co_u32_e32 v25, vcc, v25, v11, vcc
	global_load_dword v24, v[24:25], off
	v_mov_b32_e32 v25, s43
	v_add_co_u32_e32 v8, vcc, s42, v8
	v_addc_co_u32_e32 v9, vcc, v9, v25, vcc
	v_mov_b32_e32 v23, s39
	v_add_co_u32_e64 v22, s[10:11], s38, v10
	v_cmp_le_i64_e32 vcc, s[18:19], v[8:9]
	v_addc_co_u32_e64 v23, s[10:11], v23, v11, s[10:11]
	v_ashrrev_i32_e32 v11, 31, v8
	v_mov_b32_e32 v10, v8
	s_or_b64 s[36:37], vcc, s[36:37]
	s_waitcnt vmcnt(1)
	v_mul_f32_e32 v25, s15, v26
	v_mul_f32_e32 v25, v20, v25
	s_waitcnt vmcnt(0)
	v_fma_f32 v24, v24, v15, -v25
	v_mul_f32_e32 v24, v21, v24
	global_store_dword v[22:23], v24, off
	s_andn2_b64 exec, exec, s[36:37]
	s_cbranch_execnz .LBB139_48
	s_branch .LBB139_2
.LBB139_49:
	s_endpgm
	.section	.rodata,"a",@progbits
	.p2align	6, 0x0
	.amdhsa_kernel _ZN2at6native12_GLOBAL__N_118cuComputeGradInputIffLb1EEEvPKT_S5_llPKT0_S8_S5_PS3_
		.amdhsa_group_segment_fixed_size 0
		.amdhsa_private_segment_fixed_size 0
		.amdhsa_kernarg_size 320
		.amdhsa_user_sgpr_count 6
		.amdhsa_user_sgpr_private_segment_buffer 1
		.amdhsa_user_sgpr_dispatch_ptr 0
		.amdhsa_user_sgpr_queue_ptr 0
		.amdhsa_user_sgpr_kernarg_segment_ptr 1
		.amdhsa_user_sgpr_dispatch_id 0
		.amdhsa_user_sgpr_flat_scratch_init 0
		.amdhsa_user_sgpr_kernarg_preload_length 0
		.amdhsa_user_sgpr_kernarg_preload_offset 0
		.amdhsa_user_sgpr_private_segment_size 0
		.amdhsa_uses_dynamic_stack 0
		.amdhsa_system_sgpr_private_segment_wavefront_offset 0
		.amdhsa_system_sgpr_workgroup_id_x 1
		.amdhsa_system_sgpr_workgroup_id_y 1
		.amdhsa_system_sgpr_workgroup_id_z 0
		.amdhsa_system_sgpr_workgroup_info 0
		.amdhsa_system_vgpr_workitem_id 1
		.amdhsa_next_free_vgpr 31
		.amdhsa_next_free_sgpr 48
		.amdhsa_accum_offset 32
		.amdhsa_reserve_vcc 1
		.amdhsa_reserve_flat_scratch 0
		.amdhsa_float_round_mode_32 0
		.amdhsa_float_round_mode_16_64 0
		.amdhsa_float_denorm_mode_32 3
		.amdhsa_float_denorm_mode_16_64 3
		.amdhsa_dx10_clamp 1
		.amdhsa_ieee_mode 1
		.amdhsa_fp16_overflow 0
		.amdhsa_tg_split 0
		.amdhsa_exception_fp_ieee_invalid_op 0
		.amdhsa_exception_fp_denorm_src 0
		.amdhsa_exception_fp_ieee_div_zero 0
		.amdhsa_exception_fp_ieee_overflow 0
		.amdhsa_exception_fp_ieee_underflow 0
		.amdhsa_exception_fp_ieee_inexact 0
		.amdhsa_exception_int_div_zero 0
	.end_amdhsa_kernel
	.section	.text._ZN2at6native12_GLOBAL__N_118cuComputeGradInputIffLb1EEEvPKT_S5_llPKT0_S8_S5_PS3_,"axG",@progbits,_ZN2at6native12_GLOBAL__N_118cuComputeGradInputIffLb1EEEvPKT_S5_llPKT0_S8_S5_PS3_,comdat
.Lfunc_end139:
	.size	_ZN2at6native12_GLOBAL__N_118cuComputeGradInputIffLb1EEEvPKT_S5_llPKT0_S8_S5_PS3_, .Lfunc_end139-_ZN2at6native12_GLOBAL__N_118cuComputeGradInputIffLb1EEEvPKT_S5_llPKT0_S8_S5_PS3_
                                        ; -- End function
	.section	.AMDGPU.csdata,"",@progbits
; Kernel info:
; codeLenInByte = 1560
; NumSgprs: 52
; NumVgprs: 31
; NumAgprs: 0
; TotalNumVgprs: 31
; ScratchSize: 0
; MemoryBound: 0
; FloatMode: 240
; IeeeMode: 1
; LDSByteSize: 0 bytes/workgroup (compile time only)
; SGPRBlocks: 6
; VGPRBlocks: 3
; NumSGPRsForWavesPerEU: 52
; NumVGPRsForWavesPerEU: 31
; AccumOffset: 32
; Occupancy: 8
; WaveLimiterHint : 0
; COMPUTE_PGM_RSRC2:SCRATCH_EN: 0
; COMPUTE_PGM_RSRC2:USER_SGPR: 6
; COMPUTE_PGM_RSRC2:TRAP_HANDLER: 0
; COMPUTE_PGM_RSRC2:TGID_X_EN: 1
; COMPUTE_PGM_RSRC2:TGID_Y_EN: 1
; COMPUTE_PGM_RSRC2:TGID_Z_EN: 0
; COMPUTE_PGM_RSRC2:TIDIG_COMP_CNT: 1
; COMPUTE_PGM_RSRC3_GFX90A:ACCUM_OFFSET: 7
; COMPUTE_PGM_RSRC3_GFX90A:TG_SPLIT: 0
	.section	.text._ZN2at6native12_GLOBAL__N_128layer_norm_grad_input_kernelIffLb1EEEvPKT_S5_PKT0_S8_S5_PS3_i,"axG",@progbits,_ZN2at6native12_GLOBAL__N_128layer_norm_grad_input_kernelIffLb1EEEvPKT_S5_PKT0_S8_S5_PS3_i,comdat
	.globl	_ZN2at6native12_GLOBAL__N_128layer_norm_grad_input_kernelIffLb1EEEvPKT_S5_PKT0_S8_S5_PS3_i ; -- Begin function _ZN2at6native12_GLOBAL__N_128layer_norm_grad_input_kernelIffLb1EEEvPKT_S5_PKT0_S8_S5_PS3_i
	.p2align	8
	.type	_ZN2at6native12_GLOBAL__N_128layer_norm_grad_input_kernelIffLb1EEEvPKT_S5_PKT0_S8_S5_PS3_i,@function
_ZN2at6native12_GLOBAL__N_128layer_norm_grad_input_kernelIffLb1EEEvPKT_S5_PKT0_S8_S5_PS3_i: ; @_ZN2at6native12_GLOBAL__N_128layer_norm_grad_input_kernelIffLb1EEEvPKT_S5_PKT0_S8_S5_PS3_i
; %bb.0:
	s_load_dword s18, s[4:5], 0x30
	s_load_dwordx4 s[8:11], s[4:5], 0x0
	s_load_dwordx4 s[0:3], s[4:5], 0x18
	s_mov_b32 s7, 0
	v_lshlrev_b32_e32 v2, 2, v0
	s_waitcnt lgkmcnt(0)
	s_ashr_i32 s12, s18, 31
	s_mul_hi_u32 s13, s18, s6
	s_mul_i32 s12, s12, s6
	s_add_i32 s13, s13, s12
	s_mul_i32 s12, s18, s6
	s_lshl_b64 s[6:7], s[6:7], 2
	s_add_u32 s0, s0, s6
	s_addc_u32 s1, s1, s7
	s_load_dword s19, s[0:1], 0x0
	s_lshl_b64 s[6:7], s[12:13], 2
	s_add_u32 s20, s10, s6
	s_addc_u32 s22, s11, s7
	s_add_u32 s21, s8, s6
	v_or_b32_e32 v1, 3, v2
	s_addc_u32 s23, s9, s7
	v_cmp_gt_u32_e32 vcc, s18, v1
	v_mov_b32_e32 v1, 0
	s_and_saveexec_b64 s[12:13], vcc
	s_cbranch_execz .LBB140_12
; %bb.1:
	s_load_dword s0, s[4:5], 0x44
	s_cmp_lg_u64 s[2:3], 0
	s_cselect_b64 s[16:17], -1, 0
	v_cndmask_b32_e64 v1, 0, 1, s[16:17]
	s_mov_b64 s[14:15], 0
	s_waitcnt lgkmcnt(0)
	s_and_b32 s0, s0, 0xffff
	s_lshl_b32 s24, s0, 2
	s_add_u32 s25, s2, 4
	s_addc_u32 s26, s3, 0
	s_add_u32 s27, s2, 8
	s_addc_u32 s28, s3, 0
	s_add_u32 s29, s2, 12
	v_mov_b32_e32 v3, 0
	s_addc_u32 s30, s3, 0
	v_mov_b32_e32 v10, s22
	v_mov_b32_e32 v11, s23
	v_cmp_ne_u32_e64 s[0:1], 1, v1
	v_mov_b32_e32 v1, 0
	s_branch .LBB140_3
.LBB140_2:                              ;   in Loop: Header=BB140_3 Depth=1
	global_load_dword v8, v[6:7], off offset:12
	global_load_dword v9, v[4:5], off offset:12
	s_waitcnt vmcnt(6)
	v_mul_f32_e32 v4, v13, v15
	s_waitcnt vmcnt(4)
	v_mul_f32_e32 v5, v12, v18
	v_mul_f32_e32 v4, v14, v4
	s_waitcnt vmcnt(2)
	v_mul_f32_e32 v6, v20, v21
	v_add_u32_e32 v2, s24, v2
	v_mul_f32_e32 v5, v16, v5
	v_fmac_f32_e32 v1, s19, v4
	v_mul_f32_e32 v6, v19, v6
	v_add_u32_e32 v7, 3, v2
	v_fmac_f32_e32 v1, s19, v5
	v_cmp_le_u32_e32 vcc, s18, v7
	v_fmac_f32_e32 v1, s19, v6
	s_or_b64 s[14:15], vcc, s[14:15]
	s_waitcnt vmcnt(1)
	v_mul_f32_e32 v4, v17, v8
	s_waitcnt vmcnt(0)
	v_mul_f32_e32 v4, v9, v4
	v_fmac_f32_e32 v1, s19, v4
	s_andn2_b64 exec, exec, s[14:15]
	s_cbranch_execz .LBB140_11
.LBB140_3:                              ; =>This Inner Loop Header: Depth=1
	s_and_b64 vcc, exec, s[16:17]
	v_mov_b32_e32 v12, 1.0
	v_lshlrev_b64 v[8:9], 2, v[2:3]
	v_mov_b32_e32 v13, 1.0
	s_cbranch_vccz .LBB140_5
; %bb.4:                                ;   in Loop: Header=BB140_3 Depth=1
	v_mov_b32_e32 v5, s3
	v_add_co_u32_e32 v4, vcc, s2, v8
	v_addc_co_u32_e32 v5, vcc, v5, v9, vcc
	global_load_dword v13, v[4:5], off
.LBB140_5:                              ;   in Loop: Header=BB140_3 Depth=1
	v_add_co_u32_e32 v4, vcc, s20, v8
	v_addc_co_u32_e32 v5, vcc, v10, v9, vcc
	v_add_co_u32_e32 v6, vcc, s21, v8
	v_addc_co_u32_e32 v7, vcc, v11, v9, vcc
	global_load_dword v14, v[4:5], off
	global_load_dword v15, v[6:7], off
	s_and_b64 vcc, exec, s[0:1]
	s_cbranch_vccnz .LBB140_7
; %bb.6:                                ;   in Loop: Header=BB140_3 Depth=1
	v_mov_b32_e32 v12, s26
	v_add_co_u32_e32 v16, vcc, s25, v8
	v_addc_co_u32_e32 v17, vcc, v12, v9, vcc
	global_load_dword v12, v[16:17], off
.LBB140_7:                              ;   in Loop: Header=BB140_3 Depth=1
	s_nop 0
	global_load_dword v16, v[4:5], off offset:4
	global_load_dword v18, v[6:7], off offset:4
	s_and_b64 vcc, exec, s[0:1]
	v_mov_b32_e32 v17, 1.0
	v_mov_b32_e32 v20, 1.0
	s_cbranch_vccnz .LBB140_9
; %bb.8:                                ;   in Loop: Header=BB140_3 Depth=1
	v_mov_b32_e32 v19, s28
	v_add_co_u32_e32 v20, vcc, s27, v8
	v_addc_co_u32_e32 v21, vcc, v19, v9, vcc
	global_load_dword v20, v[20:21], off
.LBB140_9:                              ;   in Loop: Header=BB140_3 Depth=1
	s_nop 0
	global_load_dword v19, v[4:5], off offset:8
	global_load_dword v21, v[6:7], off offset:8
	s_and_b64 vcc, exec, s[0:1]
	s_cbranch_vccnz .LBB140_2
; %bb.10:                               ;   in Loop: Header=BB140_3 Depth=1
	v_mov_b32_e32 v17, s30
	v_add_co_u32_e32 v8, vcc, s29, v8
	v_addc_co_u32_e32 v9, vcc, v17, v9, vcc
	global_load_dword v17, v[8:9], off
	s_branch .LBB140_2
.LBB140_11:
	s_or_b64 exec, exec, s[14:15]
.LBB140_12:
	s_or_b64 exec, exec, s[12:13]
	v_cmp_gt_u32_e32 vcc, s18, v2
	s_and_saveexec_b64 s[12:13], vcc
	s_cbranch_execz .LBB140_19
; %bb.13:
	v_mov_b32_e32 v3, 0
	v_lshlrev_b64 v[6:7], 2, v[2:3]
	v_mov_b32_e32 v3, s3
	v_add_co_u32_e32 v4, vcc, s2, v6
	v_addc_co_u32_e32 v5, vcc, v3, v7, vcc
	v_mov_b32_e32 v3, s7
	v_add_co_u32_e32 v8, vcc, s6, v6
	v_addc_co_u32_e32 v3, vcc, v3, v7, vcc
	v_mov_b32_e32 v7, s11
	v_add_co_u32_e32 v6, vcc, s10, v8
	s_cmp_lg_u64 s[2:3], 0
	v_addc_co_u32_e32 v7, vcc, v7, v3, vcc
	v_mov_b32_e32 v9, s9
	v_add_co_u32_e32 v8, vcc, s8, v8
	s_cselect_b64 s[0:1], -1, 0
	v_addc_co_u32_e32 v9, vcc, v9, v3, vcc
	v_cndmask_b32_e64 v3, 0, 1, s[0:1]
	s_mov_b64 s[14:15], 0
	v_cmp_ne_u32_e64 s[0:1], 1, v3
	s_branch .LBB140_16
.LBB140_14:                             ;   in Loop: Header=BB140_16 Depth=1
	global_load_dword v3, v[4:5], off
.LBB140_15:                             ;   in Loop: Header=BB140_16 Depth=1
	global_load_dword v10, v[8:9], off
	global_load_dword v11, v[6:7], off
	v_add_co_u32_e32 v4, vcc, 4, v4
	v_addc_co_u32_e32 v5, vcc, 0, v5, vcc
	v_add_co_u32_e32 v6, vcc, 4, v6
	v_add_u32_e32 v2, 1, v2
	v_addc_co_u32_e32 v7, vcc, 0, v7, vcc
	v_cmp_le_u32_e32 vcc, s18, v2
	s_or_b64 s[14:15], vcc, s[14:15]
	v_add_co_u32_e32 v8, vcc, 4, v8
	v_addc_co_u32_e32 v9, vcc, 0, v9, vcc
	s_waitcnt vmcnt(1)
	v_mul_f32_e32 v3, v3, v10
	s_waitcnt vmcnt(0)
	v_mul_f32_e32 v3, v11, v3
	s_waitcnt lgkmcnt(0)
	v_fmac_f32_e32 v1, s19, v3
	s_andn2_b64 exec, exec, s[14:15]
	s_cbranch_execz .LBB140_18
.LBB140_16:                             ; =>This Inner Loop Header: Depth=1
	s_and_b64 vcc, exec, s[0:1]
	s_cbranch_vccz .LBB140_14
; %bb.17:                               ;   in Loop: Header=BB140_16 Depth=1
	v_mov_b32_e32 v3, 1.0
	s_branch .LBB140_15
.LBB140_18:
	s_or_b64 exec, exec, s[14:15]
.LBB140_19:
	s_or_b64 exec, exec, s[12:13]
	v_mbcnt_lo_u32_b32 v2, -1, 0
	v_mbcnt_hi_u32_b32 v6, -1, v2
	v_and_b32_e32 v9, 63, v6
	v_cmp_gt_u32_e32 vcc, 32, v9
	v_cndmask_b32_e64 v2, 0, 1, vcc
	v_lshlrev_b32_e32 v2, 5, v2
	v_add_lshl_u32 v2, v2, v6, 2
	ds_bpermute_b32 v3, v2, v1
	v_cmp_gt_u32_e32 vcc, 48, v9
	v_cndmask_b32_e64 v4, 0, 1, vcc
	v_lshlrev_b32_e32 v4, 4, v4
	v_cmp_gt_u32_e32 vcc, 56, v9
	s_waitcnt lgkmcnt(0)
	v_add_f32_e32 v3, v1, v3
	v_add_lshl_u32 v1, v4, v6, 2
	ds_bpermute_b32 v4, v1, v3
	v_cndmask_b32_e64 v5, 0, 1, vcc
	v_lshlrev_b32_e32 v5, 3, v5
	v_cmp_gt_u32_e32 vcc, 60, v9
	v_cndmask_b32_e64 v7, 0, 1, vcc
	s_waitcnt lgkmcnt(0)
	v_add_f32_e32 v4, v3, v4
	v_add_lshl_u32 v3, v5, v6, 2
	ds_bpermute_b32 v5, v3, v4
	v_lshlrev_b32_e32 v7, 2, v7
	v_cmp_gt_u32_e32 vcc, 62, v9
	v_cndmask_b32_e64 v8, 0, 1, vcc
	v_lshlrev_b32_e32 v8, 1, v8
	s_waitcnt lgkmcnt(0)
	v_add_f32_e32 v5, v4, v5
	v_add_lshl_u32 v4, v7, v6, 2
	ds_bpermute_b32 v7, v4, v5
	v_cmp_ne_u32_e32 vcc, 63, v9
	s_waitcnt lgkmcnt(0)
	s_barrier
	v_add_f32_e32 v10, v5, v7
	v_add_lshl_u32 v5, v8, v6, 2
	ds_bpermute_b32 v8, v5, v10
	v_addc_co_u32_e32 v6, vcc, 0, v6, vcc
	v_lshlrev_b32_e32 v6, 2, v6
	v_and_b32_e32 v7, 63, v0
	s_waitcnt lgkmcnt(0)
	v_add_f32_e32 v8, v10, v8
	ds_bpermute_b32 v9, v6, v8
	v_cmp_eq_u32_e32 vcc, 0, v7
	s_and_saveexec_b64 s[0:1], vcc
	s_cbranch_execz .LBB140_21
; %bb.20:
	v_lshrrev_b32_e32 v10, 4, v0
	v_add_u32_e32 v10, 0, v10
	s_waitcnt lgkmcnt(0)
	v_add_f32_e32 v8, v8, v9
	ds_write_b32 v10, v8
.LBB140_21:
	s_or_b64 exec, exec, s[0:1]
	s_waitcnt lgkmcnt(0)
	s_barrier
	s_load_dword s8, s[4:5], 0x44
	v_mov_b32_e32 v8, 0
	s_waitcnt lgkmcnt(0)
	s_bfe_u32 s0, s8, 0xa0006
	v_cmp_gt_u32_e32 vcc, s0, v0
	s_and_saveexec_b64 s[0:1], vcc
	s_cbranch_execnz .LBB140_32
; %bb.22:
	s_or_b64 exec, exec, s[0:1]
	v_cmp_gt_u32_e32 vcc, 64, v0
	s_and_saveexec_b64 s[0:1], vcc
	s_cbranch_execnz .LBB140_33
.LBB140_23:
	s_or_b64 exec, exec, s[0:1]
	v_cmp_eq_u32_e32 vcc, 0, v0
	s_and_saveexec_b64 s[0:1], vcc
	s_cbranch_execz .LBB140_25
.LBB140_24:
	v_mov_b32_e32 v1, 0
	s_waitcnt lgkmcnt(0)
	ds_write_b32 v1, v8 offset:4
.LBB140_25:
	s_or_b64 exec, exec, s[0:1]
	v_cmp_gt_i32_e32 vcc, s18, v0
	s_waitcnt lgkmcnt(0)
	s_barrier
	s_and_saveexec_b64 s[0:1], vcc
	s_cbranch_execz .LBB140_31
; %bb.26:
	v_cvt_f32_i32_e32 v4, s18
	v_mov_b32_e32 v1, 0
	ds_read_b32 v5, v1 offset:4
	s_and_b32 s8, s8, 0xffff
	v_div_scale_f32 v2, s[0:1], v4, v4, 1.0
	v_rcp_f32_e32 v3, v2
	s_load_dwordx2 s[0:1], s[4:5], 0x28
	v_div_scale_f32 v1, vcc, 1.0, v4, 1.0
	v_fma_f32 v6, -v2, v3, 1.0
	v_fmac_f32_e32 v3, v6, v3
	v_mul_f32_e32 v6, v1, v3
	v_fma_f32 v7, -v2, v6, v1
	v_fmac_f32_e32 v6, v7, v3
	s_waitcnt lgkmcnt(0)
	s_add_u32 s6, s0, s6
	v_fma_f32 v1, -v2, v6, v1
	s_addc_u32 s7, s1, s7
	v_div_fmas_f32 v1, v1, v3, v6
	s_cmp_lg_u64 s[2:3], 0
	v_div_fixup_f32 v1, v1, v4, 1.0
	s_cselect_b64 s[0:1], -1, 0
	v_mul_f32_e32 v6, s19, v1
	v_cndmask_b32_e64 v1, 0, 1, s[0:1]
	s_mov_b64 s[4:5], 0
	v_mov_b32_e32 v7, s22
	v_mov_b32_e32 v8, s23
	v_cmp_ne_u32_e64 s[0:1], 1, v1
	v_mov_b32_e32 v9, s7
	s_branch .LBB140_29
.LBB140_27:                             ;   in Loop: Header=BB140_29 Depth=1
	v_mov_b32_e32 v11, s3
	v_add_co_u32_e32 v12, vcc, s2, v2
	v_addc_co_u32_e32 v13, vcc, v11, v3, vcc
	global_load_dword v11, v[12:13], off
.LBB140_28:                             ;   in Loop: Header=BB140_29 Depth=1
	s_waitcnt vmcnt(1)
	v_mul_f32_e32 v1, s19, v1
	v_add_co_u32_e32 v2, vcc, s6, v2
	s_waitcnt vmcnt(0)
	v_mul_f32_e32 v11, v11, v4
	v_mul_f32_e32 v1, v5, v1
	v_addc_co_u32_e32 v3, vcc, v9, v3, vcc
	v_add_u32_e32 v0, s8, v0
	v_fma_f32 v1, v10, v11, -v1
	v_cmp_le_i32_e32 vcc, s18, v0
	v_mul_f32_e32 v1, v6, v1
	s_or_b64 s[4:5], vcc, s[4:5]
	global_store_dword v[2:3], v1, off
	s_andn2_b64 exec, exec, s[4:5]
	s_cbranch_execz .LBB140_31
.LBB140_29:                             ; =>This Inner Loop Header: Depth=1
	v_ashrrev_i32_e32 v1, 31, v0
	v_lshlrev_b64 v[2:3], 2, v[0:1]
	v_add_co_u32_e32 v10, vcc, s20, v2
	v_addc_co_u32_e32 v11, vcc, v7, v3, vcc
	global_load_dword v1, v[10:11], off
	v_add_co_u32_e32 v10, vcc, s21, v2
	v_addc_co_u32_e32 v11, vcc, v8, v3, vcc
	global_load_dword v10, v[10:11], off
	s_and_b64 vcc, exec, s[0:1]
	s_cbranch_vccz .LBB140_27
; %bb.30:                               ;   in Loop: Header=BB140_29 Depth=1
	v_mov_b32_e32 v11, 1.0
	s_branch .LBB140_28
.LBB140_31:
	s_endpgm
.LBB140_32:
	v_lshl_add_u32 v7, v7, 2, 0
	ds_read_b32 v8, v7
	s_or_b64 exec, exec, s[0:1]
	v_cmp_gt_u32_e32 vcc, 64, v0
	s_and_saveexec_b64 s[0:1], vcc
	s_cbranch_execz .LBB140_23
.LBB140_33:
	s_waitcnt lgkmcnt(0)
	ds_bpermute_b32 v2, v2, v8
	s_waitcnt lgkmcnt(0)
	v_add_f32_e32 v2, v8, v2
	ds_bpermute_b32 v1, v1, v2
	s_waitcnt lgkmcnt(0)
	v_add_f32_e32 v1, v2, v1
	;; [unrolled: 3-line block ×6, first 2 shown]
	s_or_b64 exec, exec, s[0:1]
	v_cmp_eq_u32_e32 vcc, 0, v0
	s_and_saveexec_b64 s[0:1], vcc
	s_cbranch_execnz .LBB140_24
	s_branch .LBB140_25
	.section	.rodata,"a",@progbits
	.p2align	6, 0x0
	.amdhsa_kernel _ZN2at6native12_GLOBAL__N_128layer_norm_grad_input_kernelIffLb1EEEvPKT_S5_PKT0_S8_S5_PS3_i
		.amdhsa_group_segment_fixed_size 0
		.amdhsa_private_segment_fixed_size 0
		.amdhsa_kernarg_size 312
		.amdhsa_user_sgpr_count 6
		.amdhsa_user_sgpr_private_segment_buffer 1
		.amdhsa_user_sgpr_dispatch_ptr 0
		.amdhsa_user_sgpr_queue_ptr 0
		.amdhsa_user_sgpr_kernarg_segment_ptr 1
		.amdhsa_user_sgpr_dispatch_id 0
		.amdhsa_user_sgpr_flat_scratch_init 0
		.amdhsa_user_sgpr_kernarg_preload_length 0
		.amdhsa_user_sgpr_kernarg_preload_offset 0
		.amdhsa_user_sgpr_private_segment_size 0
		.amdhsa_uses_dynamic_stack 0
		.amdhsa_system_sgpr_private_segment_wavefront_offset 0
		.amdhsa_system_sgpr_workgroup_id_x 1
		.amdhsa_system_sgpr_workgroup_id_y 0
		.amdhsa_system_sgpr_workgroup_id_z 0
		.amdhsa_system_sgpr_workgroup_info 0
		.amdhsa_system_vgpr_workitem_id 0
		.amdhsa_next_free_vgpr 22
		.amdhsa_next_free_sgpr 31
		.amdhsa_accum_offset 24
		.amdhsa_reserve_vcc 1
		.amdhsa_reserve_flat_scratch 0
		.amdhsa_float_round_mode_32 0
		.amdhsa_float_round_mode_16_64 0
		.amdhsa_float_denorm_mode_32 3
		.amdhsa_float_denorm_mode_16_64 3
		.amdhsa_dx10_clamp 1
		.amdhsa_ieee_mode 1
		.amdhsa_fp16_overflow 0
		.amdhsa_tg_split 0
		.amdhsa_exception_fp_ieee_invalid_op 0
		.amdhsa_exception_fp_denorm_src 0
		.amdhsa_exception_fp_ieee_div_zero 0
		.amdhsa_exception_fp_ieee_overflow 0
		.amdhsa_exception_fp_ieee_underflow 0
		.amdhsa_exception_fp_ieee_inexact 0
		.amdhsa_exception_int_div_zero 0
	.end_amdhsa_kernel
	.section	.text._ZN2at6native12_GLOBAL__N_128layer_norm_grad_input_kernelIffLb1EEEvPKT_S5_PKT0_S8_S5_PS3_i,"axG",@progbits,_ZN2at6native12_GLOBAL__N_128layer_norm_grad_input_kernelIffLb1EEEvPKT_S5_PKT0_S8_S5_PS3_i,comdat
.Lfunc_end140:
	.size	_ZN2at6native12_GLOBAL__N_128layer_norm_grad_input_kernelIffLb1EEEvPKT_S5_PKT0_S8_S5_PS3_i, .Lfunc_end140-_ZN2at6native12_GLOBAL__N_128layer_norm_grad_input_kernelIffLb1EEEvPKT_S5_PKT0_S8_S5_PS3_i
                                        ; -- End function
	.section	.AMDGPU.csdata,"",@progbits
; Kernel info:
; codeLenInByte = 1632
; NumSgprs: 35
; NumVgprs: 22
; NumAgprs: 0
; TotalNumVgprs: 22
; ScratchSize: 0
; MemoryBound: 0
; FloatMode: 240
; IeeeMode: 1
; LDSByteSize: 0 bytes/workgroup (compile time only)
; SGPRBlocks: 4
; VGPRBlocks: 2
; NumSGPRsForWavesPerEU: 35
; NumVGPRsForWavesPerEU: 22
; AccumOffset: 24
; Occupancy: 8
; WaveLimiterHint : 0
; COMPUTE_PGM_RSRC2:SCRATCH_EN: 0
; COMPUTE_PGM_RSRC2:USER_SGPR: 6
; COMPUTE_PGM_RSRC2:TRAP_HANDLER: 0
; COMPUTE_PGM_RSRC2:TGID_X_EN: 1
; COMPUTE_PGM_RSRC2:TGID_Y_EN: 0
; COMPUTE_PGM_RSRC2:TGID_Z_EN: 0
; COMPUTE_PGM_RSRC2:TIDIG_COMP_CNT: 0
; COMPUTE_PGM_RSRC3_GFX90A:ACCUM_OFFSET: 5
; COMPUTE_PGM_RSRC3_GFX90A:TG_SPLIT: 0
	.section	.text._ZN2at6native12_GLOBAL__N_133GammaBetaBackwardSimpleCUDAKernelIffLb1EEEvllPKT_S5_PKT0_S8_PS3_S9_,"axG",@progbits,_ZN2at6native12_GLOBAL__N_133GammaBetaBackwardSimpleCUDAKernelIffLb1EEEvllPKT_S5_PKT0_S8_PS3_S9_,comdat
	.globl	_ZN2at6native12_GLOBAL__N_133GammaBetaBackwardSimpleCUDAKernelIffLb1EEEvllPKT_S5_PKT0_S8_PS3_S9_ ; -- Begin function _ZN2at6native12_GLOBAL__N_133GammaBetaBackwardSimpleCUDAKernelIffLb1EEEvllPKT_S5_PKT0_S8_PS3_S9_
	.p2align	8
	.type	_ZN2at6native12_GLOBAL__N_133GammaBetaBackwardSimpleCUDAKernelIffLb1EEEvllPKT_S5_PKT0_S8_PS3_S9_,@function
_ZN2at6native12_GLOBAL__N_133GammaBetaBackwardSimpleCUDAKernelIffLb1EEEvllPKT_S5_PKT0_S8_PS3_S9_: ; @_ZN2at6native12_GLOBAL__N_133GammaBetaBackwardSimpleCUDAKernelIffLb1EEEvllPKT_S5_PKT0_S8_PS3_S9_
; %bb.0:
	s_load_dword s0, s[4:5], 0x4c
	s_load_dwordx8 s[8:15], s[4:5], 0x0
	v_mov_b32_e32 v1, 0
	v_mov_b32_e32 v2, s6
	s_waitcnt lgkmcnt(0)
	s_and_b32 s0, s0, 0xffff
	v_mad_u64_u32 v[2:3], s[0:1], s0, v2, v[0:1]
	v_cmp_gt_i64_e32 vcc, s[10:11], v[2:3]
	s_and_saveexec_b64 s[0:1], vcc
	s_cbranch_execz .LBB141_8
; %bb.1:
	s_load_dwordx4 s[4:7], s[4:5], 0x28
	v_cmp_lt_i64_e64 s[0:1], s[8:9], 1
	s_and_b64 vcc, exec, s[0:1]
	v_lshlrev_b64 v[2:3], 2, v[2:3]
	s_cbranch_vccnz .LBB141_6
; %bb.2:
	s_waitcnt lgkmcnt(0)
	s_cmp_lg_u64 s[6:7], 0
	s_cselect_b64 s[0:1], -1, 0
	s_lshl_b64 s[2:3], s[10:11], 2
	v_cndmask_b32_e64 v0, 0, 1, s[0:1]
	v_mov_b32_e32 v1, 0
	v_cmp_ne_u32_e64 s[0:1], 1, v0
	v_mov_b32_e32 v0, s3
	v_pk_mov_b32 v[4:5], v[2:3], v[2:3] op_sel:[0,1]
	s_branch .LBB141_4
.LBB141_3:                              ;   in Loop: Header=BB141_4 Depth=1
	s_add_u32 s8, s8, -1
	s_addc_u32 s9, s9, -1
	s_add_u32 s4, s4, 4
	s_addc_u32 s5, s5, 0
	v_add_co_u32_e32 v4, vcc, s2, v4
	v_add_f32_e32 v1, v1, v6
	s_cmp_eq_u64 s[8:9], 0
	v_addc_co_u32_e32 v5, vcc, v5, v0, vcc
	s_cbranch_scc1 .LBB141_6
.LBB141_4:                              ; =>This Inner Loop Header: Depth=1
	s_and_b64 vcc, exec, s[0:1]
	v_mov_b32_e32 v6, 0
	s_cbranch_vccnz .LBB141_3
; %bb.5:                                ;   in Loop: Header=BB141_4 Depth=1
	v_mov_b32_e32 v7, s13
	v_add_co_u32_e32 v6, vcc, s12, v4
	v_addc_co_u32_e32 v7, vcc, v7, v5, vcc
	global_load_dword v8, v[6:7], off
	v_mov_b32_e32 v7, s15
	v_add_co_u32_e32 v6, vcc, s14, v4
	v_addc_co_u32_e32 v7, vcc, v7, v5, vcc
	global_load_dword v6, v[6:7], off
	s_load_dword s3, s[4:5], 0x0
	s_waitcnt vmcnt(0)
	v_mul_f32_e32 v6, v8, v6
	s_waitcnt lgkmcnt(0)
	v_mul_f32_e32 v6, s3, v6
	s_branch .LBB141_3
.LBB141_6:
	s_waitcnt lgkmcnt(0)
	s_cmp_lg_u64 s[6:7], 0
	s_cbranch_scc0 .LBB141_8
; %bb.7:
	v_mov_b32_e32 v0, s7
	v_add_co_u32_e32 v2, vcc, s6, v2
	v_addc_co_u32_e32 v3, vcc, v0, v3, vcc
	global_store_dword v[2:3], v1, off
.LBB141_8:
	s_endpgm
	.section	.rodata,"a",@progbits
	.p2align	6, 0x0
	.amdhsa_kernel _ZN2at6native12_GLOBAL__N_133GammaBetaBackwardSimpleCUDAKernelIffLb1EEEvllPKT_S5_PKT0_S8_PS3_S9_
		.amdhsa_group_segment_fixed_size 0
		.amdhsa_private_segment_fixed_size 0
		.amdhsa_kernarg_size 320
		.amdhsa_user_sgpr_count 6
		.amdhsa_user_sgpr_private_segment_buffer 1
		.amdhsa_user_sgpr_dispatch_ptr 0
		.amdhsa_user_sgpr_queue_ptr 0
		.amdhsa_user_sgpr_kernarg_segment_ptr 1
		.amdhsa_user_sgpr_dispatch_id 0
		.amdhsa_user_sgpr_flat_scratch_init 0
		.amdhsa_user_sgpr_kernarg_preload_length 0
		.amdhsa_user_sgpr_kernarg_preload_offset 0
		.amdhsa_user_sgpr_private_segment_size 0
		.amdhsa_uses_dynamic_stack 0
		.amdhsa_system_sgpr_private_segment_wavefront_offset 0
		.amdhsa_system_sgpr_workgroup_id_x 1
		.amdhsa_system_sgpr_workgroup_id_y 0
		.amdhsa_system_sgpr_workgroup_id_z 0
		.amdhsa_system_sgpr_workgroup_info 0
		.amdhsa_system_vgpr_workitem_id 0
		.amdhsa_next_free_vgpr 9
		.amdhsa_next_free_sgpr 16
		.amdhsa_accum_offset 12
		.amdhsa_reserve_vcc 1
		.amdhsa_reserve_flat_scratch 0
		.amdhsa_float_round_mode_32 0
		.amdhsa_float_round_mode_16_64 0
		.amdhsa_float_denorm_mode_32 3
		.amdhsa_float_denorm_mode_16_64 3
		.amdhsa_dx10_clamp 1
		.amdhsa_ieee_mode 1
		.amdhsa_fp16_overflow 0
		.amdhsa_tg_split 0
		.amdhsa_exception_fp_ieee_invalid_op 0
		.amdhsa_exception_fp_denorm_src 0
		.amdhsa_exception_fp_ieee_div_zero 0
		.amdhsa_exception_fp_ieee_overflow 0
		.amdhsa_exception_fp_ieee_underflow 0
		.amdhsa_exception_fp_ieee_inexact 0
		.amdhsa_exception_int_div_zero 0
	.end_amdhsa_kernel
	.section	.text._ZN2at6native12_GLOBAL__N_133GammaBetaBackwardSimpleCUDAKernelIffLb1EEEvllPKT_S5_PKT0_S8_PS3_S9_,"axG",@progbits,_ZN2at6native12_GLOBAL__N_133GammaBetaBackwardSimpleCUDAKernelIffLb1EEEvllPKT_S5_PKT0_S8_PS3_S9_,comdat
.Lfunc_end141:
	.size	_ZN2at6native12_GLOBAL__N_133GammaBetaBackwardSimpleCUDAKernelIffLb1EEEvllPKT_S5_PKT0_S8_PS3_S9_, .Lfunc_end141-_ZN2at6native12_GLOBAL__N_133GammaBetaBackwardSimpleCUDAKernelIffLb1EEEvllPKT_S5_PKT0_S8_PS3_S9_
                                        ; -- End function
	.section	.AMDGPU.csdata,"",@progbits
; Kernel info:
; codeLenInByte = 292
; NumSgprs: 20
; NumVgprs: 9
; NumAgprs: 0
; TotalNumVgprs: 9
; ScratchSize: 0
; MemoryBound: 0
; FloatMode: 240
; IeeeMode: 1
; LDSByteSize: 0 bytes/workgroup (compile time only)
; SGPRBlocks: 2
; VGPRBlocks: 1
; NumSGPRsForWavesPerEU: 20
; NumVGPRsForWavesPerEU: 9
; AccumOffset: 12
; Occupancy: 8
; WaveLimiterHint : 0
; COMPUTE_PGM_RSRC2:SCRATCH_EN: 0
; COMPUTE_PGM_RSRC2:USER_SGPR: 6
; COMPUTE_PGM_RSRC2:TRAP_HANDLER: 0
; COMPUTE_PGM_RSRC2:TGID_X_EN: 1
; COMPUTE_PGM_RSRC2:TGID_Y_EN: 0
; COMPUTE_PGM_RSRC2:TGID_Z_EN: 0
; COMPUTE_PGM_RSRC2:TIDIG_COMP_CNT: 0
; COMPUTE_PGM_RSRC3_GFX90A:ACCUM_OFFSET: 2
; COMPUTE_PGM_RSRC3_GFX90A:TG_SPLIT: 0
	.section	.text._ZN2at6native12_GLOBAL__N_135GammaBetaBackwardCUDAKernelTemplateIffLj64ELj1ELj32ELb1ELb1ELb1EEEvllPKT_S5_PKT0_S8_PS3_S9_,"axG",@progbits,_ZN2at6native12_GLOBAL__N_135GammaBetaBackwardCUDAKernelTemplateIffLj64ELj1ELj32ELb1ELb1ELb1EEEvllPKT_S5_PKT0_S8_PS3_S9_,comdat
	.globl	_ZN2at6native12_GLOBAL__N_135GammaBetaBackwardCUDAKernelTemplateIffLj64ELj1ELj32ELb1ELb1ELb1EEEvllPKT_S5_PKT0_S8_PS3_S9_ ; -- Begin function _ZN2at6native12_GLOBAL__N_135GammaBetaBackwardCUDAKernelTemplateIffLj64ELj1ELj32ELb1ELb1ELb1EEEvllPKT_S5_PKT0_S8_PS3_S9_
	.p2align	8
	.type	_ZN2at6native12_GLOBAL__N_135GammaBetaBackwardCUDAKernelTemplateIffLj64ELj1ELj32ELb1ELb1ELb1EEEvllPKT_S5_PKT0_S8_PS3_S9_,@function
_ZN2at6native12_GLOBAL__N_135GammaBetaBackwardCUDAKernelTemplateIffLj64ELj1ELj32ELb1ELb1ELb1EEEvllPKT_S5_PKT0_S8_PS3_S9_: ; @_ZN2at6native12_GLOBAL__N_135GammaBetaBackwardCUDAKernelTemplateIffLj64ELj1ELj32ELb1ELb1ELb1EEEvllPKT_S5_PKT0_S8_PS3_S9_
; %bb.0:
	s_load_dwordx4 s[8:11], s[4:5], 0x0
	s_load_dwordx2 s[16:17], s[4:5], 0x30
	s_lshl_b32 s18, s7, 5
	s_mov_b32 s19, 0
	s_mov_b32 s2, s7
	s_waitcnt lgkmcnt(0)
	v_pk_mov_b32 v[2:3], s[8:9], s[8:9] op_sel:[0,1]
	v_cmp_ge_i64_e32 vcc, s[18:19], v[2:3]
	v_mov_b32_e32 v9, 0
	v_bfe_u32 v2, v0, 10, 10
	s_cbranch_vccnz .LBB142_7
; %bb.1:
	s_load_dword s0, s[4:5], 0x4c
	s_load_dword s3, s[4:5], 0x44
	s_load_dwordx4 s[12:15], s[4:5], 0x10
	s_load_dwordx2 s[22:23], s[4:5], 0x28
	v_and_b32_e32 v1, 0x3ff, v0
	s_waitcnt lgkmcnt(0)
	s_and_b32 s0, s0, 0xffff
	v_mad_u32_u24 v3, v2, s0, v1
	v_lshl_or_b32 v8, s6, 6, v1
	v_mbcnt_lo_u32_b32 v1, -1, 0
	v_mbcnt_hi_u32_b32 v1, -1, v1
	v_lshlrev_b32_e32 v5, 5, v2
	v_lshlrev_b32_e32 v1, 2, v1
	v_and_b32_e32 v4, 63, v3
	v_and_b32_e32 v3, 0x100, v1
	v_mov_b32_e32 v1, s19
	v_add_co_u32_e32 v10, vcc, s18, v5
	v_addc_co_u32_e32 v1, vcc, 0, v1, vcc
	v_cmp_gt_u32_e64 s[0:1], 32, v4
	v_add_co_u32_e32 v4, vcc, v10, v4
	v_addc_co_u32_e32 v5, vcc, 0, v1, vcc
	v_lshlrev_b64 v[6:7], 2, v[4:5]
	v_mov_b32_e32 v11, s23
	v_add_co_u32_e32 v6, vcc, s22, v6
	v_addc_co_u32_e32 v7, vcc, v11, v7, vcc
	v_mul_lo_u32 v12, s11, v10
	v_mul_lo_u32 v1, s10, v1
	v_mad_u64_u32 v[10:11], s[24:25], s10, v10, 0
	v_mov_b32_e32 v9, 0
	s_lshl_b32 s20, s3, 5
	v_add3_u32 v11, v11, v1, v12
	v_lshlrev_b64 v[10:11], 2, v[10:11]
	v_lshlrev_b64 v[12:13], 2, v[8:9]
	s_mul_i32 s3, s11, s20
	s_mul_hi_u32 s7, s10, s20
	s_mov_b32 s21, s19
	v_add_co_u32_e32 v8, vcc, v10, v12
	s_add_i32 s25, s7, s3
	s_mul_i32 s24, s10, s20
	v_or_b32_e32 v34, 4, v3
	v_or_b32_e32 v35, 8, v3
	;; [unrolled: 1-line block ×31, first 2 shown]
	s_lshl_b64 s[22:23], s[20:21], 2
	v_addc_co_u32_e32 v1, vcc, v11, v13, vcc
	s_lshl_b64 s[24:25], s[24:25], 2
	s_lshl_b64 s[26:27], s[10:11], 2
	s_branch .LBB142_4
.LBB142_2:                              ;   in Loop: Header=BB142_4 Depth=1
	s_or_b64 exec, exec, s[30:31]
.LBB142_3:                              ;   in Loop: Header=BB142_4 Depth=1
	s_or_b64 exec, exec, s[28:29]
	v_mov_b32_e32 v11, s13
	v_add_co_u32_e32 v10, vcc, s12, v8
	v_addc_co_u32_e32 v11, vcc, v11, v1, vcc
	v_mov_b32_e32 v13, s15
	v_add_co_u32_e32 v12, vcc, s14, v8
	v_addc_co_u32_e32 v13, vcc, v13, v1, vcc
	global_load_dword v66, v[10:11], off
	v_mov_b32_e32 v33, s27
	v_add_co_u32_e32 v10, vcc, s26, v10
	v_addc_co_u32_e32 v11, vcc, v11, v33, vcc
	global_load_dword v67, v[12:13], off
	v_add_co_u32_e32 v12, vcc, s26, v12
	v_addc_co_u32_e32 v13, vcc, v13, v33, vcc
	global_load_dword v68, v[10:11], off
	;; [unrolled: 3-line block ×37, first 2 shown]
	v_add_co_u32_e32 v12, vcc, s26, v12
	v_addc_co_u32_e32 v13, vcc, v13, v33, vcc
	v_add_co_u32_e32 v14, vcc, s26, v10
	v_addc_co_u32_e32 v15, vcc, v11, v33, vcc
	;; [unrolled: 2-line block ×3, first 2 shown]
	global_load_dword v104, v[10:11], off
	global_load_dword v105, v[12:13], off
	s_waitcnt vmcnt(38)
	v_mul_f32_e32 v66, v66, v67
	global_load_dword v10, v[14:15], off
	v_add_co_u32_e32 v14, vcc, s26, v14
	v_addc_co_u32_e32 v15, vcc, v15, v33, vcc
	global_load_dword v12, v[16:17], off
	v_add_co_u32_e32 v16, vcc, s26, v16
	v_addc_co_u32_e32 v17, vcc, v17, v33, vcc
	v_add_co_u32_e32 v18, vcc, s26, v14
	v_addc_co_u32_e32 v19, vcc, v15, v33, vcc
	;; [unrolled: 2-line block ×3, first 2 shown]
	global_load_dword v11, v[14:15], off
	global_load_dword v13, v[16:17], off
	s_waitcnt vmcnt(40)
	v_mul_f32_e32 v67, v68, v69
	global_load_dword v14, v[18:19], off
	v_add_co_u32_e32 v18, vcc, s26, v18
	v_addc_co_u32_e32 v19, vcc, v19, v33, vcc
	global_load_dword v16, v[20:21], off
	v_add_co_u32_e32 v20, vcc, s26, v20
	v_addc_co_u32_e32 v21, vcc, v21, v33, vcc
	v_add_co_u32_e32 v24, vcc, s26, v18
	v_addc_co_u32_e32 v25, vcc, v19, v33, vcc
	global_load_dword v17, v[20:21], off
	v_add_co_u32_e32 v20, vcc, s26, v20
	v_addc_co_u32_e32 v21, vcc, v21, v33, vcc
	global_load_dword v15, v[18:19], off
	global_load_dword v22, v[20:21], off
	s_waitcnt vmcnt(43)
	v_mul_f32_e32 v68, v70, v71
	global_load_dword v18, v[24:25], off
	v_add_co_u32_e32 v24, vcc, s26, v24
	v_addc_co_u32_e32 v25, vcc, v25, v33, vcc
	v_add_co_u32_e32 v26, vcc, s26, v20
	v_addc_co_u32_e32 v27, vcc, v21, v33, vcc
	;; [unrolled: 2-line block ×3, first 2 shown]
	global_load_dword v23, v[26:27], off
	v_add_co_u32_e32 v26, vcc, s26, v26
	v_addc_co_u32_e32 v27, vcc, v27, v33, vcc
	global_load_dword v20, v[28:29], off
	v_add_co_u32_e32 v28, vcc, s26, v28
	v_addc_co_u32_e32 v29, vcc, v29, v33, vcc
	v_add_co_u32_e32 v30, vcc, s26, v26
	v_addc_co_u32_e32 v31, vcc, v27, v33, vcc
	global_load_dword v21, v[28:29], off
	v_add_co_u32_e32 v28, vcc, s26, v28
	v_addc_co_u32_e32 v29, vcc, v29, v33, vcc
	v_add_co_u32_e32 v106, vcc, s26, v30
	v_addc_co_u32_e32 v107, vcc, v31, v33, vcc
	global_load_dword v19, v[24:25], off
	s_waitcnt vmcnt(14)
	v_mul_f32_e32 v69, v104, v105
	global_load_dword v24, v[26:27], off
	global_load_dword v25, v[30:31], off
	s_add_u32 s18, s18, s20
	global_load_dword v26, v[28:29], off
	v_add_co_u32_e32 v28, vcc, s26, v28
	v_addc_co_u32_e32 v29, vcc, v29, v33, vcc
	global_load_dword v30, v[106:107], off
	v_add_co_u32_e32 v106, vcc, s26, v106
	v_addc_co_u32_e32 v107, vcc, v107, v33, vcc
	v_add_co_u32_e32 v108, vcc, s26, v28
	v_addc_co_u32_e32 v109, vcc, v29, v33, vcc
	global_load_dword v31, v[106:107], off
	v_add_co_u32_e32 v106, vcc, s26, v106
	v_addc_co_u32_e32 v107, vcc, v107, v33, vcc
	global_load_dword v27, v[28:29], off
	global_load_dword v32, v[106:107], off
	s_waitcnt vmcnt(17)
	v_pk_mul_f32 v[10:11], v[10:11], v[12:13]
	global_load_dword v28, v[108:109], off
	v_add_co_u32_e32 v108, vcc, s26, v108
	v_addc_co_u32_e32 v109, vcc, v109, v33, vcc
	v_add_co_u32_e32 v106, vcc, s26, v106
	v_addc_co_u32_e32 v107, vcc, v107, v33, vcc
	global_load_dword v29, v[108:109], off
	global_load_dword v33, v[106:107], off
	ds_bpermute_b32 v108, v3, v65
	ds_bpermute_b32 v106, v34, v65
	;; [unrolled: 1-line block ×4, first 2 shown]
	v_add_co_u32_e32 v6, vcc, s22, v6
	s_waitcnt lgkmcnt(3)
	v_fmac_f32_e32 v9, v66, v108
	ds_bpermute_b32 v66, v35, v65
	s_waitcnt lgkmcnt(3)
	v_fmac_f32_e32 v9, v67, v106
	ds_bpermute_b32 v67, v36, v65
	s_addc_u32 s19, s19, 0
	s_waitcnt lgkmcnt(1)
	v_fmac_f32_e32 v9, v68, v66
	ds_bpermute_b32 v66, v37, v65
	v_mul_f32_e32 v68, v72, v73
	s_waitcnt lgkmcnt(1)
	v_fmac_f32_e32 v9, v68, v67
	ds_bpermute_b32 v67, v38, v65
	v_mul_f32_e32 v68, v74, v75
	;; [unrolled: 4-line block ×15, first 2 shown]
	s_waitcnt lgkmcnt(1)
	v_fmac_f32_e32 v9, v68, v67
	v_mul_f32_e32 v67, v102, v103
	ds_bpermute_b32 v68, v52, v65
	s_waitcnt lgkmcnt(1)
	v_fmac_f32_e32 v9, v67, v66
	ds_bpermute_b32 v66, v53, v65
	ds_bpermute_b32 v67, v54, v65
	s_waitcnt lgkmcnt(2)
	v_fmac_f32_e32 v9, v69, v68
	s_waitcnt lgkmcnt(0)
	v_pk_mul_f32 v[10:11], v[10:11], v[66:67]
	v_add_f32_e32 v9, v9, v10
	v_add_f32_e32 v9, v9, v11
	s_waitcnt vmcnt(16)
	v_pk_mul_f32 v[10:11], v[14:15], v[16:17]
	v_pk_mul_f32 v[10:11], v[10:11], v[12:13]
	ds_bpermute_b32 v12, v57, v65
	ds_bpermute_b32 v13, v58, v65
	v_add_f32_e32 v9, v9, v10
	ds_bpermute_b32 v14, v59, v65
	ds_bpermute_b32 v15, v60, v65
	v_add_f32_e32 v9, v9, v11
	s_waitcnt vmcnt(10)
	v_pk_mul_f32 v[10:11], v[18:19], v[22:23]
	s_waitcnt lgkmcnt(2)
	v_pk_mul_f32 v[10:11], v[10:11], v[12:13]
	v_add_f32_e32 v9, v9, v10
	ds_bpermute_b32 v12, v61, v65
	ds_bpermute_b32 v13, v62, v65
	v_add_f32_e32 v9, v9, v11
	s_waitcnt vmcnt(8)
	v_pk_mul_f32 v[10:11], v[20:21], v[24:25]
	s_waitcnt lgkmcnt(2)
	v_pk_mul_f32 v[10:11], v[10:11], v[14:15]
	;; [unrolled: 8-line block ×3, first 2 shown]
	v_add_f32_e32 v9, v9, v10
	v_add_f32_e32 v9, v9, v11
	s_waitcnt vmcnt(0)
	v_pk_mul_f32 v[10:11], v[28:29], v[32:33]
	s_waitcnt lgkmcnt(0)
	v_pk_mul_f32 v[10:11], v[10:11], v[14:15]
	v_add_f32_e32 v9, v9, v10
	v_mov_b32_e32 v10, s23
	v_addc_co_u32_e32 v7, vcc, v7, v10, vcc
	v_mov_b32_e32 v10, s21
	v_add_co_u32_e32 v4, vcc, s20, v4
	v_addc_co_u32_e32 v5, vcc, v5, v10, vcc
	v_mov_b32_e32 v10, s25
	v_add_co_u32_e32 v8, vcc, s24, v8
	v_add_f32_e32 v9, v9, v11
	v_addc_co_u32_e32 v1, vcc, v1, v10, vcc
	v_pk_mov_b32 v[10:11], s[8:9], s[8:9] op_sel:[0,1]
	v_cmp_lt_i64_e32 vcc, s[18:19], v[10:11]
	s_cbranch_vccz .LBB142_7
.LBB142_4:                              ; =>This Inner Loop Header: Depth=1
	v_mov_b32_e32 v65, 0
	s_and_saveexec_b64 s[28:29], s[0:1]
	s_cbranch_execz .LBB142_3
; %bb.5:                                ;   in Loop: Header=BB142_4 Depth=1
	v_cmp_gt_i64_e32 vcc, s[8:9], v[4:5]
	v_mov_b32_e32 v65, 0
	s_and_saveexec_b64 s[30:31], vcc
	s_cbranch_execz .LBB142_2
; %bb.6:                                ;   in Loop: Header=BB142_4 Depth=1
	global_load_dword v65, v[6:7], off
	s_branch .LBB142_2
.LBB142_7:
	s_cmp_eq_u64 s[16:17], 0
	s_cbranch_scc1 .LBB142_9
; %bb.8:
	s_load_dword s0, s[4:5], 0x4c
	v_mov_b32_e32 v3, 0
	v_mov_b32_e32 v1, s2
	s_mov_b32 s7, 0
	v_and_b32_e32 v0, 0x3ff, v0
	s_waitcnt lgkmcnt(0)
	s_lshr_b32 s0, s0, 16
	v_mad_u64_u32 v[2:3], s[0:1], s0, v1, v[2:3]
	v_mul_lo_u32 v1, v3, s10
	v_mul_lo_u32 v4, v2, s11
	v_mad_u64_u32 v[2:3], s[0:1], v2, s10, 0
	s_lshl_b64 s[0:1], s[6:7], 8
	v_add3_u32 v3, v3, v4, v1
	s_add_u32 s0, s0, s16
	v_lshlrev_b64 v[2:3], 2, v[2:3]
	s_addc_u32 s1, s1, s17
	v_mov_b32_e32 v1, s1
	v_add_co_u32_e32 v2, vcc, s0, v2
	v_addc_co_u32_e32 v1, vcc, v1, v3, vcc
	v_lshlrev_b32_e32 v0, 2, v0
	v_add_co_u32_e32 v0, vcc, v2, v0
	v_addc_co_u32_e32 v1, vcc, 0, v1, vcc
	global_store_dword v[0:1], v9, off
.LBB142_9:
	s_endpgm
	.section	.rodata,"a",@progbits
	.p2align	6, 0x0
	.amdhsa_kernel _ZN2at6native12_GLOBAL__N_135GammaBetaBackwardCUDAKernelTemplateIffLj64ELj1ELj32ELb1ELb1ELb1EEEvllPKT_S5_PKT0_S8_PS3_S9_
		.amdhsa_group_segment_fixed_size 0
		.amdhsa_private_segment_fixed_size 0
		.amdhsa_kernarg_size 320
		.amdhsa_user_sgpr_count 6
		.amdhsa_user_sgpr_private_segment_buffer 1
		.amdhsa_user_sgpr_dispatch_ptr 0
		.amdhsa_user_sgpr_queue_ptr 0
		.amdhsa_user_sgpr_kernarg_segment_ptr 1
		.amdhsa_user_sgpr_dispatch_id 0
		.amdhsa_user_sgpr_flat_scratch_init 0
		.amdhsa_user_sgpr_kernarg_preload_length 0
		.amdhsa_user_sgpr_kernarg_preload_offset 0
		.amdhsa_user_sgpr_private_segment_size 0
		.amdhsa_uses_dynamic_stack 0
		.amdhsa_system_sgpr_private_segment_wavefront_offset 0
		.amdhsa_system_sgpr_workgroup_id_x 1
		.amdhsa_system_sgpr_workgroup_id_y 1
		.amdhsa_system_sgpr_workgroup_id_z 0
		.amdhsa_system_sgpr_workgroup_info 0
		.amdhsa_system_vgpr_workitem_id 1
		.amdhsa_next_free_vgpr 110
		.amdhsa_next_free_sgpr 32
		.amdhsa_accum_offset 112
		.amdhsa_reserve_vcc 1
		.amdhsa_reserve_flat_scratch 0
		.amdhsa_float_round_mode_32 0
		.amdhsa_float_round_mode_16_64 0
		.amdhsa_float_denorm_mode_32 3
		.amdhsa_float_denorm_mode_16_64 3
		.amdhsa_dx10_clamp 1
		.amdhsa_ieee_mode 1
		.amdhsa_fp16_overflow 0
		.amdhsa_tg_split 0
		.amdhsa_exception_fp_ieee_invalid_op 0
		.amdhsa_exception_fp_denorm_src 0
		.amdhsa_exception_fp_ieee_div_zero 0
		.amdhsa_exception_fp_ieee_overflow 0
		.amdhsa_exception_fp_ieee_underflow 0
		.amdhsa_exception_fp_ieee_inexact 0
		.amdhsa_exception_int_div_zero 0
	.end_amdhsa_kernel
	.section	.text._ZN2at6native12_GLOBAL__N_135GammaBetaBackwardCUDAKernelTemplateIffLj64ELj1ELj32ELb1ELb1ELb1EEEvllPKT_S5_PKT0_S8_PS3_S9_,"axG",@progbits,_ZN2at6native12_GLOBAL__N_135GammaBetaBackwardCUDAKernelTemplateIffLj64ELj1ELj32ELb1ELb1ELb1EEEvllPKT_S5_PKT0_S8_PS3_S9_,comdat
.Lfunc_end142:
	.size	_ZN2at6native12_GLOBAL__N_135GammaBetaBackwardCUDAKernelTemplateIffLj64ELj1ELj32ELb1ELb1ELb1EEEvllPKT_S5_PKT0_S8_PS3_S9_, .Lfunc_end142-_ZN2at6native12_GLOBAL__N_135GammaBetaBackwardCUDAKernelTemplateIffLj64ELj1ELj32ELb1ELb1ELb1EEEvllPKT_S5_PKT0_S8_PS3_S9_
                                        ; -- End function
	.section	.AMDGPU.csdata,"",@progbits
; Kernel info:
; codeLenInByte = 2480
; NumSgprs: 36
; NumVgprs: 110
; NumAgprs: 0
; TotalNumVgprs: 110
; ScratchSize: 0
; MemoryBound: 0
; FloatMode: 240
; IeeeMode: 1
; LDSByteSize: 0 bytes/workgroup (compile time only)
; SGPRBlocks: 4
; VGPRBlocks: 13
; NumSGPRsForWavesPerEU: 36
; NumVGPRsForWavesPerEU: 110
; AccumOffset: 112
; Occupancy: 4
; WaveLimiterHint : 0
; COMPUTE_PGM_RSRC2:SCRATCH_EN: 0
; COMPUTE_PGM_RSRC2:USER_SGPR: 6
; COMPUTE_PGM_RSRC2:TRAP_HANDLER: 0
; COMPUTE_PGM_RSRC2:TGID_X_EN: 1
; COMPUTE_PGM_RSRC2:TGID_Y_EN: 1
; COMPUTE_PGM_RSRC2:TGID_Z_EN: 0
; COMPUTE_PGM_RSRC2:TIDIG_COMP_CNT: 1
; COMPUTE_PGM_RSRC3_GFX90A:ACCUM_OFFSET: 27
; COMPUTE_PGM_RSRC3_GFX90A:TG_SPLIT: 0
	.section	.text._ZN2at6native12_GLOBAL__N_135GammaBetaBackwardCUDAKernelTemplateIffLj64ELj1ELj32ELb1ELb0ELb1EEEvllPKT_S5_PKT0_S8_PS3_S9_,"axG",@progbits,_ZN2at6native12_GLOBAL__N_135GammaBetaBackwardCUDAKernelTemplateIffLj64ELj1ELj32ELb1ELb0ELb1EEEvllPKT_S5_PKT0_S8_PS3_S9_,comdat
	.globl	_ZN2at6native12_GLOBAL__N_135GammaBetaBackwardCUDAKernelTemplateIffLj64ELj1ELj32ELb1ELb0ELb1EEEvllPKT_S5_PKT0_S8_PS3_S9_ ; -- Begin function _ZN2at6native12_GLOBAL__N_135GammaBetaBackwardCUDAKernelTemplateIffLj64ELj1ELj32ELb1ELb0ELb1EEEvllPKT_S5_PKT0_S8_PS3_S9_
	.p2align	8
	.type	_ZN2at6native12_GLOBAL__N_135GammaBetaBackwardCUDAKernelTemplateIffLj64ELj1ELj32ELb1ELb0ELb1EEEvllPKT_S5_PKT0_S8_PS3_S9_,@function
_ZN2at6native12_GLOBAL__N_135GammaBetaBackwardCUDAKernelTemplateIffLj64ELj1ELj32ELb1ELb0ELb1EEEvllPKT_S5_PKT0_S8_PS3_S9_: ; @_ZN2at6native12_GLOBAL__N_135GammaBetaBackwardCUDAKernelTemplateIffLj64ELj1ELj32ELb1ELb0ELb1EEEvllPKT_S5_PKT0_S8_PS3_S9_
; %bb.0:
	s_load_dwordx8 s[12:19], s[4:5], 0x0
	s_load_dwordx2 s[20:21], s[4:5], 0x28
	s_mov_b32 s8, s7
	s_lshl_b32 s7, s6, 6
	v_mov_b32_e32 v253, v0
	s_or_b32 s22, s7, 63
	s_mov_b32 s23, 0
	s_waitcnt lgkmcnt(0)
	v_pk_mov_b32 v[0:1], s[14:15], s[14:15] op_sel:[0,1]
	v_cmp_ge_i64_e32 vcc, s[22:23], v[0:1]
	s_lshl_b32 s22, s8, 5
	v_pk_mov_b32 v[0:1], s[12:13], s[12:13] op_sel:[0,1]
	v_cmp_lt_i64_e64 s[0:1], s[22:23], v[0:1]
	v_cndmask_b32_e64 v0, 0, 1, s[0:1]
	v_cmp_ne_u32_e64 s[0:1], 1, v0
	s_cbranch_vccz .LBB143_145
; %bb.1:
	s_and_b64 vcc, exec, s[0:1]
	v_mov_b32_e32 v139, 0
	s_cbranch_vccnz .LBB143_146
; %bb.2:
	v_bfe_u32 v0, v253, 10, 10
	v_lshlrev_b32_e32 v2, 5, v0
	v_mov_b32_e32 v1, s23
	v_add_co_u32_e32 v121, vcc, s22, v2
	v_addc_co_u32_e32 v123, vcc, 0, v1, vcc
	v_add_co_u32_e32 v1, vcc, 31, v121
	v_addc_co_u32_e32 v3, vcc, 0, v123, vcc
	v_mul_lo_u32 v6, s15, v1
	v_mul_lo_u32 v3, s14, v3
	v_mad_u64_u32 v[4:5], s[2:3], s14, v1, 0
	v_add3_u32 v5, v5, v3, v6
	v_lshlrev_b64 v[6:7], 2, v[4:5]
	v_mov_b32_e32 v125, s17
	v_add_co_u32_e32 v4, vcc, s16, v6
	v_addc_co_u32_e32 v1, vcc, v125, v7, vcc
	v_mov_b32_e32 v127, s19
	v_add_co_u32_e32 v6, vcc, s18, v6
	v_addc_co_u32_e32 v3, vcc, v127, v7, vcc
	v_add_co_u32_e32 v5, vcc, 30, v121
	v_addc_co_u32_e32 v7, vcc, 0, v123, vcc
	v_mul_lo_u32 v10, s15, v5
	v_mul_lo_u32 v7, s14, v7
	v_mad_u64_u32 v[8:9], s[2:3], s14, v5, 0
	v_add3_u32 v9, v9, v7, v10
	v_lshlrev_b64 v[10:11], 2, v[8:9]
	v_add_co_u32_e32 v8, vcc, s16, v10
	v_addc_co_u32_e32 v5, vcc, v125, v11, vcc
	v_add_co_u32_e32 v10, vcc, s18, v10
	v_addc_co_u32_e32 v7, vcc, v127, v11, vcc
	v_add_co_u32_e32 v9, vcc, 29, v121
	v_addc_co_u32_e32 v11, vcc, 0, v123, vcc
	v_mul_lo_u32 v14, s15, v9
	v_mul_lo_u32 v11, s14, v11
	v_mad_u64_u32 v[12:13], s[2:3], s14, v9, 0
	v_add3_u32 v13, v13, v11, v14
	v_lshlrev_b64 v[14:15], 2, v[12:13]
	v_add_co_u32_e32 v12, vcc, s16, v14
	v_addc_co_u32_e32 v9, vcc, v125, v15, vcc
	;; [unrolled: 11-line block ×29, first 2 shown]
	v_add_co_u32_e32 v122, vcc, s18, v128
	v_addc_co_u32_e32 v119, vcc, v127, v129, vcc
	v_pk_mov_b32 v[128:129], s[14:15], s[14:15] op_sel:[0,1]
	v_mad_u64_u32 v[128:129], s[2:3], s14, v121, v[128:129]
	v_mul_lo_u32 v123, s14, v123
	v_mul_lo_u32 v124, s15, v121
	v_add3_u32 v129, v124, v129, v123
	v_lshlrev_b64 v[128:129], 2, v[128:129]
	v_mad_u64_u32 v[130:131], s[2:3], s14, v121, 0
	v_add3_u32 v131, v131, v123, v124
	v_add_co_u32_e32 v124, vcc, s16, v128
	v_addc_co_u32_e32 v121, vcc, v125, v129, vcc
	s_load_dword s10, s[4:5], 0x44
	v_add_co_u32_e32 v126, vcc, s18, v128
	v_addc_co_u32_e32 v123, vcc, v127, v129, vcc
	v_lshlrev_b64 v[130:131], 2, v[130:131]
	v_add_co_u32_e32 v128, vcc, s16, v130
	v_addc_co_u32_e32 v125, vcc, v125, v131, vcc
	s_add_u32 s24, s4, 64
	v_add_co_u32_e32 v130, vcc, s18, v130
	s_addc_u32 s25, s5, 0
	s_waitcnt lgkmcnt(0)
	s_lshl_b32 s33, s10, 5
	v_mbcnt_lo_u32_b32 v129, -1, 0
	v_addc_co_u32_e32 v127, vcc, v127, v131, vcc
	v_and_b32_e32 v131, 0x3ff, v253
	s_mul_i32 s10, s15, s33
	s_mul_hi_u32 s11, s14, s33
	v_mbcnt_hi_u32_b32 v129, -1, v129
	v_add_u32_e32 v132, s7, v131
	v_mov_b32_e32 v133, 0
	s_add_i32 s11, s11, s10
	s_mul_i32 s10, s14, s33
	v_lshlrev_b32_e32 v129, 2, v129
	s_mov_b32 s9, 0
	v_cmp_gt_i64_e64 s[2:3], s[14:15], v[132:133]
	s_mov_b64 s[26:27], 31
	s_lshl_b64 s[28:29], s[10:11], 2
	v_and_b32_e32 v162, 0x100, v129
	s_mov_b64 s[30:31], s[22:23]
	v_mov_b32_e32 v163, 0
	v_mov_b32_e32 v129, v133
	v_lshlrev_b64 v[134:135], 2, v[132:133]
.LBB143_3:                              ; =>This Inner Loop Header: Depth=1
	s_add_u32 s10, s22, s26
	s_addc_u32 s11, 0, s27
	v_pk_mov_b32 v[136:137], s[12:13], s[12:13] op_sel:[0,1]
	v_cmp_ge_i64_e32 vcc, s[10:11], v[136:137]
	v_mov_b32_e32 v132, s23
	v_add_co_u32_e64 v136, s[10:11], s22, v2
	v_addc_co_u32_e64 v137, s[10:11], v132, v129, s[10:11]
	s_cbranch_vccz .LBB143_73
; %bb.4:                                ;   in Loop: Header=BB143_3 Depth=1
	s_load_dword s10, s[24:25], 0xc
	v_mov_b32_e32 v164, 0
	s_waitcnt lgkmcnt(0)
	s_and_b32 s10, s10, 0xffff
	v_mad_u32_u24 v132, v0, s10, v131
	v_and_b32_e32 v138, 63, v132
	v_cmp_gt_u32_e32 vcc, 32, v138
	v_mov_b32_e32 v132, 0
	s_and_saveexec_b64 s[10:11], vcc
	s_cbranch_execz .LBB143_8
; %bb.5:                                ;   in Loop: Header=BB143_3 Depth=1
	v_add_co_u32_e32 v138, vcc, v136, v138
	v_addc_co_u32_e32 v139, vcc, 0, v137, vcc
	v_cmp_gt_i64_e32 vcc, s[12:13], v[138:139]
	v_mov_b32_e32 v132, 0
	s_and_saveexec_b64 s[34:35], vcc
	s_cbranch_execz .LBB143_7
; %bb.6:                                ;   in Loop: Header=BB143_3 Depth=1
	v_lshlrev_b64 v[138:139], 2, v[138:139]
	v_mov_b32_e32 v132, s21
	v_add_co_u32_e32 v138, vcc, s20, v138
	v_addc_co_u32_e32 v139, vcc, v132, v139, vcc
	global_load_dword v132, v[138:139], off
.LBB143_7:                              ;   in Loop: Header=BB143_3 Depth=1
	s_or_b64 exec, exec, s[34:35]
.LBB143_8:                              ;   in Loop: Header=BB143_3 Depth=1
	s_or_b64 exec, exec, s[10:11]
	v_cmp_gt_i64_e32 vcc, s[12:13], v[136:137]
	s_and_b64 s[34:35], s[2:3], vcc
	v_mov_b32_e32 v165, 0
	s_and_saveexec_b64 s[10:11], s[34:35]
	s_cbranch_execz .LBB143_10
; %bb.9:                                ;   in Loop: Header=BB143_3 Depth=1
	v_add_co_u32_e32 v138, vcc, v128, v134
	v_addc_co_u32_e32 v139, vcc, v125, v135, vcc
	global_load_dword v164, v[138:139], off
	v_add_co_u32_e32 v138, vcc, v130, v134
	v_addc_co_u32_e32 v139, vcc, v127, v135, vcc
	global_load_dword v165, v[138:139], off
.LBB143_10:                             ;   in Loop: Header=BB143_3 Depth=1
	s_or_b64 exec, exec, s[10:11]
	v_add_co_u32_e32 v138, vcc, 1, v136
	v_addc_co_u32_e32 v139, vcc, 0, v137, vcc
	v_cmp_gt_i64_e32 vcc, s[12:13], v[138:139]
	s_and_b64 s[34:35], s[2:3], vcc
	v_mov_b32_e32 v166, 0
	v_mov_b32_e32 v167, 0
	v_mov_b32_e32 v168, 0
	s_and_saveexec_b64 s[10:11], s[34:35]
	s_cbranch_execz .LBB143_12
; %bb.11:                               ;   in Loop: Header=BB143_3 Depth=1
	v_add_co_u32_e32 v138, vcc, v124, v134
	v_addc_co_u32_e32 v139, vcc, v121, v135, vcc
	global_load_dword v167, v[138:139], off
	v_add_co_u32_e32 v138, vcc, v126, v134
	v_addc_co_u32_e32 v139, vcc, v123, v135, vcc
	global_load_dword v168, v[138:139], off
.LBB143_12:                             ;   in Loop: Header=BB143_3 Depth=1
	s_or_b64 exec, exec, s[10:11]
	v_add_co_u32_e32 v138, vcc, 2, v136
	v_addc_co_u32_e32 v139, vcc, 0, v137, vcc
	v_cmp_gt_i64_e32 vcc, s[12:13], v[138:139]
	s_and_b64 s[34:35], s[2:3], vcc
	v_mov_b32_e32 v169, 0
	s_and_saveexec_b64 s[10:11], s[34:35]
	s_cbranch_execz .LBB143_14
; %bb.13:                               ;   in Loop: Header=BB143_3 Depth=1
	v_add_co_u32_e32 v138, vcc, v120, v134
	v_addc_co_u32_e32 v139, vcc, v117, v135, vcc
	global_load_dword v166, v[138:139], off
	v_add_co_u32_e32 v138, vcc, v122, v134
	v_addc_co_u32_e32 v139, vcc, v119, v135, vcc
	global_load_dword v169, v[138:139], off
.LBB143_14:                             ;   in Loop: Header=BB143_3 Depth=1
	s_or_b64 exec, exec, s[10:11]
	v_add_co_u32_e32 v138, vcc, 3, v136
	v_addc_co_u32_e32 v139, vcc, 0, v137, vcc
	v_cmp_gt_i64_e32 vcc, s[12:13], v[138:139]
	s_and_b64 s[34:35], s[2:3], vcc
	v_mov_b32_e32 v170, 0
	v_mov_b32_e32 v171, 0
	v_mov_b32_e32 v172, 0
	s_and_saveexec_b64 s[10:11], s[34:35]
	s_cbranch_execz .LBB143_16
; %bb.15:                               ;   in Loop: Header=BB143_3 Depth=1
	v_add_co_u32_e32 v138, vcc, v116, v134
	v_addc_co_u32_e32 v139, vcc, v113, v135, vcc
	global_load_dword v171, v[138:139], off
	v_add_co_u32_e32 v138, vcc, v118, v134
	v_addc_co_u32_e32 v139, vcc, v115, v135, vcc
	global_load_dword v172, v[138:139], off
.LBB143_16:                             ;   in Loop: Header=BB143_3 Depth=1
	s_or_b64 exec, exec, s[10:11]
	v_add_co_u32_e32 v138, vcc, 4, v136
	v_addc_co_u32_e32 v139, vcc, 0, v137, vcc
	v_cmp_gt_i64_e32 vcc, s[12:13], v[138:139]
	s_and_b64 s[34:35], s[2:3], vcc
	v_mov_b32_e32 v173, 0
	s_and_saveexec_b64 s[10:11], s[34:35]
	s_cbranch_execz .LBB143_18
; %bb.17:                               ;   in Loop: Header=BB143_3 Depth=1
	v_add_co_u32_e32 v138, vcc, v112, v134
	v_addc_co_u32_e32 v139, vcc, v109, v135, vcc
	global_load_dword v170, v[138:139], off
	v_add_co_u32_e32 v138, vcc, v114, v134
	v_addc_co_u32_e32 v139, vcc, v111, v135, vcc
	global_load_dword v173, v[138:139], off
.LBB143_18:                             ;   in Loop: Header=BB143_3 Depth=1
	;; [unrolled: 34-line block ×15, first 2 shown]
	s_or_b64 exec, exec, s[10:11]
	v_add_co_u32_e32 v202, vcc, 31, v136
	v_addc_co_u32_e32 v203, vcc, 0, v137, vcc
	v_cmp_gt_i64_e32 vcc, s[12:13], v[202:203]
	s_and_b64 s[34:35], s[2:3], vcc
	v_mov_b32_e32 v202, 0
	s_and_saveexec_b64 s[10:11], s[34:35]
	s_cbranch_execz .LBB143_72
; %bb.71:                               ;   in Loop: Header=BB143_3 Depth=1
	v_add_co_u32_e32 v202, vcc, v4, v134
	v_addc_co_u32_e32 v203, vcc, v1, v135, vcc
	global_load_dword v204, v[202:203], off
	v_add_co_u32_e32 v202, vcc, v6, v134
	v_addc_co_u32_e32 v203, vcc, v3, v135, vcc
	global_load_dword v202, v[202:203], off
	s_waitcnt vmcnt(0)
	v_mul_f32_e32 v202, v204, v202
.LBB143_72:                             ;   in Loop: Header=BB143_3 Depth=1
	s_or_b64 exec, exec, s[10:11]
	s_waitcnt vmcnt(0)
	ds_bpermute_b32 v203, v162, v132
	ds_bpermute_b32 v204, v162, v132 offset:4
	v_mul_f32_e32 v164, v164, v165
	v_mul_f32_e32 v165, v167, v168
	ds_bpermute_b32 v167, v162, v132 offset:8
	s_waitcnt lgkmcnt(2)
	v_fma_f32 v168, v164, v203, v163
	ds_bpermute_b32 v164, v162, v132 offset:12
	s_waitcnt lgkmcnt(2)
	v_fmac_f32_e32 v168, v165, v204
	v_mul_f32_e32 v165, v166, v169
	s_waitcnt lgkmcnt(1)
	v_fmac_f32_e32 v168, v165, v167
	ds_bpermute_b32 v165, v162, v132 offset:16
	v_mul_f32_e32 v166, v171, v172
	s_waitcnt lgkmcnt(1)
	v_fmac_f32_e32 v168, v166, v164
	ds_bpermute_b32 v164, v162, v132 offset:20
	;; [unrolled: 4-line block ×10, first 2 shown]
	v_mul_f32_e32 v166, v186, v189
	s_waitcnt lgkmcnt(1)
	v_fmac_f32_e32 v168, v166, v165
	v_mul_f32_e32 v165, v191, v192
	ds_bpermute_b32 v166, v162, v132 offset:56
	s_waitcnt lgkmcnt(1)
	v_fmac_f32_e32 v168, v165, v164
	ds_bpermute_b32 v164, v162, v132 offset:60
	ds_bpermute_b32 v167, v162, v132 offset:64
	v_mul_f32_e32 v165, v190, v193
	s_waitcnt lgkmcnt(2)
	v_fmac_f32_e32 v168, v165, v166
	v_mul_f32_e32 v165, v195, v196
	s_waitcnt lgkmcnt(1)
	v_fmac_f32_e32 v168, v165, v164
	v_mul_f32_e32 v164, v194, v197
	ds_bpermute_b32 v166, v162, v132 offset:68
	s_waitcnt lgkmcnt(1)
	v_fmac_f32_e32 v168, v164, v167
	ds_bpermute_b32 v169, v162, v132 offset:72
	ds_bpermute_b32 v164, v162, v132 offset:76
	;; [unrolled: 1-line block ×3, first 2 shown]
	v_mul_f32_e32 v167, v199, v200
	s_waitcnt lgkmcnt(3)
	v_fmac_f32_e32 v168, v167, v166
	v_mul_f32_e32 v166, v198, v201
	v_pk_mul_f32 v[138:139], v[138:139], v[140:141]
	ds_bpermute_b32 v140, v162, v132 offset:84
	ds_bpermute_b32 v141, v162, v132 offset:88
	s_waitcnt lgkmcnt(4)
	v_fmac_f32_e32 v168, v166, v169
	s_waitcnt lgkmcnt(2)
	v_pk_mul_f32 v[138:139], v[138:139], v[164:165]
	v_add_f32_e32 v138, v168, v138
	v_add_f32_e32 v164, v138, v139
	v_pk_mul_f32 v[138:139], v[142:143], v[144:145]
	ds_bpermute_b32 v142, v162, v132 offset:92
	ds_bpermute_b32 v143, v162, v132 offset:96
	s_waitcnt lgkmcnt(2)
	v_pk_mul_f32 v[138:139], v[138:139], v[140:141]
	v_add_f32_e32 v138, v164, v138
	v_add_f32_e32 v140, v138, v139
	v_pk_mul_f32 v[138:139], v[146:147], v[148:149]
	s_waitcnt lgkmcnt(0)
	v_pk_mul_f32 v[138:139], v[138:139], v[142:143]
	v_add_f32_e32 v138, v140, v138
	ds_bpermute_b32 v140, v162, v132 offset:100
	ds_bpermute_b32 v141, v162, v132 offset:104
	;; [unrolled: 1-line block ×4, first 2 shown]
	v_add_f32_e32 v144, v138, v139
	v_pk_mul_f32 v[138:139], v[150:151], v[152:153]
	s_waitcnt lgkmcnt(2)
	v_pk_mul_f32 v[138:139], v[138:139], v[140:141]
	v_add_f32_e32 v138, v144, v138
	ds_bpermute_b32 v140, v162, v132 offset:116
	ds_bpermute_b32 v141, v162, v132 offset:120
	v_add_f32_e32 v144, v138, v139
	v_pk_mul_f32 v[138:139], v[154:155], v[156:157]
	s_waitcnt lgkmcnt(2)
	v_pk_mul_f32 v[138:139], v[138:139], v[142:143]
	v_add_f32_e32 v138, v144, v138
	ds_bpermute_b32 v132, v162, v132 offset:124
	v_add_f32_e32 v142, v138, v139
	v_pk_mul_f32 v[138:139], v[158:159], v[160:161]
	s_waitcnt lgkmcnt(1)
	v_pk_mul_f32 v[138:139], v[138:139], v[140:141]
	v_add_f32_e32 v138, v142, v138
	v_add_f32_e32 v139, v138, v139
	s_branch .LBB143_141
.LBB143_73:                             ;   in Loop: Header=BB143_3 Depth=1
                                        ; implicit-def: $vgpr139
                                        ; implicit-def: $vgpr202
                                        ; implicit-def: $vgpr132
	s_cbranch_execz .LBB143_141
; %bb.74:                               ;   in Loop: Header=BB143_3 Depth=1
	s_load_dword s10, s[24:25], 0x0
	v_mov_b32_e32 v160, 0
	s_waitcnt lgkmcnt(0)
	s_cmp_lt_u32 s6, s10
	s_cselect_b32 s10, 12, 18
	s_add_u32 s10, s24, s10
	s_addc_u32 s11, s25, 0
	global_load_ushort v132, v133, s[10:11]
	s_waitcnt vmcnt(0)
	v_mad_u32_u24 v132, v0, v132, v131
	v_and_b32_e32 v138, 63, v132
	v_cmp_gt_u32_e32 vcc, 32, v138
	v_mov_b32_e32 v132, 0
	s_and_saveexec_b64 s[10:11], vcc
	s_cbranch_execz .LBB143_78
; %bb.75:                               ;   in Loop: Header=BB143_3 Depth=1
	v_add_co_u32_e32 v136, vcc, v136, v138
	v_addc_co_u32_e32 v137, vcc, 0, v137, vcc
	v_cmp_gt_i64_e32 vcc, s[12:13], v[136:137]
	v_mov_b32_e32 v132, 0
	s_and_saveexec_b64 s[34:35], vcc
	s_cbranch_execz .LBB143_77
; %bb.76:                               ;   in Loop: Header=BB143_3 Depth=1
	v_lshlrev_b64 v[136:137], 2, v[136:137]
	v_mov_b32_e32 v132, s21
	v_add_co_u32_e32 v136, vcc, s20, v136
	v_addc_co_u32_e32 v137, vcc, v132, v137, vcc
	global_load_dword v132, v[136:137], off
.LBB143_77:                             ;   in Loop: Header=BB143_3 Depth=1
	s_or_b64 exec, exec, s[34:35]
.LBB143_78:                             ;   in Loop: Header=BB143_3 Depth=1
	s_or_b64 exec, exec, s[10:11]
	v_mov_b32_e32 v161, 0
	s_and_saveexec_b64 s[10:11], s[2:3]
	s_cbranch_execz .LBB143_80
; %bb.79:                               ;   in Loop: Header=BB143_3 Depth=1
	v_add_co_u32_e32 v136, vcc, v128, v134
	v_addc_co_u32_e32 v137, vcc, v125, v135, vcc
	global_load_dword v160, v[136:137], off
	v_add_co_u32_e32 v136, vcc, v130, v134
	v_addc_co_u32_e32 v137, vcc, v127, v135, vcc
	global_load_dword v161, v[136:137], off
.LBB143_80:                             ;   in Loop: Header=BB143_3 Depth=1
	s_or_b64 exec, exec, s[10:11]
	v_mov_b32_e32 v164, 0
	v_mov_b32_e32 v165, 0
	v_mov_b32_e32 v166, 0
	s_and_saveexec_b64 s[10:11], s[2:3]
	s_cbranch_execz .LBB143_82
; %bb.81:                               ;   in Loop: Header=BB143_3 Depth=1
	v_add_co_u32_e32 v136, vcc, v124, v134
	v_addc_co_u32_e32 v137, vcc, v121, v135, vcc
	global_load_dword v165, v[136:137], off
	v_add_co_u32_e32 v136, vcc, v126, v134
	v_addc_co_u32_e32 v137, vcc, v123, v135, vcc
	global_load_dword v166, v[136:137], off
.LBB143_82:                             ;   in Loop: Header=BB143_3 Depth=1
	s_or_b64 exec, exec, s[10:11]
	v_mov_b32_e32 v167, 0
	s_and_saveexec_b64 s[10:11], s[2:3]
	s_cbranch_execz .LBB143_84
; %bb.83:                               ;   in Loop: Header=BB143_3 Depth=1
	v_add_co_u32_e32 v136, vcc, v120, v134
	v_addc_co_u32_e32 v137, vcc, v117, v135, vcc
	global_load_dword v164, v[136:137], off
	v_add_co_u32_e32 v136, vcc, v122, v134
	v_addc_co_u32_e32 v137, vcc, v119, v135, vcc
	global_load_dword v167, v[136:137], off
.LBB143_84:                             ;   in Loop: Header=BB143_3 Depth=1
	s_or_b64 exec, exec, s[10:11]
	v_mov_b32_e32 v168, 0
	v_mov_b32_e32 v169, 0
	v_mov_b32_e32 v170, 0
	s_and_saveexec_b64 s[10:11], s[2:3]
	s_cbranch_execz .LBB143_86
; %bb.85:                               ;   in Loop: Header=BB143_3 Depth=1
	v_add_co_u32_e32 v136, vcc, v116, v134
	v_addc_co_u32_e32 v137, vcc, v113, v135, vcc
	global_load_dword v169, v[136:137], off
	v_add_co_u32_e32 v136, vcc, v118, v134
	v_addc_co_u32_e32 v137, vcc, v115, v135, vcc
	global_load_dword v170, v[136:137], off
.LBB143_86:                             ;   in Loop: Header=BB143_3 Depth=1
	;; [unrolled: 26-line block ×5, first 2 shown]
	s_or_b64 exec, exec, s[10:11]
	v_mov_b32_e32 v183, 0
	s_and_saveexec_b64 s[10:11], s[2:3]
	s_cbranch_execz .LBB143_100
; %bb.99:                               ;   in Loop: Header=BB143_3 Depth=1
	v_add_co_u32_e32 v136, vcc, v88, v134
	v_addc_co_u32_e32 v137, vcc, v85, v135, vcc
	global_load_dword v180, v[136:137], off
	v_add_co_u32_e32 v136, vcc, v90, v134
	v_addc_co_u32_e32 v137, vcc, v87, v135, vcc
	global_load_dword v183, v[136:137], off
.LBB143_100:                            ;   in Loop: Header=BB143_3 Depth=1
	s_or_b64 exec, exec, s[10:11]
	v_mov_b32_e32 v184, 0
	v_mov_b32_e32 v185, 0
	v_mov_b32_e32 v186, 0
	s_and_saveexec_b64 s[10:11], s[2:3]
	s_cbranch_execz .LBB143_102
; %bb.101:                              ;   in Loop: Header=BB143_3 Depth=1
	v_add_co_u32_e32 v136, vcc, v84, v134
	v_addc_co_u32_e32 v137, vcc, v81, v135, vcc
	global_load_dword v185, v[136:137], off
	v_add_co_u32_e32 v136, vcc, v86, v134
	v_addc_co_u32_e32 v137, vcc, v83, v135, vcc
	global_load_dword v186, v[136:137], off
.LBB143_102:                            ;   in Loop: Header=BB143_3 Depth=1
	s_or_b64 exec, exec, s[10:11]
	v_mov_b32_e32 v187, 0
	s_and_saveexec_b64 s[10:11], s[2:3]
	s_cbranch_execz .LBB143_104
; %bb.103:                              ;   in Loop: Header=BB143_3 Depth=1
	v_add_co_u32_e32 v136, vcc, v80, v134
	v_addc_co_u32_e32 v137, vcc, v77, v135, vcc
	global_load_dword v184, v[136:137], off
	v_add_co_u32_e32 v136, vcc, v82, v134
	v_addc_co_u32_e32 v137, vcc, v79, v135, vcc
	global_load_dword v187, v[136:137], off
.LBB143_104:                            ;   in Loop: Header=BB143_3 Depth=1
	s_or_b64 exec, exec, s[10:11]
	v_mov_b32_e32 v188, 0
	v_mov_b32_e32 v189, 0
	v_mov_b32_e32 v190, 0
	s_and_saveexec_b64 s[10:11], s[2:3]
	s_cbranch_execz .LBB143_106
; %bb.105:                              ;   in Loop: Header=BB143_3 Depth=1
	v_add_co_u32_e32 v136, vcc, v76, v134
	v_addc_co_u32_e32 v137, vcc, v73, v135, vcc
	global_load_dword v189, v[136:137], off
	v_add_co_u32_e32 v136, vcc, v78, v134
	v_addc_co_u32_e32 v137, vcc, v75, v135, vcc
	global_load_dword v190, v[136:137], off
.LBB143_106:                            ;   in Loop: Header=BB143_3 Depth=1
	s_or_b64 exec, exec, s[10:11]
	v_mov_b32_e32 v191, 0
	s_and_saveexec_b64 s[10:11], s[2:3]
	s_cbranch_execz .LBB143_108
; %bb.107:                              ;   in Loop: Header=BB143_3 Depth=1
	v_add_co_u32_e32 v136, vcc, v72, v134
	v_addc_co_u32_e32 v137, vcc, v69, v135, vcc
	global_load_dword v188, v[136:137], off
	v_add_co_u32_e32 v136, vcc, v74, v134
	v_addc_co_u32_e32 v137, vcc, v71, v135, vcc
	global_load_dword v191, v[136:137], off
.LBB143_108:                            ;   in Loop: Header=BB143_3 Depth=1
	s_or_b64 exec, exec, s[10:11]
	v_mov_b32_e32 v192, 0
	v_mov_b32_e32 v193, 0
	v_mov_b32_e32 v194, 0
	s_and_saveexec_b64 s[10:11], s[2:3]
	s_cbranch_execz .LBB143_110
; %bb.109:                              ;   in Loop: Header=BB143_3 Depth=1
	v_add_co_u32_e32 v136, vcc, v68, v134
	v_addc_co_u32_e32 v137, vcc, v65, v135, vcc
	global_load_dword v193, v[136:137], off
	v_add_co_u32_e32 v136, vcc, v70, v134
	v_addc_co_u32_e32 v137, vcc, v67, v135, vcc
	global_load_dword v194, v[136:137], off
.LBB143_110:                            ;   in Loop: Header=BB143_3 Depth=1
	s_or_b64 exec, exec, s[10:11]
	v_mov_b32_e32 v196, 0
	s_and_saveexec_b64 s[10:11], s[2:3]
	s_cbranch_execz .LBB143_112
; %bb.111:                              ;   in Loop: Header=BB143_3 Depth=1
	v_add_co_u32_e32 v136, vcc, v64, v134
	v_addc_co_u32_e32 v137, vcc, v61, v135, vcc
	global_load_dword v192, v[136:137], off
	v_add_co_u32_e32 v136, vcc, v66, v134
	v_addc_co_u32_e32 v137, vcc, v63, v135, vcc
	global_load_dword v196, v[136:137], off
.LBB143_112:                            ;   in Loop: Header=BB143_3 Depth=1
	s_or_b64 exec, exec, s[10:11]
	v_mov_b32_e32 v195, 0
	v_mov_b32_e32 v197, 0
	v_mov_b32_e32 v198, 0
	s_and_saveexec_b64 s[10:11], s[2:3]
	s_cbranch_execz .LBB143_114
; %bb.113:                              ;   in Loop: Header=BB143_3 Depth=1
	v_add_co_u32_e32 v136, vcc, v60, v134
	v_addc_co_u32_e32 v137, vcc, v57, v135, vcc
	global_load_dword v197, v[136:137], off
	v_add_co_u32_e32 v136, vcc, v62, v134
	v_addc_co_u32_e32 v137, vcc, v59, v135, vcc
	global_load_dword v198, v[136:137], off
.LBB143_114:                            ;   in Loop: Header=BB143_3 Depth=1
	s_or_b64 exec, exec, s[10:11]
	v_mov_b32_e32 v199, 0
	s_and_saveexec_b64 s[10:11], s[2:3]
	s_cbranch_execz .LBB143_116
; %bb.115:                              ;   in Loop: Header=BB143_3 Depth=1
	v_add_co_u32_e32 v136, vcc, v56, v134
	v_addc_co_u32_e32 v137, vcc, v53, v135, vcc
	global_load_dword v195, v[136:137], off
	v_add_co_u32_e32 v136, vcc, v58, v134
	v_addc_co_u32_e32 v137, vcc, v55, v135, vcc
	global_load_dword v199, v[136:137], off
.LBB143_116:                            ;   in Loop: Header=BB143_3 Depth=1
	s_or_b64 exec, exec, s[10:11]
	v_mov_b32_e32 v137, 0
	v_mov_b32_e32 v136, 0
	v_mov_b32_e32 v138, 0
	s_and_saveexec_b64 s[10:11], s[2:3]
	s_cbranch_execz .LBB143_118
; %bb.117:                              ;   in Loop: Header=BB143_3 Depth=1
	v_add_co_u32_e32 v138, vcc, v52, v134
	v_addc_co_u32_e32 v139, vcc, v49, v135, vcc
	global_load_dword v136, v[138:139], off
	v_add_co_u32_e32 v138, vcc, v54, v134
	v_addc_co_u32_e32 v139, vcc, v51, v135, vcc
	global_load_dword v138, v[138:139], off
.LBB143_118:                            ;   in Loop: Header=BB143_3 Depth=1
	s_or_b64 exec, exec, s[10:11]
	v_mov_b32_e32 v139, 0
	s_and_saveexec_b64 s[10:11], s[2:3]
	s_cbranch_execz .LBB143_120
; %bb.119:                              ;   in Loop: Header=BB143_3 Depth=1
	v_add_co_u32_e32 v140, vcc, v48, v134
	v_addc_co_u32_e32 v141, vcc, v45, v135, vcc
	global_load_dword v137, v[140:141], off
	v_add_co_u32_e32 v140, vcc, v50, v134
	v_addc_co_u32_e32 v141, vcc, v47, v135, vcc
	global_load_dword v139, v[140:141], off
.LBB143_120:                            ;   in Loop: Header=BB143_3 Depth=1
	s_or_b64 exec, exec, s[10:11]
	v_mov_b32_e32 v141, 0
	v_mov_b32_e32 v140, 0
	v_mov_b32_e32 v142, 0
	s_and_saveexec_b64 s[10:11], s[2:3]
	s_cbranch_execz .LBB143_122
; %bb.121:                              ;   in Loop: Header=BB143_3 Depth=1
	v_add_co_u32_e32 v142, vcc, v44, v134
	v_addc_co_u32_e32 v143, vcc, v41, v135, vcc
	global_load_dword v140, v[142:143], off
	v_add_co_u32_e32 v142, vcc, v46, v134
	v_addc_co_u32_e32 v143, vcc, v43, v135, vcc
	global_load_dword v142, v[142:143], off
.LBB143_122:                            ;   in Loop: Header=BB143_3 Depth=1
	s_or_b64 exec, exec, s[10:11]
	v_mov_b32_e32 v143, 0
	s_and_saveexec_b64 s[10:11], s[2:3]
	s_cbranch_execz .LBB143_124
; %bb.123:                              ;   in Loop: Header=BB143_3 Depth=1
	v_add_co_u32_e32 v144, vcc, v40, v134
	v_addc_co_u32_e32 v145, vcc, v37, v135, vcc
	global_load_dword v141, v[144:145], off
	v_add_co_u32_e32 v144, vcc, v42, v134
	v_addc_co_u32_e32 v145, vcc, v39, v135, vcc
	global_load_dword v143, v[144:145], off
.LBB143_124:                            ;   in Loop: Header=BB143_3 Depth=1
	s_or_b64 exec, exec, s[10:11]
	v_mov_b32_e32 v145, 0
	v_mov_b32_e32 v144, 0
	v_mov_b32_e32 v146, 0
	s_and_saveexec_b64 s[10:11], s[2:3]
	s_cbranch_execz .LBB143_126
; %bb.125:                              ;   in Loop: Header=BB143_3 Depth=1
	v_add_co_u32_e32 v146, vcc, v36, v134
	v_addc_co_u32_e32 v147, vcc, v33, v135, vcc
	global_load_dword v144, v[146:147], off
	v_add_co_u32_e32 v146, vcc, v38, v134
	v_addc_co_u32_e32 v147, vcc, v35, v135, vcc
	global_load_dword v146, v[146:147], off
.LBB143_126:                            ;   in Loop: Header=BB143_3 Depth=1
	s_or_b64 exec, exec, s[10:11]
	v_mov_b32_e32 v147, 0
	s_and_saveexec_b64 s[10:11], s[2:3]
	s_cbranch_execz .LBB143_128
; %bb.127:                              ;   in Loop: Header=BB143_3 Depth=1
	v_add_co_u32_e32 v148, vcc, v32, v134
	v_addc_co_u32_e32 v149, vcc, v29, v135, vcc
	global_load_dword v145, v[148:149], off
	v_add_co_u32_e32 v148, vcc, v34, v134
	v_addc_co_u32_e32 v149, vcc, v31, v135, vcc
	global_load_dword v147, v[148:149], off
.LBB143_128:                            ;   in Loop: Header=BB143_3 Depth=1
	s_or_b64 exec, exec, s[10:11]
	v_mov_b32_e32 v149, 0
	v_mov_b32_e32 v148, 0
	v_mov_b32_e32 v150, 0
	s_and_saveexec_b64 s[10:11], s[2:3]
	s_cbranch_execz .LBB143_130
; %bb.129:                              ;   in Loop: Header=BB143_3 Depth=1
	v_add_co_u32_e32 v150, vcc, v28, v134
	v_addc_co_u32_e32 v151, vcc, v25, v135, vcc
	global_load_dword v148, v[150:151], off
	v_add_co_u32_e32 v150, vcc, v30, v134
	v_addc_co_u32_e32 v151, vcc, v27, v135, vcc
	global_load_dword v150, v[150:151], off
.LBB143_130:                            ;   in Loop: Header=BB143_3 Depth=1
	s_or_b64 exec, exec, s[10:11]
	v_mov_b32_e32 v151, 0
	s_and_saveexec_b64 s[10:11], s[2:3]
	s_cbranch_execz .LBB143_132
; %bb.131:                              ;   in Loop: Header=BB143_3 Depth=1
	v_add_co_u32_e32 v152, vcc, v24, v134
	v_addc_co_u32_e32 v153, vcc, v21, v135, vcc
	global_load_dword v149, v[152:153], off
	v_add_co_u32_e32 v152, vcc, v26, v134
	v_addc_co_u32_e32 v153, vcc, v23, v135, vcc
	global_load_dword v151, v[152:153], off
.LBB143_132:                            ;   in Loop: Header=BB143_3 Depth=1
	s_or_b64 exec, exec, s[10:11]
	v_mov_b32_e32 v153, 0
	v_mov_b32_e32 v152, 0
	v_mov_b32_e32 v154, 0
	s_and_saveexec_b64 s[10:11], s[2:3]
	s_cbranch_execz .LBB143_134
; %bb.133:                              ;   in Loop: Header=BB143_3 Depth=1
	v_add_co_u32_e32 v154, vcc, v20, v134
	v_addc_co_u32_e32 v155, vcc, v17, v135, vcc
	global_load_dword v152, v[154:155], off
	v_add_co_u32_e32 v154, vcc, v22, v134
	v_addc_co_u32_e32 v155, vcc, v19, v135, vcc
	global_load_dword v154, v[154:155], off
.LBB143_134:                            ;   in Loop: Header=BB143_3 Depth=1
	s_or_b64 exec, exec, s[10:11]
	v_mov_b32_e32 v155, 0
	s_and_saveexec_b64 s[10:11], s[2:3]
	s_cbranch_execz .LBB143_136
; %bb.135:                              ;   in Loop: Header=BB143_3 Depth=1
	v_add_co_u32_e32 v156, vcc, v16, v134
	v_addc_co_u32_e32 v157, vcc, v13, v135, vcc
	global_load_dword v153, v[156:157], off
	v_add_co_u32_e32 v156, vcc, v18, v134
	v_addc_co_u32_e32 v157, vcc, v15, v135, vcc
	global_load_dword v155, v[156:157], off
.LBB143_136:                            ;   in Loop: Header=BB143_3 Depth=1
	s_or_b64 exec, exec, s[10:11]
	v_mov_b32_e32 v157, 0
	v_mov_b32_e32 v156, 0
	;; [unrolled: 1-line block ×3, first 2 shown]
	s_and_saveexec_b64 s[10:11], s[2:3]
	s_cbranch_execnz .LBB143_143
; %bb.137:                              ;   in Loop: Header=BB143_3 Depth=1
	s_or_b64 exec, exec, s[10:11]
	v_mov_b32_e32 v159, 0
	s_and_saveexec_b64 s[10:11], s[2:3]
	s_cbranch_execnz .LBB143_144
.LBB143_138:                            ;   in Loop: Header=BB143_3 Depth=1
	s_or_b64 exec, exec, s[10:11]
	v_mov_b32_e32 v202, 0
	s_and_saveexec_b64 s[10:11], s[2:3]
	s_cbranch_execz .LBB143_140
.LBB143_139:                            ;   in Loop: Header=BB143_3 Depth=1
	v_add_co_u32_e32 v200, vcc, v4, v134
	v_addc_co_u32_e32 v201, vcc, v1, v135, vcc
	global_load_dword v202, v[200:201], off
	v_add_co_u32_e32 v200, vcc, v6, v134
	v_addc_co_u32_e32 v201, vcc, v3, v135, vcc
	global_load_dword v200, v[200:201], off
	s_waitcnt vmcnt(0)
	v_mul_f32_e32 v202, v202, v200
.LBB143_140:                            ;   in Loop: Header=BB143_3 Depth=1
	s_or_b64 exec, exec, s[10:11]
	s_waitcnt vmcnt(0)
	ds_bpermute_b32 v200, v162, v132
	ds_bpermute_b32 v201, v162, v132 offset:4
	v_mul_f32_e32 v160, v160, v161
	v_mul_f32_e32 v161, v165, v166
	ds_bpermute_b32 v165, v162, v132 offset:8
	s_waitcnt lgkmcnt(2)
	v_fmac_f32_e32 v163, v160, v200
	ds_bpermute_b32 v160, v162, v132 offset:12
	s_waitcnt lgkmcnt(2)
	v_fmac_f32_e32 v163, v161, v201
	v_mul_f32_e32 v161, v164, v167
	s_waitcnt lgkmcnt(1)
	v_fmac_f32_e32 v163, v161, v165
	ds_bpermute_b32 v161, v162, v132 offset:16
	v_mul_f32_e32 v164, v169, v170
	s_waitcnt lgkmcnt(1)
	v_fmac_f32_e32 v163, v164, v160
	ds_bpermute_b32 v160, v162, v132 offset:20
	;; [unrolled: 4-line block ×10, first 2 shown]
	v_mul_f32_e32 v164, v184, v187
	s_waitcnt lgkmcnt(1)
	v_fmac_f32_e32 v163, v164, v161
	v_mul_f32_e32 v161, v189, v190
	ds_bpermute_b32 v164, v162, v132 offset:56
	s_waitcnt lgkmcnt(1)
	v_fmac_f32_e32 v163, v161, v160
	ds_bpermute_b32 v160, v162, v132 offset:60
	ds_bpermute_b32 v165, v162, v132 offset:64
	v_mul_f32_e32 v161, v188, v191
	s_waitcnt lgkmcnt(2)
	v_fmac_f32_e32 v163, v161, v164
	v_mul_f32_e32 v161, v193, v194
	s_waitcnt lgkmcnt(1)
	v_fmac_f32_e32 v163, v161, v160
	v_mul_f32_e32 v160, v192, v196
	ds_bpermute_b32 v164, v162, v132 offset:68
	s_waitcnt lgkmcnt(1)
	v_fmac_f32_e32 v163, v160, v165
	ds_bpermute_b32 v166, v162, v132 offset:72
	ds_bpermute_b32 v160, v162, v132 offset:76
	;; [unrolled: 1-line block ×3, first 2 shown]
	v_mul_f32_e32 v165, v197, v198
	s_waitcnt lgkmcnt(3)
	v_fmac_f32_e32 v163, v165, v164
	v_mul_f32_e32 v164, v195, v199
	v_pk_mul_f32 v[136:137], v[136:137], v[138:139]
	ds_bpermute_b32 v138, v162, v132 offset:84
	ds_bpermute_b32 v139, v162, v132 offset:88
	s_waitcnt lgkmcnt(4)
	v_fmac_f32_e32 v163, v164, v166
	s_waitcnt lgkmcnt(2)
	v_pk_mul_f32 v[136:137], v[136:137], v[160:161]
	v_add_f32_e32 v136, v163, v136
	v_add_f32_e32 v160, v136, v137
	v_pk_mul_f32 v[136:137], v[140:141], v[142:143]
	ds_bpermute_b32 v140, v162, v132 offset:92
	ds_bpermute_b32 v141, v162, v132 offset:96
	s_waitcnt lgkmcnt(2)
	v_pk_mul_f32 v[136:137], v[136:137], v[138:139]
	v_add_f32_e32 v136, v160, v136
	v_add_f32_e32 v138, v136, v137
	v_pk_mul_f32 v[136:137], v[144:145], v[146:147]
	s_waitcnt lgkmcnt(0)
	v_pk_mul_f32 v[136:137], v[136:137], v[140:141]
	v_add_f32_e32 v136, v138, v136
	ds_bpermute_b32 v138, v162, v132 offset:100
	ds_bpermute_b32 v139, v162, v132 offset:104
	;; [unrolled: 1-line block ×4, first 2 shown]
	v_add_f32_e32 v142, v136, v137
	v_pk_mul_f32 v[136:137], v[148:149], v[150:151]
	s_waitcnt lgkmcnt(2)
	v_pk_mul_f32 v[136:137], v[136:137], v[138:139]
	v_add_f32_e32 v136, v142, v136
	ds_bpermute_b32 v138, v162, v132 offset:116
	ds_bpermute_b32 v139, v162, v132 offset:120
	v_add_f32_e32 v142, v136, v137
	v_pk_mul_f32 v[136:137], v[152:153], v[154:155]
	s_waitcnt lgkmcnt(2)
	v_pk_mul_f32 v[136:137], v[136:137], v[140:141]
	v_add_f32_e32 v136, v142, v136
	v_add_f32_e32 v140, v136, v137
	v_pk_mul_f32 v[136:137], v[156:157], v[158:159]
	s_waitcnt lgkmcnt(0)
	v_pk_mul_f32 v[136:137], v[136:137], v[138:139]
	v_add_f32_e32 v136, v140, v136
	ds_bpermute_b32 v132, v162, v132 offset:124
	v_add_f32_e32 v139, v136, v137
.LBB143_141:                            ;   in Loop: Header=BB143_3 Depth=1
	s_waitcnt lgkmcnt(0)
	v_fmac_f32_e32 v139, v202, v132
	v_mov_b32_e32 v132, s9
	v_add_co_u32_e64 v2, s[10:11], s33, v2
	v_addc_co_u32_e64 v129, s[10:11], v129, v132, s[10:11]
	v_mov_b32_e32 v132, s29
	v_add_co_u32_e64 v4, s[10:11], s28, v4
	v_addc_co_u32_e64 v1, s[10:11], v1, v132, s[10:11]
	v_add_co_u32_e64 v6, s[10:11], s28, v6
	v_addc_co_u32_e64 v3, s[10:11], v3, v132, s[10:11]
	v_add_co_u32_e64 v8, s[10:11], s28, v8
	v_addc_co_u32_e64 v5, s[10:11], v5, v132, s[10:11]
	v_add_co_u32_e64 v10, s[10:11], s28, v10
	v_addc_co_u32_e64 v7, s[10:11], v7, v132, s[10:11]
	v_add_co_u32_e64 v12, s[10:11], s28, v12
	v_addc_co_u32_e64 v9, s[10:11], v9, v132, s[10:11]
	v_add_co_u32_e64 v14, s[10:11], s28, v14
	v_addc_co_u32_e64 v11, s[10:11], v11, v132, s[10:11]
	v_add_co_u32_e64 v16, s[10:11], s28, v16
	v_addc_co_u32_e64 v13, s[10:11], v13, v132, s[10:11]
	v_add_co_u32_e64 v18, s[10:11], s28, v18
	v_addc_co_u32_e64 v15, s[10:11], v15, v132, s[10:11]
	v_add_co_u32_e64 v20, s[10:11], s28, v20
	v_addc_co_u32_e64 v17, s[10:11], v17, v132, s[10:11]
	v_add_co_u32_e64 v22, s[10:11], s28, v22
	v_addc_co_u32_e64 v19, s[10:11], v19, v132, s[10:11]
	v_add_co_u32_e64 v24, s[10:11], s28, v24
	v_addc_co_u32_e64 v21, s[10:11], v21, v132, s[10:11]
	v_add_co_u32_e64 v26, s[10:11], s28, v26
	v_addc_co_u32_e64 v23, s[10:11], v23, v132, s[10:11]
	v_add_co_u32_e64 v28, s[10:11], s28, v28
	v_addc_co_u32_e64 v25, s[10:11], v25, v132, s[10:11]
	v_add_co_u32_e64 v30, s[10:11], s28, v30
	v_addc_co_u32_e64 v27, s[10:11], v27, v132, s[10:11]
	v_add_co_u32_e64 v32, s[10:11], s28, v32
	v_addc_co_u32_e64 v29, s[10:11], v29, v132, s[10:11]
	v_add_co_u32_e64 v34, s[10:11], s28, v34
	v_addc_co_u32_e64 v31, s[10:11], v31, v132, s[10:11]
	v_add_co_u32_e64 v36, s[10:11], s28, v36
	v_addc_co_u32_e64 v33, s[10:11], v33, v132, s[10:11]
	v_add_co_u32_e64 v38, s[10:11], s28, v38
	v_addc_co_u32_e64 v35, s[10:11], v35, v132, s[10:11]
	v_add_co_u32_e64 v40, s[10:11], s28, v40
	v_addc_co_u32_e64 v37, s[10:11], v37, v132, s[10:11]
	v_add_co_u32_e64 v42, s[10:11], s28, v42
	v_addc_co_u32_e64 v39, s[10:11], v39, v132, s[10:11]
	v_add_co_u32_e64 v44, s[10:11], s28, v44
	v_addc_co_u32_e64 v41, s[10:11], v41, v132, s[10:11]
	v_add_co_u32_e64 v46, s[10:11], s28, v46
	v_addc_co_u32_e64 v43, s[10:11], v43, v132, s[10:11]
	v_add_co_u32_e64 v48, s[10:11], s28, v48
	v_addc_co_u32_e64 v45, s[10:11], v45, v132, s[10:11]
	v_add_co_u32_e64 v50, s[10:11], s28, v50
	v_addc_co_u32_e64 v47, s[10:11], v47, v132, s[10:11]
	v_add_co_u32_e64 v52, s[10:11], s28, v52
	v_addc_co_u32_e64 v49, s[10:11], v49, v132, s[10:11]
	v_add_co_u32_e64 v54, s[10:11], s28, v54
	v_addc_co_u32_e64 v51, s[10:11], v51, v132, s[10:11]
	v_add_co_u32_e64 v56, s[10:11], s28, v56
	v_addc_co_u32_e64 v53, s[10:11], v53, v132, s[10:11]
	v_add_co_u32_e64 v58, s[10:11], s28, v58
	v_addc_co_u32_e64 v55, s[10:11], v55, v132, s[10:11]
	v_add_co_u32_e64 v60, s[10:11], s28, v60
	v_addc_co_u32_e64 v57, s[10:11], v57, v132, s[10:11]
	v_add_co_u32_e64 v62, s[10:11], s28, v62
	v_addc_co_u32_e64 v59, s[10:11], v59, v132, s[10:11]
	v_add_co_u32_e64 v64, s[10:11], s28, v64
	v_addc_co_u32_e64 v61, s[10:11], v61, v132, s[10:11]
	v_add_co_u32_e64 v66, s[10:11], s28, v66
	v_addc_co_u32_e64 v63, s[10:11], v63, v132, s[10:11]
	v_add_co_u32_e64 v68, s[10:11], s28, v68
	v_addc_co_u32_e64 v65, s[10:11], v65, v132, s[10:11]
	v_add_co_u32_e64 v70, s[10:11], s28, v70
	v_addc_co_u32_e64 v67, s[10:11], v67, v132, s[10:11]
	v_add_co_u32_e64 v72, s[10:11], s28, v72
	v_addc_co_u32_e64 v69, s[10:11], v69, v132, s[10:11]
	v_add_co_u32_e64 v74, s[10:11], s28, v74
	v_addc_co_u32_e64 v71, s[10:11], v71, v132, s[10:11]
	v_add_co_u32_e64 v76, s[10:11], s28, v76
	v_addc_co_u32_e64 v73, s[10:11], v73, v132, s[10:11]
	v_add_co_u32_e64 v78, s[10:11], s28, v78
	v_addc_co_u32_e64 v75, s[10:11], v75, v132, s[10:11]
	v_add_co_u32_e64 v80, s[10:11], s28, v80
	v_addc_co_u32_e64 v77, s[10:11], v77, v132, s[10:11]
	v_add_co_u32_e64 v82, s[10:11], s28, v82
	v_addc_co_u32_e64 v79, s[10:11], v79, v132, s[10:11]
	v_add_co_u32_e64 v84, s[10:11], s28, v84
	v_addc_co_u32_e64 v81, s[10:11], v81, v132, s[10:11]
	v_add_co_u32_e64 v86, s[10:11], s28, v86
	v_addc_co_u32_e64 v83, s[10:11], v83, v132, s[10:11]
	v_add_co_u32_e64 v88, s[10:11], s28, v88
	v_addc_co_u32_e64 v85, s[10:11], v85, v132, s[10:11]
	v_add_co_u32_e64 v90, s[10:11], s28, v90
	v_addc_co_u32_e64 v87, s[10:11], v87, v132, s[10:11]
	v_add_co_u32_e64 v92, s[10:11], s28, v92
	v_addc_co_u32_e64 v89, s[10:11], v89, v132, s[10:11]
	v_add_co_u32_e64 v94, s[10:11], s28, v94
	v_addc_co_u32_e64 v91, s[10:11], v91, v132, s[10:11]
	v_add_co_u32_e64 v96, s[10:11], s28, v96
	v_addc_co_u32_e64 v93, s[10:11], v93, v132, s[10:11]
	v_add_co_u32_e64 v98, s[10:11], s28, v98
	v_addc_co_u32_e64 v95, s[10:11], v95, v132, s[10:11]
	v_add_co_u32_e64 v100, s[10:11], s28, v100
	v_addc_co_u32_e64 v97, s[10:11], v97, v132, s[10:11]
	v_add_co_u32_e64 v102, s[10:11], s28, v102
	v_addc_co_u32_e64 v99, s[10:11], v99, v132, s[10:11]
	v_add_co_u32_e64 v104, s[10:11], s28, v104
	v_addc_co_u32_e64 v101, s[10:11], v101, v132, s[10:11]
	v_add_co_u32_e64 v106, s[10:11], s28, v106
	v_addc_co_u32_e64 v103, s[10:11], v103, v132, s[10:11]
	v_add_co_u32_e64 v108, s[10:11], s28, v108
	v_addc_co_u32_e64 v105, s[10:11], v105, v132, s[10:11]
	v_add_co_u32_e64 v110, s[10:11], s28, v110
	v_addc_co_u32_e64 v107, s[10:11], v107, v132, s[10:11]
	v_add_co_u32_e64 v112, s[10:11], s28, v112
	v_addc_co_u32_e64 v109, s[10:11], v109, v132, s[10:11]
	v_add_co_u32_e64 v114, s[10:11], s28, v114
	v_addc_co_u32_e64 v111, s[10:11], v111, v132, s[10:11]
	v_add_co_u32_e64 v116, s[10:11], s28, v116
	v_addc_co_u32_e64 v113, s[10:11], v113, v132, s[10:11]
	v_add_co_u32_e64 v118, s[10:11], s28, v118
	v_addc_co_u32_e64 v115, s[10:11], v115, v132, s[10:11]
	v_add_co_u32_e64 v120, s[10:11], s28, v120
	v_addc_co_u32_e64 v117, s[10:11], v117, v132, s[10:11]
	v_add_co_u32_e64 v122, s[10:11], s28, v122
	v_addc_co_u32_e64 v119, s[10:11], v119, v132, s[10:11]
	v_add_co_u32_e64 v124, s[10:11], s28, v124
	v_addc_co_u32_e64 v121, s[10:11], v121, v132, s[10:11]
	v_add_co_u32_e64 v126, s[10:11], s28, v126
	v_addc_co_u32_e64 v123, s[10:11], v123, v132, s[10:11]
	s_add_u32 s30, s30, s33
	v_add_co_u32_e64 v128, s[10:11], s28, v128
	s_addc_u32 s31, s31, 0
	v_pk_mov_b32 v[136:137], s[12:13], s[12:13] op_sel:[0,1]
	v_addc_co_u32_e64 v125, s[10:11], v125, v132, s[10:11]
	v_cmp_lt_i64_e32 vcc, s[30:31], v[136:137]
	v_add_co_u32_e64 v130, s[10:11], s28, v130
	s_add_u32 s26, s26, s33
	v_addc_co_u32_e64 v127, s[10:11], v127, v132, s[10:11]
	s_addc_u32 s27, s27, 0
	s_cbranch_vccz .LBB143_146
; %bb.142:                              ;   in Loop: Header=BB143_3 Depth=1
	v_mov_b32_e32 v163, v139
	s_branch .LBB143_3
.LBB143_143:                            ;   in Loop: Header=BB143_3 Depth=1
	v_add_co_u32_e32 v158, vcc, v12, v134
	v_addc_co_u32_e32 v159, vcc, v9, v135, vcc
	global_load_dword v156, v[158:159], off
	v_add_co_u32_e32 v158, vcc, v14, v134
	v_addc_co_u32_e32 v159, vcc, v11, v135, vcc
	global_load_dword v158, v[158:159], off
	s_or_b64 exec, exec, s[10:11]
	v_mov_b32_e32 v159, 0
	s_and_saveexec_b64 s[10:11], s[2:3]
	s_cbranch_execz .LBB143_138
.LBB143_144:                            ;   in Loop: Header=BB143_3 Depth=1
	v_add_co_u32_e32 v200, vcc, v8, v134
	v_addc_co_u32_e32 v201, vcc, v5, v135, vcc
	global_load_dword v157, v[200:201], off
	v_add_co_u32_e32 v200, vcc, v10, v134
	v_addc_co_u32_e32 v201, vcc, v7, v135, vcc
	global_load_dword v159, v[200:201], off
	s_or_b64 exec, exec, s[10:11]
	v_mov_b32_e32 v202, 0
	s_and_saveexec_b64 s[10:11], s[2:3]
	s_cbranch_execnz .LBB143_139
	s_branch .LBB143_140
.LBB143_145:
                                        ; implicit-def: $vgpr139
	s_load_dwordx2 s[2:3], s[4:5], 0x30
	s_branch .LBB143_147
.LBB143_146:
	s_load_dwordx2 s[2:3], s[4:5], 0x30
	s_cbranch_execnz .LBB143_228
.LBB143_147:
	s_and_b64 vcc, exec, s[0:1]
	v_mov_b32_e32 v139, 0
	s_cbranch_vccnz .LBB143_228
; %bb.148:
	v_bfe_u32 v128, v253, 10, 10
	s_add_u32 s10, s4, 64
	s_addc_u32 s11, s5, 0
	v_lshlrev_b32_e32 v0, 7, v128
	s_lshl_b64 s[0:1], s[22:23], 2
	v_mov_b32_e32 v1, s1
	v_add_co_u32_e32 v0, vcc, s0, v0
	v_addc_co_u32_e32 v1, vcc, 0, v1, vcc
	v_add_co_u32_e32 v22, vcc, 4, v0
	v_addc_co_u32_e32 v4, vcc, 0, v1, vcc
	;; [unrolled: 2-line block ×10, first 2 shown]
	v_add_co_u32_e32 v50, vcc, 40, v0
	v_pk_mov_b32 v[122:123], s[16:17], s[16:17] op_sel:[0,1]
	v_addc_co_u32_e32 v23, vcc, 0, v1, vcc
	v_pk_mov_b32 v[124:125], s[18:19], s[18:19] op_sel:[0,1]
	v_mad_u64_u32 v[2:3], s[0:1], s14, v22, v[122:123]
	v_mul_lo_u32 v24, s14, v4
	v_mul_lo_u32 v25, s15, v22
	;; [unrolled: 1-line block ×3, first 2 shown]
	v_mad_u64_u32 v[22:23], s[0:1], s14, v22, v[124:125]
	v_add3_u32 v3, v25, v3, v24
	v_mad_u64_u32 v[4:5], s[0:1], s14, v26, v[122:123]
	v_mul_lo_u32 v27, s14, v6
	v_mul_lo_u32 v28, s15, v26
	v_add3_u32 v23, v25, v23, v24
	v_mad_u64_u32 v[24:25], s[0:1], s14, v26, v[124:125]
	v_add3_u32 v5, v28, v5, v27
	v_mad_u64_u32 v[6:7], s[0:1], s14, v29, v[122:123]
	v_mul_lo_u32 v30, s14, v8
	v_mul_lo_u32 v31, s15, v29
	v_add3_u32 v25, v28, v25, v27
	v_mad_u64_u32 v[26:27], s[0:1], s14, v29, v[124:125]
	v_add3_u32 v7, v31, v7, v30
	v_mad_u64_u32 v[8:9], s[0:1], s14, v32, v[122:123]
	v_mul_lo_u32 v33, s14, v10
	v_mul_lo_u32 v34, s15, v32
	v_add_co_u32_e32 v53, vcc, 44, v0
	v_add3_u32 v27, v31, v27, v30
	v_mad_u64_u32 v[30:31], s[0:1], s14, v32, v[124:125]
	v_add3_u32 v9, v34, v9, v33
	v_mad_u64_u32 v[10:11], s[0:1], s14, v35, v[122:123]
	v_mul_lo_u32 v36, s14, v12
	v_mul_lo_u32 v37, s15, v35
	v_mad_u64_u32 v[12:13], s[0:1], s14, v38, v[122:123]
	v_mul_lo_u32 v39, s14, v14
	v_mul_lo_u32 v40, s15, v38
	v_addc_co_u32_e32 v54, vcc, 0, v1, vcc
	v_add3_u32 v31, v34, v31, v33
	v_mad_u64_u32 v[32:33], s[0:1], s14, v35, v[124:125]
	v_mad_u64_u32 v[34:35], s[0:1], s14, v38, v[124:125]
	v_add3_u32 v13, v40, v13, v39
	v_mul_lo_u32 v42, s14, v16
	v_mad_u64_u32 v[16:17], s[0:1], s14, v44, v[122:123]
	v_mul_lo_u32 v45, s14, v18
	v_mul_lo_u32 v46, s15, v44
	v_add3_u32 v35, v40, v35, v39
	v_add_co_u32_e32 v56, vcc, 48, v0
	v_mad_u64_u32 v[38:39], s[0:1], s14, v44, v[124:125]
	v_add3_u32 v17, v46, v17, v45
	v_mul_lo_u32 v48, s14, v20
	v_mad_u64_u32 v[20:21], s[0:1], s14, v50, v[122:123]
	v_mul_lo_u32 v52, s15, v50
	v_addc_co_u32_e32 v57, vcc, 0, v1, vcc
	v_add3_u32 v39, v46, v39, v45
	v_mad_u64_u32 v[44:45], s[0:1], s14, v50, v[124:125]
	v_add3_u32 v11, v37, v11, v36
	v_mad_u64_u32 v[14:15], s[0:1], s14, v41, v[122:123]
	v_mul_lo_u32 v43, s15, v41
	v_add3_u32 v21, v52, v21, v51
	v_add3_u32 v33, v37, v33, v36
	v_mad_u64_u32 v[36:37], s[0:1], s14, v41, v[124:125]
	v_add3_u32 v45, v52, v45, v51
	v_add_co_u32_e32 v52, vcc, 52, v0
	v_add3_u32 v15, v43, v15, v42
	v_mad_u64_u32 v[18:19], s[0:1], s14, v47, v[122:123]
	v_mul_lo_u32 v49, s15, v47
	v_mad_u64_u32 v[28:29], s[0:1], s14, v53, v[122:123]
	v_mul_lo_u32 v54, s14, v54
	v_mul_lo_u32 v55, s15, v53
	v_add3_u32 v37, v43, v37, v42
	v_mad_u64_u32 v[42:43], s[0:1], s14, v47, v[124:125]
	v_mad_u64_u32 v[46:47], s[0:1], s14, v53, v[124:125]
	v_addc_co_u32_e32 v53, vcc, 0, v1, vcc
	v_add3_u32 v19, v49, v19, v48
	v_add3_u32 v29, v55, v29, v54
	v_mad_u64_u32 v[40:41], s[0:1], s14, v56, v[122:123]
	v_add3_u32 v43, v49, v43, v48
	v_mul_lo_u32 v58, s15, v56
	v_add3_u32 v47, v55, v47, v54
	v_mad_u64_u32 v[48:49], s[0:1], s14, v56, v[124:125]
	v_mad_u64_u32 v[50:51], s[0:1], s14, v52, v[122:123]
	v_mul_lo_u32 v54, s14, v53
	v_mul_lo_u32 v55, s15, v52
	v_mad_u64_u32 v[52:53], s[0:1], s14, v52, v[124:125]
	v_add_co_u32_e32 v56, vcc, 56, v0
	v_mul_lo_u32 v57, s14, v57
	v_add3_u32 v51, v55, v51, v54
	v_add3_u32 v53, v55, v53, v54
	v_addc_co_u32_e32 v54, vcc, 0, v1, vcc
	v_add3_u32 v41, v58, v41, v57
	v_add3_u32 v49, v58, v49, v57
	v_mul_lo_u32 v58, s14, v54
	v_mul_lo_u32 v59, s15, v56
	v_mad_u64_u32 v[54:55], s[0:1], s14, v56, v[122:123]
	v_mad_u64_u32 v[56:57], s[0:1], s14, v56, v[124:125]
	v_add_co_u32_e32 v60, vcc, 60, v0
	v_add3_u32 v55, v59, v55, v58
	v_add3_u32 v57, v59, v57, v58
	v_addc_co_u32_e32 v58, vcc, 0, v1, vcc
	v_mul_lo_u32 v62, s14, v58
	v_mul_lo_u32 v63, s15, v60
	v_mad_u64_u32 v[58:59], s[0:1], s14, v60, v[122:123]
	v_mad_u64_u32 v[60:61], s[0:1], s14, v60, v[124:125]
	v_add_co_u32_e32 v64, vcc, 64, v0
	v_add3_u32 v59, v63, v59, v62
	v_add3_u32 v61, v63, v61, v62
	v_addc_co_u32_e32 v62, vcc, 0, v1, vcc
	v_mul_lo_u32 v66, s14, v62
	v_mul_lo_u32 v67, s15, v64
	v_mad_u64_u32 v[62:63], s[0:1], s14, v64, v[122:123]
	v_mad_u64_u32 v[64:65], s[0:1], s14, v64, v[124:125]
	s_movk_i32 s0, 0x44
	v_add_co_u32_e32 v68, vcc, s0, v0
	v_add3_u32 v63, v67, v63, v66
	v_add3_u32 v65, v67, v65, v66
	v_addc_co_u32_e32 v66, vcc, 0, v1, vcc
	v_mul_lo_u32 v70, s14, v66
	v_mul_lo_u32 v71, s15, v68
	v_mad_u64_u32 v[66:67], s[0:1], s14, v68, v[122:123]
	v_mad_u64_u32 v[68:69], s[0:1], s14, v68, v[124:125]
	s_movk_i32 s0, 0x48
	;; [unrolled: 9-line block ×15, first 2 shown]
	v_add_co_u32_e32 v0, vcc, s0, v0
	v_addc_co_u32_e32 v1, vcc, 0, v1, vcc
	v_mad_u64_u32 v[122:123], s[0:1], s14, v0, v[122:123]
	v_mul_lo_u32 v1, s14, v1
	v_mad_u64_u32 v[124:125], s[0:1], s14, v0, v[124:125]
	v_mul_lo_u32 v0, s15, v0
	v_add3_u32 v123, v0, v123, v1
	v_add3_u32 v125, v0, v125, v1
	v_lshlrev_b32_e32 v0, 5, v128
	v_mov_b32_e32 v1, s23
	v_accvgpr_write_b32 a2, v0
	v_add_co_u32_e32 v0, vcc, s22, v0
	v_addc_co_u32_e32 v1, vcc, 0, v1, vcc
	v_add3_u32 v119, v127, v119, v126
	v_add3_u32 v121, v127, v121, v126
	v_add_co_u32_e32 v126, vcc, 31, v0
	v_addc_co_u32_e32 v127, vcc, 0, v1, vcc
	v_accvgpr_write_b32 a1, v128
	v_mul_lo_u32 v127, s14, v127
	v_mul_lo_u32 v128, s15, v126
	v_mad_u64_u32 v[132:133], s[0:1], s14, v126, 0
	v_add_co_u32_e32 v126, vcc, 30, v0
	v_add3_u32 v133, v133, v127, v128
	v_addc_co_u32_e32 v127, vcc, 0, v1, vcc
	v_mul_lo_u32 v127, s14, v127
	v_mul_lo_u32 v128, s15, v126
	v_mad_u64_u32 v[134:135], s[0:1], s14, v126, 0
	v_add_co_u32_e32 v126, vcc, 29, v0
	v_add3_u32 v135, v135, v127, v128
	v_addc_co_u32_e32 v127, vcc, 0, v1, vcc
	;; [unrolled: 6-line block ×29, first 2 shown]
	v_mul_lo_u32 v127, s14, v127
	v_mul_lo_u32 v128, s15, v126
	v_mad_u64_u32 v[170:171], s[0:1], s14, v126, 0
	v_add3_u32 v171, v171, v127, v128
	v_pk_mov_b32 v[126:127], s[14:15], s[14:15] op_sel:[0,1]
	v_mul_lo_u32 v128, s14, v1
	v_mad_u64_u32 v[172:173], s[0:1], s14, v0, v[126:127]
	v_mul_lo_u32 v126, s15, v0
	v_mad_u64_u32 v[0:1], s[0:1], s14, v0, 0
	v_add3_u32 v1, v1, v128, v126
	v_add3_u32 v173, v126, v173, v128
	v_lshlrev_b64 v[126:127], 2, v[0:1]
	v_mov_b32_e32 v0, s17
	v_add_co_u32_e32 v128, vcc, s16, v126
	v_addc_co_u32_e32 v1, vcc, v0, v127, vcc
	v_mov_b32_e32 v129, s19
	v_add_co_u32_e32 v130, vcc, s18, v126
	v_addc_co_u32_e32 v127, vcc, v129, v127, vcc
	v_lshlrev_b64 v[132:133], 2, v[132:133]
	v_add_co_u32_e32 v126, vcc, s16, v132
	v_addc_co_u32_e32 v131, vcc, v0, v133, vcc
	v_accvgpr_write_b32 a4, v126
	v_add_co_u32_e32 v126, vcc, s18, v132
	v_accvgpr_write_b32 a3, v131
	v_addc_co_u32_e32 v131, vcc, v129, v133, vcc
	v_lshlrev_b64 v[132:133], 2, v[134:135]
	v_accvgpr_write_b32 a6, v126
	v_add_co_u32_e32 v126, vcc, s16, v132
	v_accvgpr_write_b32 a5, v131
	v_addc_co_u32_e32 v131, vcc, v0, v133, vcc
	v_accvgpr_write_b32 a8, v126
	v_add_co_u32_e32 v126, vcc, s18, v132
	v_accvgpr_write_b32 a7, v131
	v_addc_co_u32_e32 v131, vcc, v129, v133, vcc
	v_lshlrev_b64 v[132:133], 2, v[136:137]
	v_accvgpr_write_b32 a10, v126
	v_add_co_u32_e32 v126, vcc, s16, v132
	v_accvgpr_write_b32 a9, v131
	;; [unrolled: 9-line block ×16, first 2 shown]
	v_addc_co_u32_e32 v131, vcc, v0, v133, vcc
	v_accvgpr_write_b32 a68, v126
	v_add_co_u32_e32 v126, vcc, s18, v132
	v_addc_co_u32_e32 v195, vcc, v129, v133, vcc
	v_lshlrev_b64 v[132:133], 2, v[200:201]
	v_add_co_u32_e32 v200, vcc, s16, v132
	v_accvgpr_write_b32 a67, v131
	v_addc_co_u32_e32 v131, vcc, v0, v133, vcc
	v_add_co_u32_e32 v202, vcc, s18, v132
	v_accvgpr_write_b32 a69, v131
	v_addc_co_u32_e32 v131, vcc, v129, v133, vcc
	v_lshlrev_b64 v[132:133], 2, v[204:205]
	v_add_co_u32_e32 v204, vcc, s16, v132
	v_addc_co_u32_e32 v201, vcc, v0, v133, vcc
	v_add_co_u32_e32 v206, vcc, s18, v132
	v_addc_co_u32_e32 v203, vcc, v129, v133, vcc
	v_lshlrev_b64 v[132:133], 2, v[208:209]
	v_add_co_u32_e32 v208, vcc, s16, v132
	v_addc_co_u32_e32 v205, vcc, v0, v133, vcc
	v_add_co_u32_e32 v210, vcc, s18, v132
	;; [unrolled: 5-line block ×11, first 2 shown]
	v_addc_co_u32_e32 v243, vcc, v129, v133, vcc
	v_lshlrev_b64 v[132:133], 2, v[170:171]
	v_add_co_u32_e32 v248, vcc, s16, v132
	v_addc_co_u32_e32 v245, vcc, v0, v133, vcc
	s_load_dword s0, s[4:5], 0x44
	v_add_co_u32_e32 v250, vcc, s18, v132
	v_addc_co_u32_e32 v247, vcc, v129, v133, vcc
	v_lshlrev_b64 v[132:133], 2, v[172:173]
	v_add_co_u32_e32 v252, vcc, s16, v132
	v_addc_co_u32_e32 v249, vcc, v0, v133, vcc
	v_and_b32_e32 v0, 0x3ff, v253
	v_add_co_u32_e32 v254, vcc, s18, v132
	v_accvgpr_write_b32 a72, v0
	v_add_u32_e32 v132, s7, v0
	s_waitcnt lgkmcnt(0)
	s_lshl_b32 s7, s0, 5
	v_mbcnt_lo_u32_b32 v0, -1, 0
	s_mul_i32 s0, s15, s7
	s_mul_hi_u32 s1, s14, s7
	v_mbcnt_hi_u32_b32 v0, -1, v0
	v_addc_co_u32_e32 v251, vcc, v129, v133, vcc
	v_mov_b32_e32 v133, 0
	s_add_i32 s1, s1, s0
	s_mul_i32 s0, s14, s7
	v_lshlrev_b32_e32 v0, 2, v0
	v_accvgpr_write_b32 a70, v126
	v_accvgpr_write_b32 a71, v131
	s_mov_b32 s9, 0
	v_accvgpr_write_b32 a0, v253
	s_lshl_b64 s[16:17], s[0:1], 2
	s_mov_b64 s[18:19], 31
	v_and_b32_e32 v0, 0x100, v0
	s_mov_b64 s[24:25], s[22:23]
	v_mov_b32_e32 v138, 0
	v_mov_b32_e32 v253, v133
	v_accvgpr_write_b32 a73, v133
	v_lshlrev_b64 v[132:133], 2, v[132:133]
.LBB143_149:                            ; =>This Inner Loop Header: Depth=1
	s_add_u32 s0, s22, s18
	s_addc_u32 s1, 0, s19
	v_pk_mov_b32 v[134:135], s[12:13], s[12:13] op_sel:[0,1]
	v_cmp_ge_i64_e32 vcc, s[0:1], v[134:135]
	v_accvgpr_read_b32 v134, a2
	v_mov_b32_e32 v126, s23
	v_add_co_u32_e64 v134, s[0:1], s22, v134
	v_addc_co_u32_e64 v135, s[0:1], v126, v253, s[0:1]
	s_cbranch_vccz .LBB143_219
; %bb.150:                              ;   in Loop: Header=BB143_149 Depth=1
	s_load_dword s0, s[10:11], 0xc
	v_mov_b32_e32 v126, 0
	v_accvgpr_write_b32 a74, v126           ;  Reload Reuse
	v_accvgpr_read_b32 v126, a1
	v_accvgpr_read_b32 v129, a72
	s_waitcnt lgkmcnt(0)
	s_and_b32 s0, s0, 0xffff
	v_mad_u32_u24 v126, v126, s0, v129
	v_and_b32_e32 v126, 63, v126
	v_cmp_gt_u32_e32 vcc, 32, v126
	v_mov_b32_e32 v139, 0
	s_and_saveexec_b64 s[0:1], vcc
	s_cbranch_execz .LBB143_154
; %bb.151:                              ;   in Loop: Header=BB143_149 Depth=1
	v_add_co_u32_e32 v136, vcc, v134, v126
	v_addc_co_u32_e32 v137, vcc, 0, v135, vcc
	v_cmp_gt_i64_e32 vcc, s[12:13], v[136:137]
	v_mov_b32_e32 v139, 0
	s_and_saveexec_b64 s[26:27], vcc
	s_cbranch_execz .LBB143_153
; %bb.152:                              ;   in Loop: Header=BB143_149 Depth=1
	v_lshlrev_b64 v[136:137], 2, v[136:137]
	v_mov_b32_e32 v126, s21
	v_add_co_u32_e32 v136, vcc, s20, v136
	v_addc_co_u32_e32 v137, vcc, v126, v137, vcc
	global_load_dword v139, v[136:137], off
.LBB143_153:                            ;   in Loop: Header=BB143_149 Depth=1
	s_or_b64 exec, exec, s[26:27]
.LBB143_154:                            ;   in Loop: Header=BB143_149 Depth=1
	s_or_b64 exec, exec, s[0:1]
	v_cmp_gt_i64_e32 vcc, s[12:13], v[134:135]
	v_mov_b32_e32 v156, 0
	s_and_saveexec_b64 s[0:1], vcc
	s_cbranch_execz .LBB143_156
; %bb.155:                              ;   in Loop: Header=BB143_149 Depth=1
	v_add_co_u32_e32 v136, vcc, v128, v132
	v_addc_co_u32_e32 v137, vcc, v1, v133, vcc
	global_load_dword v126, v[136:137], off
	v_add_co_u32_e32 v136, vcc, v130, v132
	v_addc_co_u32_e32 v137, vcc, v127, v133, vcc
	global_load_dword v156, v[136:137], off
	s_waitcnt vmcnt(1)
	v_accvgpr_write_b32 a74, v126           ;  Reload Reuse
.LBB143_156:                            ;   in Loop: Header=BB143_149 Depth=1
	s_or_b64 exec, exec, s[0:1]
	v_add_co_u32_e32 v136, vcc, 1, v134
	v_addc_co_u32_e32 v137, vcc, 0, v135, vcc
	v_cmp_gt_i64_e32 vcc, s[12:13], v[136:137]
	v_mov_b32_e32 v129, 0
	v_mov_b32_e32 v131, 0
	v_mov_b32_e32 v255, 0
	s_and_saveexec_b64 s[0:1], vcc
	s_cbranch_execz .LBB143_158
; %bb.157:                              ;   in Loop: Header=BB143_149 Depth=1
	v_add_co_u32_e32 v136, vcc, v252, v132
	v_addc_co_u32_e32 v137, vcc, v249, v133, vcc
	global_load_dword v131, v[136:137], off
	v_add_co_u32_e32 v136, vcc, v254, v132
	v_addc_co_u32_e32 v137, vcc, v251, v133, vcc
	global_load_dword v255, v[136:137], off
.LBB143_158:                            ;   in Loop: Header=BB143_149 Depth=1
	s_or_b64 exec, exec, s[0:1]
	v_add_co_u32_e32 v136, vcc, 2, v134
	v_addc_co_u32_e32 v137, vcc, 0, v135, vcc
	v_cmp_gt_i64_e32 vcc, s[12:13], v[136:137]
	v_mov_b32_e32 v162, 0
	s_and_saveexec_b64 s[0:1], vcc
	s_cbranch_execz .LBB143_160
; %bb.159:                              ;   in Loop: Header=BB143_149 Depth=1
	v_add_co_u32_e32 v136, vcc, v248, v132
	v_addc_co_u32_e32 v137, vcc, v245, v133, vcc
	global_load_dword v129, v[136:137], off
	v_add_co_u32_e32 v136, vcc, v250, v132
	v_addc_co_u32_e32 v137, vcc, v247, v133, vcc
	global_load_dword v162, v[136:137], off
.LBB143_160:                            ;   in Loop: Header=BB143_149 Depth=1
	s_or_b64 exec, exec, s[0:1]
	v_add_co_u32_e32 v136, vcc, 3, v134
	v_addc_co_u32_e32 v137, vcc, 0, v135, vcc
	v_cmp_gt_i64_e32 vcc, s[12:13], v[136:137]
	v_mov_b32_e32 v160, 0
	v_mov_b32_e32 v164, 0
	v_mov_b32_e32 v161, 0
	s_and_saveexec_b64 s[0:1], vcc
	s_cbranch_execz .LBB143_162
; %bb.161:                              ;   in Loop: Header=BB143_149 Depth=1
	v_add_co_u32_e32 v136, vcc, v244, v132
	v_addc_co_u32_e32 v137, vcc, v241, v133, vcc
	global_load_dword v164, v[136:137], off
	v_add_co_u32_e32 v136, vcc, v246, v132
	v_addc_co_u32_e32 v137, vcc, v243, v133, vcc
	global_load_dword v161, v[136:137], off
.LBB143_162:                            ;   in Loop: Header=BB143_149 Depth=1
	s_or_b64 exec, exec, s[0:1]
	v_add_co_u32_e32 v136, vcc, 4, v134
	v_addc_co_u32_e32 v137, vcc, 0, v135, vcc
	v_cmp_gt_i64_e32 vcc, s[12:13], v[136:137]
	v_mov_b32_e32 v163, 0
	s_and_saveexec_b64 s[0:1], vcc
	s_cbranch_execz .LBB143_164
; %bb.163:                              ;   in Loop: Header=BB143_149 Depth=1
	v_add_co_u32_e32 v136, vcc, v240, v132
	v_addc_co_u32_e32 v137, vcc, v237, v133, vcc
	global_load_dword v160, v[136:137], off
	v_add_co_u32_e32 v136, vcc, v242, v132
	v_addc_co_u32_e32 v137, vcc, v239, v133, vcc
	global_load_dword v163, v[136:137], off
.LBB143_164:                            ;   in Loop: Header=BB143_149 Depth=1
	;; [unrolled: 32-line block ×6, first 2 shown]
	s_or_b64 exec, exec, s[0:1]
	v_add_co_u32_e32 v136, vcc, 13, v134
	v_addc_co_u32_e32 v137, vcc, 0, v135, vcc
	v_cmp_gt_i64_e32 vcc, s[12:13], v[136:137]
	v_mov_b32_e32 v177, 0
	v_mov_b32_e32 v179, 0
	;; [unrolled: 1-line block ×3, first 2 shown]
	s_and_saveexec_b64 s[0:1], vcc
	s_cbranch_execz .LBB143_182
; %bb.181:                              ;   in Loop: Header=BB143_149 Depth=1
	v_add_co_u32_e32 v136, vcc, v204, v132
	v_addc_co_u32_e32 v137, vcc, v201, v133, vcc
	global_load_dword v179, v[136:137], off
	v_add_co_u32_e32 v136, vcc, v206, v132
	v_addc_co_u32_e32 v137, vcc, v203, v133, vcc
	global_load_dword v184, v[136:137], off
.LBB143_182:                            ;   in Loop: Header=BB143_149 Depth=1
	s_or_b64 exec, exec, s[0:1]
	v_add_co_u32_e32 v136, vcc, 14, v134
	v_addc_co_u32_e32 v137, vcc, 0, v135, vcc
	v_cmp_gt_i64_e32 vcc, s[12:13], v[136:137]
	v_mov_b32_e32 v186, 0
	s_and_saveexec_b64 s[0:1], vcc
	s_cbranch_execz .LBB143_184
; %bb.183:                              ;   in Loop: Header=BB143_149 Depth=1
	v_add_co_u32_e32 v136, vcc, v200, v132
	v_accvgpr_read_b32 v137, a69
	v_addc_co_u32_e32 v137, vcc, v137, v133, vcc
	global_load_dword v177, v[136:137], off
	v_add_co_u32_e32 v136, vcc, v202, v132
	v_accvgpr_read_b32 v137, a71
	v_addc_co_u32_e32 v137, vcc, v137, v133, vcc
	global_load_dword v186, v[136:137], off
.LBB143_184:                            ;   in Loop: Header=BB143_149 Depth=1
	s_or_b64 exec, exec, s[0:1]
	v_add_co_u32_e32 v136, vcc, 15, v134
	v_addc_co_u32_e32 v137, vcc, 0, v135, vcc
	v_cmp_gt_i64_e32 vcc, s[12:13], v[136:137]
	v_mov_b32_e32 v181, 0
	v_mov_b32_e32 v183, 0
	;; [unrolled: 1-line block ×3, first 2 shown]
	s_and_saveexec_b64 s[0:1], vcc
	s_cbranch_execz .LBB143_186
; %bb.185:                              ;   in Loop: Header=BB143_149 Depth=1
	v_accvgpr_read_b32 v136, a68
	v_add_co_u32_e32 v136, vcc, v136, v132
	v_accvgpr_read_b32 v137, a67
	v_addc_co_u32_e32 v137, vcc, v137, v133, vcc
	global_load_dword v183, v[136:137], off
	v_accvgpr_read_b32 v136, a70
	v_add_co_u32_e32 v136, vcc, v136, v132
	v_addc_co_u32_e32 v137, vcc, v195, v133, vcc
	global_load_dword v185, v[136:137], off
.LBB143_186:                            ;   in Loop: Header=BB143_149 Depth=1
	s_or_b64 exec, exec, s[0:1]
	v_add_co_u32_e32 v136, vcc, 16, v134
	v_addc_co_u32_e32 v137, vcc, 0, v135, vcc
	v_cmp_gt_i64_e32 vcc, s[12:13], v[136:137]
	v_mov_b32_e32 v190, 0
	s_and_saveexec_b64 s[0:1], vcc
	s_cbranch_execz .LBB143_188
; %bb.187:                              ;   in Loop: Header=BB143_149 Depth=1
	v_accvgpr_read_b32 v136, a64
	v_add_co_u32_e32 v136, vcc, v136, v132
	v_accvgpr_read_b32 v137, a63
	v_addc_co_u32_e32 v137, vcc, v137, v133, vcc
	global_load_dword v181, v[136:137], off
	v_accvgpr_read_b32 v136, a66
	v_add_co_u32_e32 v136, vcc, v136, v132
	v_accvgpr_read_b32 v137, a65
	v_addc_co_u32_e32 v137, vcc, v137, v133, vcc
	global_load_dword v190, v[136:137], off
.LBB143_188:                            ;   in Loop: Header=BB143_149 Depth=1
	s_or_b64 exec, exec, s[0:1]
	v_add_co_u32_e32 v136, vcc, 17, v134
	v_addc_co_u32_e32 v137, vcc, 0, v135, vcc
	v_cmp_gt_i64_e32 vcc, s[12:13], v[136:137]
	v_mov_b32_e32 v188, 0
	v_mov_b32_e32 v187, 0
	;; [unrolled: 1-line block ×3, first 2 shown]
	s_and_saveexec_b64 s[0:1], vcc
	s_cbranch_execz .LBB143_190
; %bb.189:                              ;   in Loop: Header=BB143_149 Depth=1
	v_accvgpr_read_b32 v136, a60
	v_add_co_u32_e32 v136, vcc, v136, v132
	v_accvgpr_read_b32 v137, a59
	v_addc_co_u32_e32 v137, vcc, v137, v133, vcc
	global_load_dword v187, v[136:137], off
	v_accvgpr_read_b32 v136, a62
	v_add_co_u32_e32 v136, vcc, v136, v132
	v_accvgpr_read_b32 v137, a61
	v_addc_co_u32_e32 v137, vcc, v137, v133, vcc
	global_load_dword v192, v[136:137], off
.LBB143_190:                            ;   in Loop: Header=BB143_149 Depth=1
	s_or_b64 exec, exec, s[0:1]
	v_add_co_u32_e32 v136, vcc, 18, v134
	v_addc_co_u32_e32 v137, vcc, 0, v135, vcc
	v_cmp_gt_i64_e32 vcc, s[12:13], v[136:137]
	v_mov_b32_e32 v189, 0
	s_and_saveexec_b64 s[0:1], vcc
	s_cbranch_execz .LBB143_192
; %bb.191:                              ;   in Loop: Header=BB143_149 Depth=1
	v_accvgpr_read_b32 v136, a56
	v_add_co_u32_e32 v136, vcc, v136, v132
	v_accvgpr_read_b32 v137, a55
	v_addc_co_u32_e32 v137, vcc, v137, v133, vcc
	global_load_dword v188, v[136:137], off
	v_accvgpr_read_b32 v136, a58
	v_add_co_u32_e32 v136, vcc, v136, v132
	v_accvgpr_read_b32 v137, a57
	v_addc_co_u32_e32 v137, vcc, v137, v133, vcc
	global_load_dword v189, v[136:137], off
.LBB143_192:                            ;   in Loop: Header=BB143_149 Depth=1
	s_or_b64 exec, exec, s[0:1]
	v_add_co_u32_e32 v136, vcc, 19, v134
	v_addc_co_u32_e32 v137, vcc, 0, v135, vcc
	v_cmp_gt_i64_e32 vcc, s[12:13], v[136:137]
	v_mov_b32_e32 v136, 0
	v_mov_b32_e32 v194, 0
	;; [unrolled: 1-line block ×3, first 2 shown]
	s_and_saveexec_b64 s[0:1], vcc
	s_cbranch_execz .LBB143_194
; %bb.193:                              ;   in Loop: Header=BB143_149 Depth=1
	v_accvgpr_read_b32 v140, a52
	v_add_co_u32_e32 v140, vcc, v140, v132
	v_accvgpr_read_b32 v137, a51
	v_addc_co_u32_e32 v141, vcc, v137, v133, vcc
	global_load_dword v194, v[140:141], off
	v_accvgpr_read_b32 v140, a54
	v_add_co_u32_e32 v140, vcc, v140, v132
	v_accvgpr_read_b32 v137, a53
	v_addc_co_u32_e32 v141, vcc, v137, v133, vcc
	global_load_dword v191, v[140:141], off
.LBB143_194:                            ;   in Loop: Header=BB143_149 Depth=1
	s_or_b64 exec, exec, s[0:1]
	v_add_co_u32_e32 v140, vcc, 20, v134
	v_addc_co_u32_e32 v141, vcc, 0, v135, vcc
	v_cmp_gt_i64_e32 vcc, s[12:13], v[140:141]
	v_mov_b32_e32 v140, 0
	s_and_saveexec_b64 s[0:1], vcc
	s_cbranch_execz .LBB143_196
; %bb.195:                              ;   in Loop: Header=BB143_149 Depth=1
	v_accvgpr_read_b32 v136, a48
	v_add_co_u32_e32 v136, vcc, v136, v132
	v_accvgpr_read_b32 v137, a47
	v_addc_co_u32_e32 v137, vcc, v137, v133, vcc
	v_accvgpr_read_b32 v140, a50
	global_load_dword v136, v[136:137], off
	v_add_co_u32_e32 v140, vcc, v140, v132
	v_accvgpr_read_b32 v137, a49
	v_addc_co_u32_e32 v141, vcc, v137, v133, vcc
	global_load_dword v140, v[140:141], off
.LBB143_196:                            ;   in Loop: Header=BB143_149 Depth=1
	s_or_b64 exec, exec, s[0:1]
	v_add_co_u32_e32 v142, vcc, 21, v134
	v_addc_co_u32_e32 v143, vcc, 0, v135, vcc
	v_cmp_gt_i64_e32 vcc, s[12:13], v[142:143]
	v_mov_b32_e32 v158, 0
	v_mov_b32_e32 v137, 0
	v_mov_b32_e32 v141, 0
	s_and_saveexec_b64 s[0:1], vcc
	s_cbranch_execz .LBB143_198
; %bb.197:                              ;   in Loop: Header=BB143_149 Depth=1
	v_accvgpr_read_b32 v142, a44
	v_add_co_u32_e32 v142, vcc, v142, v132
	v_accvgpr_read_b32 v137, a43
	v_addc_co_u32_e32 v143, vcc, v137, v133, vcc
	global_load_dword v137, v[142:143], off
	v_accvgpr_read_b32 v142, a46
	v_add_co_u32_e32 v142, vcc, v142, v132
	v_accvgpr_read_b32 v141, a45
	v_addc_co_u32_e32 v143, vcc, v141, v133, vcc
	global_load_dword v141, v[142:143], off
.LBB143_198:                            ;   in Loop: Header=BB143_149 Depth=1
	s_or_b64 exec, exec, s[0:1]
	v_add_co_u32_e32 v142, vcc, 22, v134
	v_addc_co_u32_e32 v143, vcc, 0, v135, vcc
	v_cmp_gt_i64_e32 vcc, s[12:13], v[142:143]
	v_mov_b32_e32 v144, 0
	s_and_saveexec_b64 s[0:1], vcc
	s_cbranch_execz .LBB143_200
; %bb.199:                              ;   in Loop: Header=BB143_149 Depth=1
	v_accvgpr_read_b32 v142, a40
	v_add_co_u32_e32 v142, vcc, v142, v132
	v_accvgpr_read_b32 v143, a39
	v_addc_co_u32_e32 v143, vcc, v143, v133, vcc
	global_load_dword v158, v[142:143], off
	v_accvgpr_read_b32 v142, a42
	v_add_co_u32_e32 v142, vcc, v142, v132
	v_accvgpr_read_b32 v143, a41
	v_addc_co_u32_e32 v143, vcc, v143, v133, vcc
	global_load_dword v144, v[142:143], off
.LBB143_200:                            ;   in Loop: Header=BB143_149 Depth=1
	s_or_b64 exec, exec, s[0:1]
	v_add_co_u32_e32 v142, vcc, 23, v134
	v_addc_co_u32_e32 v143, vcc, 0, v135, vcc
	v_cmp_gt_i64_e32 vcc, s[12:13], v[142:143]
	v_mov_b32_e32 v142, 0
	v_mov_b32_e32 v159, 0
	v_mov_b32_e32 v145, 0
	s_and_saveexec_b64 s[0:1], vcc
	s_cbranch_execz .LBB143_202
; %bb.201:                              ;   in Loop: Header=BB143_149 Depth=1
	v_accvgpr_read_b32 v146, a36
	v_add_co_u32_e32 v146, vcc, v146, v132
	v_accvgpr_read_b32 v143, a35
	v_addc_co_u32_e32 v147, vcc, v143, v133, vcc
	global_load_dword v159, v[146:147], off
	v_accvgpr_read_b32 v146, a38
	v_add_co_u32_e32 v146, vcc, v146, v132
	v_accvgpr_read_b32 v143, a37
	v_addc_co_u32_e32 v147, vcc, v143, v133, vcc
	global_load_dword v145, v[146:147], off
.LBB143_202:                            ;   in Loop: Header=BB143_149 Depth=1
	s_or_b64 exec, exec, s[0:1]
	v_add_co_u32_e32 v146, vcc, 24, v134
	v_addc_co_u32_e32 v147, vcc, 0, v135, vcc
	v_cmp_gt_i64_e32 vcc, s[12:13], v[146:147]
	v_mov_b32_e32 v148, 0
	s_and_saveexec_b64 s[0:1], vcc
	s_cbranch_execz .LBB143_204
; %bb.203:                              ;   in Loop: Header=BB143_149 Depth=1
	v_accvgpr_read_b32 v142, a32
	v_add_co_u32_e32 v142, vcc, v142, v132
	v_accvgpr_read_b32 v143, a31
	v_addc_co_u32_e32 v143, vcc, v143, v133, vcc
	v_accvgpr_read_b32 v146, a34
	global_load_dword v142, v[142:143], off
	v_add_co_u32_e32 v146, vcc, v146, v132
	v_accvgpr_read_b32 v143, a33
	v_addc_co_u32_e32 v147, vcc, v143, v133, vcc
	global_load_dword v148, v[146:147], off
.LBB143_204:                            ;   in Loop: Header=BB143_149 Depth=1
	s_or_b64 exec, exec, s[0:1]
	v_add_co_u32_e32 v146, vcc, 25, v134
	v_addc_co_u32_e32 v147, vcc, 0, v135, vcc
	v_cmp_gt_i64_e32 vcc, s[12:13], v[146:147]
	v_mov_b32_e32 v146, 0
	v_mov_b32_e32 v143, 0
	v_mov_b32_e32 v149, 0
	s_and_saveexec_b64 s[0:1], vcc
	s_cbranch_execz .LBB143_206
; %bb.205:                              ;   in Loop: Header=BB143_149 Depth=1
	v_accvgpr_read_b32 v150, a28
	v_add_co_u32_e32 v150, vcc, v150, v132
	v_accvgpr_read_b32 v143, a27
	v_addc_co_u32_e32 v151, vcc, v143, v133, vcc
	global_load_dword v143, v[150:151], off
	v_accvgpr_read_b32 v150, a30
	v_add_co_u32_e32 v150, vcc, v150, v132
	v_accvgpr_read_b32 v147, a29
	v_addc_co_u32_e32 v151, vcc, v147, v133, vcc
	global_load_dword v149, v[150:151], off
.LBB143_206:                            ;   in Loop: Header=BB143_149 Depth=1
	s_or_b64 exec, exec, s[0:1]
	v_add_co_u32_e32 v150, vcc, 26, v134
	v_addc_co_u32_e32 v151, vcc, 0, v135, vcc
	v_cmp_gt_i64_e32 vcc, s[12:13], v[150:151]
	v_mov_b32_e32 v152, 0
	s_and_saveexec_b64 s[0:1], vcc
	s_cbranch_execz .LBB143_208
; %bb.207:                              ;   in Loop: Header=BB143_149 Depth=1
	v_accvgpr_read_b32 v146, a24
	v_add_co_u32_e32 v146, vcc, v146, v132
	v_accvgpr_read_b32 v147, a23
	v_addc_co_u32_e32 v147, vcc, v147, v133, vcc
	v_accvgpr_read_b32 v150, a26
	global_load_dword v146, v[146:147], off
	v_add_co_u32_e32 v150, vcc, v150, v132
	v_accvgpr_read_b32 v147, a25
	v_addc_co_u32_e32 v151, vcc, v147, v133, vcc
	global_load_dword v152, v[150:151], off
.LBB143_208:                            ;   in Loop: Header=BB143_149 Depth=1
	;; [unrolled: 40-line block ×3, first 2 shown]
	s_or_b64 exec, exec, s[0:1]
	v_add_co_u32_e32 v196, vcc, 29, v134
	v_addc_co_u32_e32 v197, vcc, 0, v135, vcc
	v_cmp_gt_i64_e32 vcc, s[12:13], v[196:197]
	v_mov_b32_e32 v196, 0
	v_mov_b32_e32 v151, 0
	v_mov_b32_e32 v155, 0
	s_and_saveexec_b64 s[0:1], vcc
	s_cbranch_execz .LBB143_214
; %bb.213:                              ;   in Loop: Header=BB143_149 Depth=1
	v_accvgpr_read_b32 v198, a12
	v_add_co_u32_e32 v198, vcc, v198, v132
	v_accvgpr_read_b32 v151, a11
	v_addc_co_u32_e32 v199, vcc, v151, v133, vcc
	global_load_dword v151, v[198:199], off
	v_accvgpr_read_b32 v198, a14
	v_add_co_u32_e32 v198, vcc, v198, v132
	v_accvgpr_read_b32 v155, a13
	v_addc_co_u32_e32 v199, vcc, v155, v133, vcc
	global_load_dword v155, v[198:199], off
.LBB143_214:                            ;   in Loop: Header=BB143_149 Depth=1
	s_or_b64 exec, exec, s[0:1]
	v_add_co_u32_e32 v198, vcc, 30, v134
	v_addc_co_u32_e32 v199, vcc, 0, v135, vcc
	v_cmp_gt_i64_e32 vcc, s[12:13], v[198:199]
	v_mov_b32_e32 v193, 0
	s_and_saveexec_b64 s[0:1], vcc
	s_cbranch_execz .LBB143_216
; %bb.215:                              ;   in Loop: Header=BB143_149 Depth=1
	v_accvgpr_read_b32 v196, a8
	v_add_co_u32_e32 v196, vcc, v196, v132
	v_accvgpr_read_b32 v157, a7
	v_addc_co_u32_e32 v197, vcc, v157, v133, vcc
	v_accvgpr_read_b32 v198, a10
	v_add_co_u32_e32 v198, vcc, v198, v132
	v_accvgpr_read_b32 v157, a9
	v_addc_co_u32_e32 v199, vcc, v157, v133, vcc
	global_load_dword v196, v[196:197], off
	s_nop 0
	global_load_dword v193, v[198:199], off
.LBB143_216:                            ;   in Loop: Header=BB143_149 Depth=1
	s_or_b64 exec, exec, s[0:1]
	v_add_co_u32_e32 v198, vcc, 31, v134
	v_addc_co_u32_e32 v199, vcc, 0, v135, vcc
	v_cmp_gt_i64_e32 vcc, s[12:13], v[198:199]
	v_mov_b32_e32 v157, 0
	s_and_saveexec_b64 s[0:1], vcc
	s_cbranch_execz .LBB143_218
; %bb.217:                              ;   in Loop: Header=BB143_149 Depth=1
	v_accvgpr_read_b32 v198, a4
	v_add_co_u32_e32 v198, vcc, v198, v132
	v_accvgpr_read_b32 v157, a3
	v_addc_co_u32_e32 v199, vcc, v157, v133, vcc
	global_load_dword v157, v[198:199], off
	v_accvgpr_read_b32 v198, a6
	v_add_co_u32_e32 v198, vcc, v198, v132
	v_accvgpr_read_b32 v197, a5
	v_addc_co_u32_e32 v199, vcc, v197, v133, vcc
	global_load_dword v197, v[198:199], off
	s_waitcnt vmcnt(0)
	v_mul_f32_e32 v157, v157, v197
.LBB143_218:                            ;   in Loop: Header=BB143_149 Depth=1
	s_or_b64 exec, exec, s[0:1]
	s_waitcnt vmcnt(0)
	ds_bpermute_b32 v197, v0, v139
	v_accvgpr_read_b32 v198, a74            ;  Reload Reuse
	v_mul_f32_e32 v156, v198, v156
	v_mul_f32_e32 v131, v131, v255
	v_mul_f32_e32 v129, v129, v162
	s_waitcnt lgkmcnt(0)
	v_fma_f32 v156, v156, v197, v138
	ds_bpermute_b32 v197, v0, v139 offset:4
	v_mul_f32_e32 v126, v126, v172
	v_pk_mul_f32 v[136:137], v[136:137], v[140:141]
	v_pk_mul_f32 v[140:141], v[158:159], v[144:145]
	s_waitcnt lgkmcnt(0)
	v_fmac_f32_e32 v156, v131, v197
	ds_bpermute_b32 v131, v0, v139 offset:8
	s_waitcnt lgkmcnt(0)
	v_fmac_f32_e32 v156, v129, v131
	ds_bpermute_b32 v129, v0, v139 offset:12
	v_mul_f32_e32 v131, v164, v161
	ds_bpermute_b32 v161, v0, v139 offset:84
	s_waitcnt lgkmcnt(1)
	v_fmac_f32_e32 v156, v131, v129
	ds_bpermute_b32 v129, v0, v139 offset:16
	v_mul_f32_e32 v131, v160, v163
	;; [unrolled: 5-line block ×3, first 2 shown]
	s_waitcnt lgkmcnt(1)
	v_pk_mul_f32 v[136:137], v[136:137], v[160:161]
	s_waitcnt lgkmcnt(0)
	v_fmac_f32_e32 v156, v131, v129
	ds_bpermute_b32 v129, v0, v139 offset:24
	v_mul_f32_e32 v131, v166, v167
	s_waitcnt lgkmcnt(0)
	v_fmac_f32_e32 v156, v131, v129
	ds_bpermute_b32 v129, v0, v139 offset:28
	s_waitcnt lgkmcnt(0)
	v_fmac_f32_e32 v156, v126, v129
	ds_bpermute_b32 v126, v0, v139 offset:32
	v_mul_f32_e32 v129, v170, v174
	s_waitcnt lgkmcnt(0)
	v_fmac_f32_e32 v156, v129, v126
	ds_bpermute_b32 v126, v0, v139 offset:36
	v_mul_f32_e32 v129, v171, v176
	;; [unrolled: 4-line block ×12, first 2 shown]
	s_waitcnt lgkmcnt(0)
	v_fmac_f32_e32 v156, v129, v126
	v_add_f32_e32 v126, v156, v136
	v_add_f32_e32 v126, v126, v137
	ds_bpermute_b32 v136, v0, v139 offset:88
	ds_bpermute_b32 v137, v0, v139 offset:92
	v_mul_f32_e32 v156, v196, v193
	s_waitcnt lgkmcnt(0)
	v_pk_mul_f32 v[136:137], v[140:141], v[136:137]
	v_add_f32_e32 v126, v126, v136
	v_add_f32_e32 v126, v126, v137
	ds_bpermute_b32 v136, v0, v139 offset:96
	ds_bpermute_b32 v137, v0, v139 offset:100
	v_pk_mul_f32 v[140:141], v[142:143], v[148:149]
	s_waitcnt lgkmcnt(0)
	v_pk_mul_f32 v[136:137], v[140:141], v[136:137]
	v_add_f32_e32 v126, v126, v136
	v_add_f32_e32 v126, v126, v137
	ds_bpermute_b32 v136, v0, v139 offset:104
	ds_bpermute_b32 v137, v0, v139 offset:108
	v_pk_mul_f32 v[140:141], v[146:147], v[152:153]
	;; [unrolled: 7-line block ×3, first 2 shown]
	s_waitcnt lgkmcnt(0)
	v_pk_mul_f32 v[136:137], v[140:141], v[136:137]
	v_add_f32_e32 v126, v126, v136
	v_add_f32_e32 v126, v126, v137
	ds_bpermute_b32 v136, v0, v139 offset:120
	ds_bpermute_b32 v137, v0, v139 offset:124
	s_waitcnt lgkmcnt(0)
	v_pk_mul_f32 v[136:137], v[156:157], v[136:137]
	v_add_f32_e32 v126, v126, v136
	v_add_f32_e32 v139, v126, v137
	s_branch .LBB143_225
.LBB143_219:                            ;   in Loop: Header=BB143_149 Depth=1
                                        ; implicit-def: $vgpr139
	s_cbranch_execz .LBB143_225
; %bb.220:                              ;   in Loop: Header=BB143_149 Depth=1
	s_load_dword s0, s[10:11], 0x0
	v_accvgpr_read_b32 v129, a73
	v_accvgpr_read_b32 v131, a72
	s_waitcnt lgkmcnt(0)
	s_cmp_lt_u32 s6, s0
	s_cselect_b32 s0, 12, 18
	s_add_u32 s0, s10, s0
	s_addc_u32 s1, s11, 0
	global_load_ushort v126, v129, s[0:1]
	v_accvgpr_read_b32 v129, a1
	s_waitcnt vmcnt(0)
	v_mad_u32_u24 v126, v129, v126, v131
	v_and_b32_e32 v129, 63, v126
	v_cmp_gt_u32_e32 vcc, 32, v129
	v_mov_b32_e32 v126, 0
	s_and_saveexec_b64 s[0:1], vcc
	s_cbranch_execz .LBB143_224
; %bb.221:                              ;   in Loop: Header=BB143_149 Depth=1
	v_add_co_u32_e32 v134, vcc, v134, v129
	v_addc_co_u32_e32 v135, vcc, 0, v135, vcc
	v_cmp_gt_i64_e32 vcc, s[12:13], v[134:135]
	v_mov_b32_e32 v126, 0
	s_and_saveexec_b64 s[26:27], vcc
	s_cbranch_execz .LBB143_223
; %bb.222:                              ;   in Loop: Header=BB143_149 Depth=1
	v_lshlrev_b64 v[134:135], 2, v[134:135]
	v_mov_b32_e32 v126, s21
	v_add_co_u32_e32 v134, vcc, s20, v134
	v_addc_co_u32_e32 v135, vcc, v126, v135, vcc
	global_load_dword v126, v[134:135], off
.LBB143_223:                            ;   in Loop: Header=BB143_149 Depth=1
	s_or_b64 exec, exec, s[26:27]
.LBB143_224:                            ;   in Loop: Header=BB143_149 Depth=1
	s_or_b64 exec, exec, s[0:1]
	v_add_co_u32_e32 v134, vcc, v128, v132
	v_addc_co_u32_e32 v135, vcc, v1, v133, vcc
	global_load_dword v129, v[134:135], off
	v_add_co_u32_e32 v134, vcc, v130, v132
	v_addc_co_u32_e32 v135, vcc, v127, v133, vcc
	global_load_dword v131, v[134:135], off
	;; [unrolled: 3-line block ×60, first 2 shown]
	v_add_co_u32_e32 v134, vcc, v118, v132
	v_addc_co_u32_e32 v135, vcc, v119, v133, vcc
	v_add_co_u32_e32 v136, vcc, v120, v132
	v_addc_co_u32_e32 v137, vcc, v121, v133, vcc
	;; [unrolled: 2-line block ×3, first 2 shown]
	global_load_dword v134, v[134:135], off
	s_waitcnt vmcnt(59)
	v_mul_f32_e32 v129, v129, v131
	global_load_dword v135, v[160:161], off
	v_add_co_u32_e32 v160, vcc, v124, v132
	v_addc_co_u32_e32 v161, vcc, v125, v133, vcc
	global_load_dword v136, v[136:137], off
	s_waitcnt vmcnt(59)
	v_mul_f32_e32 v131, v139, v162
	global_load_dword v137, v[160:161], off
	ds_bpermute_b32 v160, v0, v126
	ds_bpermute_b32 v161, v0, v126 offset:84
	s_waitcnt vmcnt(20)
	v_pk_mul_f32 v[154:155], v[154:155], v[156:157]
	ds_bpermute_b32 v139, v0, v126 offset:92
	s_waitcnt vmcnt(16)
	v_pk_mul_f32 v[146:147], v[146:147], v[150:151]
	s_waitcnt lgkmcnt(2)
	v_fmac_f32_e32 v138, v129, v160
	ds_bpermute_b32 v129, v0, v126 offset:4
	ds_bpermute_b32 v160, v0, v126 offset:80
	s_waitcnt lgkmcnt(1)
	v_fmac_f32_e32 v138, v131, v129
	ds_bpermute_b32 v129, v0, v126 offset:8
	v_mul_f32_e32 v131, v163, v164
	s_waitcnt lgkmcnt(1)
	v_pk_mul_f32 v[154:155], v[154:155], v[160:161]
	s_waitcnt lgkmcnt(0)
	v_fmac_f32_e32 v138, v131, v129
	ds_bpermute_b32 v129, v0, v126 offset:12
	v_mul_f32_e32 v131, v165, v166
	s_waitcnt lgkmcnt(0)
	v_fmac_f32_e32 v138, v131, v129
	ds_bpermute_b32 v129, v0, v126 offset:16
	v_mul_f32_e32 v131, v167, v168
	;; [unrolled: 4-line block ×4, first 2 shown]
	s_waitcnt vmcnt(8)
	v_pk_mul_f32 v[142:143], v[158:159], v[142:143]
	s_waitcnt lgkmcnt(0)
	v_fmac_f32_e32 v138, v131, v129
	ds_bpermute_b32 v129, v0, v126 offset:28
	v_mul_f32_e32 v131, v173, v174
	s_waitcnt lgkmcnt(0)
	v_fmac_f32_e32 v138, v131, v129
	ds_bpermute_b32 v129, v0, v126 offset:32
	v_mul_f32_e32 v131, v175, v176
	;; [unrolled: 4-line block ×3, first 2 shown]
	s_waitcnt vmcnt(4)
	v_pk_mul_f32 v[140:141], v[140:141], v[144:145]
	s_waitcnt lgkmcnt(0)
	v_fmac_f32_e32 v138, v131, v129
	ds_bpermute_b32 v129, v0, v126 offset:40
	v_mul_f32_e32 v131, v179, v180
	s_waitcnt lgkmcnt(0)
	v_fmac_f32_e32 v138, v131, v129
	ds_bpermute_b32 v129, v0, v126 offset:44
	v_mul_f32_e32 v131, v181, v182
	;; [unrolled: 4-line block ×4, first 2 shown]
	s_waitcnt vmcnt(0)
	v_pk_mul_f32 v[134:135], v[134:135], v[136:137]
	s_waitcnt lgkmcnt(0)
	v_fmac_f32_e32 v138, v131, v129
	ds_bpermute_b32 v129, v0, v126 offset:56
	v_mul_f32_e32 v131, v187, v188
	s_waitcnt lgkmcnt(0)
	v_fmac_f32_e32 v138, v131, v129
	ds_bpermute_b32 v129, v0, v126 offset:60
	v_mul_f32_e32 v131, v189, v190
	;; [unrolled: 4-line block ×6, first 2 shown]
	s_waitcnt lgkmcnt(0)
	v_fmac_f32_e32 v138, v131, v129
	v_add_f32_e32 v129, v138, v154
	ds_bpermute_b32 v138, v0, v126 offset:88
	v_add_f32_e32 v129, v129, v155
	s_waitcnt lgkmcnt(0)
	v_pk_mul_f32 v[138:139], v[146:147], v[138:139]
	v_add_f32_e32 v129, v129, v138
	v_add_f32_e32 v129, v129, v139
	ds_bpermute_b32 v138, v0, v126 offset:96
	ds_bpermute_b32 v139, v0, v126 offset:100
	v_pk_mul_f32 v[146:147], v[148:149], v[152:153]
	s_waitcnt lgkmcnt(0)
	v_pk_mul_f32 v[138:139], v[146:147], v[138:139]
	v_add_f32_e32 v129, v129, v138
	v_add_f32_e32 v129, v129, v139
	ds_bpermute_b32 v138, v0, v126 offset:104
	ds_bpermute_b32 v139, v0, v126 offset:108
	s_waitcnt lgkmcnt(0)
	v_pk_mul_f32 v[138:139], v[142:143], v[138:139]
	v_add_f32_e32 v129, v129, v138
	v_add_f32_e32 v129, v129, v139
	ds_bpermute_b32 v138, v0, v126 offset:112
	ds_bpermute_b32 v139, v0, v126 offset:116
	;; [unrolled: 6-line block ×3, first 2 shown]
	s_waitcnt lgkmcnt(0)
	v_pk_mul_f32 v[134:135], v[134:135], v[138:139]
	v_add_f32_e32 v126, v129, v134
	v_add_f32_e32 v139, v126, v135
.LBB143_225:                            ;   in Loop: Header=BB143_149 Depth=1
	v_accvgpr_read_b32 v126, a2
	v_add_co_u32_e32 v126, vcc, s7, v126
	v_accvgpr_write_b32 a2, v126
	v_mov_b32_e32 v126, s9
	v_addc_co_u32_e32 v253, vcc, v253, v126, vcc
	v_add_co_u32_e32 v2, vcc, s16, v2
	v_mov_b32_e32 v126, s17
	v_addc_co_u32_e32 v3, vcc, v3, v126, vcc
	v_add_co_u32_e32 v4, vcc, s16, v4
	v_addc_co_u32_e32 v5, vcc, v5, v126, vcc
	v_add_co_u32_e32 v6, vcc, s16, v6
	;; [unrolled: 2-line block ×63, first 2 shown]
	v_addc_co_u32_e32 v127, vcc, v127, v126, vcc
	v_accvgpr_read_b32 v134, a4
	v_add_co_u32_e32 v134, vcc, s16, v134
	v_accvgpr_read_b32 v129, a3
	v_accvgpr_write_b32 a4, v134
	v_addc_co_u32_e32 v129, vcc, v129, v126, vcc
	v_accvgpr_read_b32 v134, a6
	v_accvgpr_write_b32 a3, v129
	v_add_co_u32_e32 v134, vcc, s16, v134
	v_accvgpr_read_b32 v129, a5
	v_accvgpr_write_b32 a6, v134
	v_addc_co_u32_e32 v129, vcc, v129, v126, vcc
	v_accvgpr_read_b32 v134, a8
	v_accvgpr_write_b32 a5, v129
	;; [unrolled: 6-line block ×32, first 2 shown]
	v_add_co_u32_e32 v134, vcc, s16, v134
	v_accvgpr_read_b32 v129, a67
	v_accvgpr_write_b32 a68, v134
	v_addc_co_u32_e32 v129, vcc, v129, v126, vcc
	v_accvgpr_read_b32 v134, a70
	v_add_co_u32_e32 v134, vcc, s16, v134
	v_addc_co_u32_e32 v195, vcc, v195, v126, vcc
	v_accvgpr_write_b32 a67, v129
	v_add_co_u32_e32 v200, vcc, s16, v200
	v_accvgpr_read_b32 v129, a69
	v_addc_co_u32_e32 v129, vcc, v129, v126, vcc
	v_accvgpr_write_b32 a69, v129
	v_add_co_u32_e32 v202, vcc, s16, v202
	v_accvgpr_read_b32 v129, a71
	v_addc_co_u32_e32 v129, vcc, v129, v126, vcc
	v_add_co_u32_e32 v204, vcc, s16, v204
	v_addc_co_u32_e32 v201, vcc, v201, v126, vcc
	v_add_co_u32_e32 v206, vcc, s16, v206
	;; [unrolled: 2-line block ×25, first 2 shown]
	v_addc_co_u32_e32 v249, vcc, v249, v126, vcc
	s_add_u32 s24, s24, s7
	v_add_co_u32_e32 v254, vcc, s16, v254
	s_addc_u32 s25, s25, 0
	v_accvgpr_write_b32 a70, v134
	v_addc_co_u32_e32 v251, vcc, v251, v126, vcc
	v_pk_mov_b32 v[134:135], s[12:13], s[12:13] op_sel:[0,1]
	s_add_u32 s18, s18, s7
	v_cmp_ge_i64_e32 vcc, s[24:25], v[134:135]
	s_addc_u32 s19, s19, 0
	s_cbranch_vccnz .LBB143_227
; %bb.226:                              ;   in Loop: Header=BB143_149 Depth=1
	v_accvgpr_write_b32 a71, v129
	v_mov_b32_e32 v138, v139
	s_branch .LBB143_149
.LBB143_227:
	v_accvgpr_read_b32 v253, a0
.LBB143_228:
	s_mov_b32 s7, 0
	s_lshl_b64 s[0:1], s[6:7], 6
	v_and_b32_e32 v0, 0x3ff, v253
	v_or_b32_e32 v2, s0, v0
	v_mov_b32_e32 v3, s1
	s_waitcnt lgkmcnt(0)
	s_cmp_lg_u64 s[2:3], 0
	v_cmp_gt_i64_e32 vcc, s[14:15], v[2:3]
	s_cselect_b64 s[0:1], -1, 0
	s_and_b64 s[0:1], vcc, s[0:1]
	s_and_saveexec_b64 s[6:7], s[0:1]
	s_cbranch_execz .LBB143_230
; %bb.229:
	s_load_dword s0, s[4:5], 0x4c
	v_bfe_u32 v0, v253, 10, 10
	v_mov_b32_e32 v1, 0
	v_mov_b32_e32 v4, s8
	s_waitcnt lgkmcnt(0)
	s_lshr_b32 s0, s0, 16
	v_mad_u64_u32 v[0:1], s[0:1], s0, v4, v[0:1]
	v_mul_lo_u32 v4, v1, s14
	v_mul_lo_u32 v5, v0, s15
	v_mad_u64_u32 v[0:1], s[0:1], v0, s14, 0
	v_add3_u32 v1, v1, v5, v4
	v_lshlrev_b64 v[0:1], 2, v[0:1]
	v_mov_b32_e32 v4, s3
	v_add_co_u32_e32 v5, vcc, s2, v0
	v_addc_co_u32_e32 v4, vcc, v4, v1, vcc
	v_lshlrev_b64 v[0:1], 2, v[2:3]
	v_add_co_u32_e32 v0, vcc, v5, v0
	v_addc_co_u32_e32 v1, vcc, v4, v1, vcc
	global_store_dword v[0:1], v139, off
.LBB143_230:
	s_endpgm
	.section	.rodata,"a",@progbits
	.p2align	6, 0x0
	.amdhsa_kernel _ZN2at6native12_GLOBAL__N_135GammaBetaBackwardCUDAKernelTemplateIffLj64ELj1ELj32ELb1ELb0ELb1EEEvllPKT_S5_PKT0_S8_PS3_S9_
		.amdhsa_group_segment_fixed_size 0
		.amdhsa_private_segment_fixed_size 0
		.amdhsa_kernarg_size 320
		.amdhsa_user_sgpr_count 6
		.amdhsa_user_sgpr_private_segment_buffer 1
		.amdhsa_user_sgpr_dispatch_ptr 0
		.amdhsa_user_sgpr_queue_ptr 0
		.amdhsa_user_sgpr_kernarg_segment_ptr 1
		.amdhsa_user_sgpr_dispatch_id 0
		.amdhsa_user_sgpr_flat_scratch_init 0
		.amdhsa_user_sgpr_kernarg_preload_length 0
		.amdhsa_user_sgpr_kernarg_preload_offset 0
		.amdhsa_user_sgpr_private_segment_size 0
		.amdhsa_uses_dynamic_stack 0
		.amdhsa_system_sgpr_private_segment_wavefront_offset 0
		.amdhsa_system_sgpr_workgroup_id_x 1
		.amdhsa_system_sgpr_workgroup_id_y 1
		.amdhsa_system_sgpr_workgroup_id_z 0
		.amdhsa_system_sgpr_workgroup_info 0
		.amdhsa_system_vgpr_workitem_id 1
		.amdhsa_next_free_vgpr 331
		.amdhsa_next_free_sgpr 36
		.amdhsa_accum_offset 256
		.amdhsa_reserve_vcc 1
		.amdhsa_reserve_flat_scratch 0
		.amdhsa_float_round_mode_32 0
		.amdhsa_float_round_mode_16_64 0
		.amdhsa_float_denorm_mode_32 3
		.amdhsa_float_denorm_mode_16_64 3
		.amdhsa_dx10_clamp 1
		.amdhsa_ieee_mode 1
		.amdhsa_fp16_overflow 0
		.amdhsa_tg_split 0
		.amdhsa_exception_fp_ieee_invalid_op 0
		.amdhsa_exception_fp_denorm_src 0
		.amdhsa_exception_fp_ieee_div_zero 0
		.amdhsa_exception_fp_ieee_overflow 0
		.amdhsa_exception_fp_ieee_underflow 0
		.amdhsa_exception_fp_ieee_inexact 0
		.amdhsa_exception_int_div_zero 0
	.end_amdhsa_kernel
	.section	.text._ZN2at6native12_GLOBAL__N_135GammaBetaBackwardCUDAKernelTemplateIffLj64ELj1ELj32ELb1ELb0ELb1EEEvllPKT_S5_PKT0_S8_PS3_S9_,"axG",@progbits,_ZN2at6native12_GLOBAL__N_135GammaBetaBackwardCUDAKernelTemplateIffLj64ELj1ELj32ELb1ELb0ELb1EEEvllPKT_S5_PKT0_S8_PS3_S9_,comdat
.Lfunc_end143:
	.size	_ZN2at6native12_GLOBAL__N_135GammaBetaBackwardCUDAKernelTemplateIffLj64ELj1ELj32ELb1ELb0ELb1EEEvllPKT_S5_PKT0_S8_PS3_S9_, .Lfunc_end143-_ZN2at6native12_GLOBAL__N_135GammaBetaBackwardCUDAKernelTemplateIffLj64ELj1ELj32ELb1ELb0ELb1EEEvllPKT_S5_PKT0_S8_PS3_S9_
                                        ; -- End function
	.section	.AMDGPU.csdata,"",@progbits
; Kernel info:
; codeLenInByte = 21204
; NumSgprs: 40
; NumVgprs: 256
; NumAgprs: 75
; TotalNumVgprs: 331
; ScratchSize: 0
; MemoryBound: 0
; FloatMode: 240
; IeeeMode: 1
; LDSByteSize: 0 bytes/workgroup (compile time only)
; SGPRBlocks: 4
; VGPRBlocks: 41
; NumSGPRsForWavesPerEU: 40
; NumVGPRsForWavesPerEU: 331
; AccumOffset: 256
; Occupancy: 1
; WaveLimiterHint : 0
; COMPUTE_PGM_RSRC2:SCRATCH_EN: 0
; COMPUTE_PGM_RSRC2:USER_SGPR: 6
; COMPUTE_PGM_RSRC2:TRAP_HANDLER: 0
; COMPUTE_PGM_RSRC2:TGID_X_EN: 1
; COMPUTE_PGM_RSRC2:TGID_Y_EN: 1
; COMPUTE_PGM_RSRC2:TGID_Z_EN: 0
; COMPUTE_PGM_RSRC2:TIDIG_COMP_CNT: 1
; COMPUTE_PGM_RSRC3_GFX90A:ACCUM_OFFSET: 63
; COMPUTE_PGM_RSRC3_GFX90A:TG_SPLIT: 0
	.section	.text._ZN2at6native12_GLOBAL__N_135GammaBetaBackwardCUDAKernelTemplateIffLj64ELj1ELj8ELb1ELb1ELb1EEEvllPKT_S5_PKT0_S8_PS3_S9_,"axG",@progbits,_ZN2at6native12_GLOBAL__N_135GammaBetaBackwardCUDAKernelTemplateIffLj64ELj1ELj8ELb1ELb1ELb1EEEvllPKT_S5_PKT0_S8_PS3_S9_,comdat
	.globl	_ZN2at6native12_GLOBAL__N_135GammaBetaBackwardCUDAKernelTemplateIffLj64ELj1ELj8ELb1ELb1ELb1EEEvllPKT_S5_PKT0_S8_PS3_S9_ ; -- Begin function _ZN2at6native12_GLOBAL__N_135GammaBetaBackwardCUDAKernelTemplateIffLj64ELj1ELj8ELb1ELb1ELb1EEEvllPKT_S5_PKT0_S8_PS3_S9_
	.p2align	8
	.type	_ZN2at6native12_GLOBAL__N_135GammaBetaBackwardCUDAKernelTemplateIffLj64ELj1ELj8ELb1ELb1ELb1EEEvllPKT_S5_PKT0_S8_PS3_S9_,@function
_ZN2at6native12_GLOBAL__N_135GammaBetaBackwardCUDAKernelTemplateIffLj64ELj1ELj8ELb1ELb1ELb1EEEvllPKT_S5_PKT0_S8_PS3_S9_: ; @_ZN2at6native12_GLOBAL__N_135GammaBetaBackwardCUDAKernelTemplateIffLj64ELj1ELj8ELb1ELb1ELb1EEEvllPKT_S5_PKT0_S8_PS3_S9_
; %bb.0:
	s_load_dwordx4 s[8:11], s[4:5], 0x0
	s_load_dwordx2 s[16:17], s[4:5], 0x30
	s_lshl_b32 s18, s7, 3
	s_mov_b32 s19, 0
	s_mov_b32 s2, s7
	s_waitcnt lgkmcnt(0)
	v_pk_mov_b32 v[2:3], s[8:9], s[8:9] op_sel:[0,1]
	v_cmp_ge_i64_e32 vcc, s[18:19], v[2:3]
	v_mov_b32_e32 v5, 0
	v_bfe_u32 v2, v0, 10, 10
	s_cbranch_vccnz .LBB144_7
; %bb.1:
	s_load_dword s0, s[4:5], 0x4c
	s_load_dword s3, s[4:5], 0x44
	s_load_dwordx4 s[12:15], s[4:5], 0x10
	s_load_dwordx2 s[22:23], s[4:5], 0x28
	v_and_b32_e32 v1, 0x3ff, v0
	s_waitcnt lgkmcnt(0)
	s_and_b32 s0, s0, 0xffff
	v_mad_u32_u24 v3, v2, s0, v1
	v_lshl_or_b32 v4, s6, 6, v1
	v_mbcnt_lo_u32_b32 v1, -1, 0
	v_mbcnt_hi_u32_b32 v1, -1, v1
	v_lshlrev_b32_e32 v7, 3, v2
	v_lshlrev_b32_e32 v1, 2, v1
	v_and_b32_e32 v6, 63, v3
	v_and_b32_e32 v3, 0x100, v1
	v_mov_b32_e32 v1, s19
	v_add_co_u32_e32 v10, vcc, s18, v7
	v_addc_co_u32_e32 v1, vcc, 0, v1, vcc
	v_cmp_gt_u32_e64 s[0:1], 8, v6
	v_add_co_u32_e32 v6, vcc, v10, v6
	v_addc_co_u32_e32 v7, vcc, 0, v1, vcc
	v_lshlrev_b64 v[8:9], 2, v[6:7]
	v_mov_b32_e32 v11, s23
	v_add_co_u32_e32 v8, vcc, s22, v8
	s_lshl_b32 s20, s3, 3
	v_addc_co_u32_e32 v9, vcc, v11, v9, vcc
	v_mul_lo_u32 v19, s11, v10
	v_mul_lo_u32 v1, s10, v1
	v_mad_u64_u32 v[10:11], s[24:25], s10, v10, 0
	v_mov_b32_e32 v5, 0
	v_add3_u32 v11, v11, v1, v19
	s_mul_i32 s3, s11, s20
	s_mul_hi_u32 s7, s10, s20
	s_mov_b32 s21, s19
	v_lshlrev_b64 v[10:11], 2, v[10:11]
	v_lshlrev_b64 v[20:21], 2, v[4:5]
	s_add_i32 s25, s7, s3
	s_mul_i32 s24, s10, s20
	s_lshl_b64 s[22:23], s[20:21], 2
	v_add_co_u32_e32 v4, vcc, v10, v20
	s_lshl_b64 s[24:25], s[24:25], 2
	s_lshl_b64 s[26:27], s[10:11], 2
	v_or_b32_e32 v12, 4, v3
	v_or_b32_e32 v13, 8, v3
	;; [unrolled: 1-line block ×7, first 2 shown]
	v_addc_co_u32_e32 v1, vcc, v11, v21, vcc
	v_mov_b32_e32 v19, s13
	v_mov_b32_e32 v20, s15
	;; [unrolled: 1-line block ×6, first 2 shown]
	v_pk_mov_b32 v[10:11], s[8:9], s[8:9] op_sel:[0,1]
	s_branch .LBB144_4
.LBB144_2:                              ;   in Loop: Header=BB144_4 Depth=1
	s_or_b64 exec, exec, s[30:31]
.LBB144_3:                              ;   in Loop: Header=BB144_4 Depth=1
	s_or_b64 exec, exec, s[28:29]
	v_add_co_u32_e32 v26, vcc, s12, v4
	v_addc_co_u32_e32 v27, vcc, v19, v1, vcc
	v_add_co_u32_e32 v30, vcc, s14, v4
	v_addc_co_u32_e32 v31, vcc, v20, v1, vcc
	global_load_dword v28, v[26:27], off
	v_add_co_u32_e32 v26, vcc, s26, v26
	v_addc_co_u32_e32 v27, vcc, v27, v21, vcc
	global_load_dword v32, v[30:31], off
	;; [unrolled: 3-line block ×15, first 2 shown]
	global_load_dword v45, v[26:27], off
	s_waitcnt vmcnt(16)
	ds_bpermute_b32 v26, v3, v25
	ds_bpermute_b32 v27, v12, v25
	;; [unrolled: 1-line block ×4, first 2 shown]
	v_add_co_u32_e32 v8, vcc, s22, v8
	v_addc_co_u32_e32 v9, vcc, v9, v22, vcc
	v_add_co_u32_e32 v6, vcc, s20, v6
	v_addc_co_u32_e32 v7, vcc, v7, v23, vcc
	s_add_u32 s18, s18, s20
	v_add_co_u32_e32 v4, vcc, s24, v4
	s_addc_u32 s19, s19, 0
	v_addc_co_u32_e32 v1, vcc, v1, v24, vcc
	v_cmp_lt_i64_e32 vcc, s[18:19], v[10:11]
	s_and_b64 vcc, exec, vcc
	s_waitcnt vmcnt(12)
	v_pk_mul_f32 v[28:29], v[28:29], v[32:33]
	s_waitcnt lgkmcnt(2)
	v_pk_mul_f32 v[26:27], v[28:29], v[26:27]
	v_add_f32_e32 v5, v5, v26
	ds_bpermute_b32 v28, v15, v25
	ds_bpermute_b32 v29, v16, v25
	v_add_f32_e32 v5, v5, v27
	s_waitcnt vmcnt(8)
	v_pk_mul_f32 v[26:27], v[34:35], v[36:37]
	s_waitcnt lgkmcnt(2)
	v_pk_mul_f32 v[26:27], v[26:27], v[30:31]
	v_add_f32_e32 v5, v5, v26
	ds_bpermute_b32 v30, v17, v25
	ds_bpermute_b32 v31, v18, v25
	v_add_f32_e32 v5, v5, v27
	s_waitcnt vmcnt(4)
	v_pk_mul_f32 v[26:27], v[38:39], v[40:41]
	s_waitcnt lgkmcnt(2)
	v_pk_mul_f32 v[26:27], v[26:27], v[28:29]
	v_add_f32_e32 v5, v5, v26
	v_add_f32_e32 v5, v5, v27
	s_waitcnt vmcnt(0)
	v_pk_mul_f32 v[26:27], v[42:43], v[44:45]
	s_waitcnt lgkmcnt(0)
	v_pk_mul_f32 v[26:27], v[26:27], v[30:31]
	v_add_f32_e32 v5, v5, v26
	v_add_f32_e32 v5, v5, v27
	s_cbranch_vccz .LBB144_7
.LBB144_4:                              ; =>This Inner Loop Header: Depth=1
	v_mov_b32_e32 v25, 0
	s_and_saveexec_b64 s[28:29], s[0:1]
	s_cbranch_execz .LBB144_3
; %bb.5:                                ;   in Loop: Header=BB144_4 Depth=1
	v_cmp_gt_i64_e32 vcc, s[8:9], v[6:7]
	v_mov_b32_e32 v25, 0
	s_and_saveexec_b64 s[30:31], vcc
	s_cbranch_execz .LBB144_2
; %bb.6:                                ;   in Loop: Header=BB144_4 Depth=1
	global_load_dword v25, v[8:9], off
	s_branch .LBB144_2
.LBB144_7:
	s_cmp_eq_u64 s[16:17], 0
	s_cbranch_scc1 .LBB144_9
; %bb.8:
	s_load_dword s0, s[4:5], 0x4c
	v_mov_b32_e32 v3, 0
	v_mov_b32_e32 v1, s2
	s_mov_b32 s7, 0
	v_and_b32_e32 v0, 0x3ff, v0
	s_waitcnt lgkmcnt(0)
	s_lshr_b32 s0, s0, 16
	v_mad_u64_u32 v[2:3], s[0:1], s0, v1, v[2:3]
	v_mul_lo_u32 v1, v3, s10
	v_mul_lo_u32 v4, v2, s11
	v_mad_u64_u32 v[2:3], s[0:1], v2, s10, 0
	s_lshl_b64 s[0:1], s[6:7], 8
	v_add3_u32 v3, v3, v4, v1
	s_add_u32 s0, s0, s16
	v_lshlrev_b64 v[2:3], 2, v[2:3]
	s_addc_u32 s1, s1, s17
	v_mov_b32_e32 v1, s1
	v_add_co_u32_e32 v2, vcc, s0, v2
	v_addc_co_u32_e32 v1, vcc, v1, v3, vcc
	v_lshlrev_b32_e32 v0, 2, v0
	v_add_co_u32_e32 v0, vcc, v2, v0
	v_addc_co_u32_e32 v1, vcc, 0, v1, vcc
	global_store_dword v[0:1], v5, off
.LBB144_9:
	s_endpgm
	.section	.rodata,"a",@progbits
	.p2align	6, 0x0
	.amdhsa_kernel _ZN2at6native12_GLOBAL__N_135GammaBetaBackwardCUDAKernelTemplateIffLj64ELj1ELj8ELb1ELb1ELb1EEEvllPKT_S5_PKT0_S8_PS3_S9_
		.amdhsa_group_segment_fixed_size 0
		.amdhsa_private_segment_fixed_size 0
		.amdhsa_kernarg_size 320
		.amdhsa_user_sgpr_count 6
		.amdhsa_user_sgpr_private_segment_buffer 1
		.amdhsa_user_sgpr_dispatch_ptr 0
		.amdhsa_user_sgpr_queue_ptr 0
		.amdhsa_user_sgpr_kernarg_segment_ptr 1
		.amdhsa_user_sgpr_dispatch_id 0
		.amdhsa_user_sgpr_flat_scratch_init 0
		.amdhsa_user_sgpr_kernarg_preload_length 0
		.amdhsa_user_sgpr_kernarg_preload_offset 0
		.amdhsa_user_sgpr_private_segment_size 0
		.amdhsa_uses_dynamic_stack 0
		.amdhsa_system_sgpr_private_segment_wavefront_offset 0
		.amdhsa_system_sgpr_workgroup_id_x 1
		.amdhsa_system_sgpr_workgroup_id_y 1
		.amdhsa_system_sgpr_workgroup_id_z 0
		.amdhsa_system_sgpr_workgroup_info 0
		.amdhsa_system_vgpr_workitem_id 1
		.amdhsa_next_free_vgpr 46
		.amdhsa_next_free_sgpr 32
		.amdhsa_accum_offset 48
		.amdhsa_reserve_vcc 1
		.amdhsa_reserve_flat_scratch 0
		.amdhsa_float_round_mode_32 0
		.amdhsa_float_round_mode_16_64 0
		.amdhsa_float_denorm_mode_32 3
		.amdhsa_float_denorm_mode_16_64 3
		.amdhsa_dx10_clamp 1
		.amdhsa_ieee_mode 1
		.amdhsa_fp16_overflow 0
		.amdhsa_tg_split 0
		.amdhsa_exception_fp_ieee_invalid_op 0
		.amdhsa_exception_fp_denorm_src 0
		.amdhsa_exception_fp_ieee_div_zero 0
		.amdhsa_exception_fp_ieee_overflow 0
		.amdhsa_exception_fp_ieee_underflow 0
		.amdhsa_exception_fp_ieee_inexact 0
		.amdhsa_exception_int_div_zero 0
	.end_amdhsa_kernel
	.section	.text._ZN2at6native12_GLOBAL__N_135GammaBetaBackwardCUDAKernelTemplateIffLj64ELj1ELj8ELb1ELb1ELb1EEEvllPKT_S5_PKT0_S8_PS3_S9_,"axG",@progbits,_ZN2at6native12_GLOBAL__N_135GammaBetaBackwardCUDAKernelTemplateIffLj64ELj1ELj8ELb1ELb1ELb1EEEvllPKT_S5_PKT0_S8_PS3_S9_,comdat
.Lfunc_end144:
	.size	_ZN2at6native12_GLOBAL__N_135GammaBetaBackwardCUDAKernelTemplateIffLj64ELj1ELj8ELb1ELb1ELb1EEEvllPKT_S5_PKT0_S8_PS3_S9_, .Lfunc_end144-_ZN2at6native12_GLOBAL__N_135GammaBetaBackwardCUDAKernelTemplateIffLj64ELj1ELj8ELb1ELb1ELb1EEEvllPKT_S5_PKT0_S8_PS3_S9_
                                        ; -- End function
	.section	.AMDGPU.csdata,"",@progbits
; Kernel info:
; codeLenInByte = 1056
; NumSgprs: 36
; NumVgprs: 46
; NumAgprs: 0
; TotalNumVgprs: 46
; ScratchSize: 0
; MemoryBound: 0
; FloatMode: 240
; IeeeMode: 1
; LDSByteSize: 0 bytes/workgroup (compile time only)
; SGPRBlocks: 4
; VGPRBlocks: 5
; NumSGPRsForWavesPerEU: 36
; NumVGPRsForWavesPerEU: 46
; AccumOffset: 48
; Occupancy: 8
; WaveLimiterHint : 0
; COMPUTE_PGM_RSRC2:SCRATCH_EN: 0
; COMPUTE_PGM_RSRC2:USER_SGPR: 6
; COMPUTE_PGM_RSRC2:TRAP_HANDLER: 0
; COMPUTE_PGM_RSRC2:TGID_X_EN: 1
; COMPUTE_PGM_RSRC2:TGID_Y_EN: 1
; COMPUTE_PGM_RSRC2:TGID_Z_EN: 0
; COMPUTE_PGM_RSRC2:TIDIG_COMP_CNT: 1
; COMPUTE_PGM_RSRC3_GFX90A:ACCUM_OFFSET: 11
; COMPUTE_PGM_RSRC3_GFX90A:TG_SPLIT: 0
	.section	.text._ZN2at6native12_GLOBAL__N_135GammaBetaBackwardCUDAKernelTemplateIffLj64ELj1ELj8ELb1ELb0ELb1EEEvllPKT_S5_PKT0_S8_PS3_S9_,"axG",@progbits,_ZN2at6native12_GLOBAL__N_135GammaBetaBackwardCUDAKernelTemplateIffLj64ELj1ELj8ELb1ELb0ELb1EEEvllPKT_S5_PKT0_S8_PS3_S9_,comdat
	.globl	_ZN2at6native12_GLOBAL__N_135GammaBetaBackwardCUDAKernelTemplateIffLj64ELj1ELj8ELb1ELb0ELb1EEEvllPKT_S5_PKT0_S8_PS3_S9_ ; -- Begin function _ZN2at6native12_GLOBAL__N_135GammaBetaBackwardCUDAKernelTemplateIffLj64ELj1ELj8ELb1ELb0ELb1EEEvllPKT_S5_PKT0_S8_PS3_S9_
	.p2align	8
	.type	_ZN2at6native12_GLOBAL__N_135GammaBetaBackwardCUDAKernelTemplateIffLj64ELj1ELj8ELb1ELb0ELb1EEEvllPKT_S5_PKT0_S8_PS3_S9_,@function
_ZN2at6native12_GLOBAL__N_135GammaBetaBackwardCUDAKernelTemplateIffLj64ELj1ELj8ELb1ELb0ELb1EEEvllPKT_S5_PKT0_S8_PS3_S9_: ; @_ZN2at6native12_GLOBAL__N_135GammaBetaBackwardCUDAKernelTemplateIffLj64ELj1ELj8ELb1ELb0ELb1EEEvllPKT_S5_PKT0_S8_PS3_S9_
; %bb.0:
	s_load_dwordx8 s[12:19], s[4:5], 0x0
	s_load_dwordx2 s[28:29], s[4:5], 0x28
	s_mov_b32 s8, s7
	s_lshl_b32 s7, s6, 6
	s_or_b32 s30, s7, 63
	s_mov_b32 s31, 0
	s_waitcnt lgkmcnt(0)
	v_pk_mov_b32 v[2:3], s[14:15], s[14:15] op_sel:[0,1]
	v_cmp_ge_i64_e32 vcc, s[30:31], v[2:3]
	s_lshl_b32 s30, s8, 3
	v_pk_mov_b32 v[2:3], s[12:13], s[12:13] op_sel:[0,1]
	v_cmp_lt_i64_e64 s[0:1], s[30:31], v[2:3]
	v_cndmask_b32_e64 v1, 0, 1, s[0:1]
	v_cmp_ne_u32_e64 s[0:1], 1, v1
	s_cbranch_vccz .LBB145_49
; %bb.1:
	s_and_b64 vcc, exec, s[0:1]
	v_mov_b32_e32 v4, 0
	s_cbranch_vccnz .LBB145_50
; %bb.2:
	v_and_b32_e32 v61, 0x3ff, v0
	v_bfe_u32 v64, v0, 10, 10
	v_add_u32_e32 v2, s7, v61
	v_mov_b32_e32 v3, 0
	v_lshlrev_b32_e32 v26, 3, v64
	v_cmp_gt_i64_e64 s[2:3], s[14:15], v[2:3]
	v_lshlrev_b64 v[28:29], 2, v[2:3]
	v_mov_b32_e32 v2, s31
	v_add_co_u32_e32 v6, vcc, s30, v26
	v_addc_co_u32_e32 v2, vcc, 0, v2, vcc
	v_add_co_u32_e32 v4, vcc, 7, v6
	v_addc_co_u32_e32 v5, vcc, 0, v2, vcc
	v_mul_lo_u32 v7, s15, v4
	v_mul_lo_u32 v8, s14, v5
	v_mad_u64_u32 v[4:5], s[10:11], s14, v4, 0
	s_load_dword s9, s[4:5], 0x44
	v_add3_u32 v5, v5, v8, v7
	v_lshlrev_b64 v[4:5], 2, v[4:5]
	v_mov_b32_e32 v7, s17
	v_add_co_u32_e32 v30, vcc, s16, v4
	v_addc_co_u32_e32 v27, vcc, v7, v5, vcc
	s_add_u32 s34, s4, 64
	v_mov_b32_e32 v8, s19
	v_add_co_u32_e32 v32, vcc, s18, v4
	s_addc_u32 s35, s5, 0
	s_waitcnt lgkmcnt(0)
	s_lshl_b32 s9, s9, 3
	v_addc_co_u32_e32 v31, vcc, v8, v5, vcc
	s_mul_i32 s10, s15, s9
	s_mul_hi_u32 s11, s14, s9
	v_add_co_u32_e32 v4, vcc, 6, v6
	s_add_i32 s11, s11, s10
	s_mul_i32 s10, s14, s9
	v_addc_co_u32_e32 v5, vcc, 0, v2, vcc
	s_lshl_b64 s[38:39], s[10:11], 2
	v_mul_lo_u32 v9, s15, v4
	v_mul_lo_u32 v10, s14, v5
	v_mad_u64_u32 v[4:5], s[10:11], s14, v4, 0
	v_add3_u32 v5, v5, v10, v9
	v_lshlrev_b64 v[4:5], 2, v[4:5]
	v_add_co_u32_e32 v34, vcc, s16, v4
	v_addc_co_u32_e32 v33, vcc, v7, v5, vcc
	v_add_co_u32_e32 v36, vcc, s18, v4
	v_addc_co_u32_e32 v35, vcc, v8, v5, vcc
	v_add_co_u32_e32 v4, vcc, 5, v6
	v_addc_co_u32_e32 v5, vcc, 0, v2, vcc
	v_mul_lo_u32 v9, s15, v4
	v_mul_lo_u32 v10, s14, v5
	v_mad_u64_u32 v[4:5], s[10:11], s14, v4, 0
	v_add3_u32 v5, v5, v10, v9
	v_lshlrev_b64 v[4:5], 2, v[4:5]
	v_add_co_u32_e32 v38, vcc, s16, v4
	v_addc_co_u32_e32 v37, vcc, v7, v5, vcc
	v_add_co_u32_e32 v40, vcc, s18, v4
	v_addc_co_u32_e32 v39, vcc, v8, v5, vcc
	v_add_co_u32_e32 v4, vcc, 4, v6
	v_addc_co_u32_e32 v5, vcc, 0, v2, vcc
	;; [unrolled: 11-line block ×4, first 2 shown]
	v_mul_lo_u32 v9, s15, v4
	v_mul_lo_u32 v10, s14, v5
	v_mad_u64_u32 v[4:5], s[10:11], s14, v4, 0
	v_add3_u32 v5, v5, v10, v9
	v_lshlrev_b64 v[4:5], 2, v[4:5]
	v_add_co_u32_e32 v50, vcc, s16, v4
	v_addc_co_u32_e32 v49, vcc, v7, v5, vcc
	v_add_co_u32_e32 v52, vcc, s18, v4
	v_addc_co_u32_e32 v51, vcc, v8, v5, vcc
	v_pk_mov_b32 v[4:5], s[14:15], s[14:15] op_sel:[0,1]
	v_mad_u64_u32 v[4:5], s[10:11], s14, v6, v[4:5]
	v_mul_lo_u32 v2, s14, v2
	v_mul_lo_u32 v9, s15, v6
	v_add3_u32 v5, v9, v5, v2
	v_lshlrev_b64 v[4:5], 2, v[4:5]
	v_add_co_u32_e32 v54, vcc, s16, v4
	v_addc_co_u32_e32 v53, vcc, v7, v5, vcc
	v_add_co_u32_e32 v56, vcc, s18, v4
	v_addc_co_u32_e32 v55, vcc, v8, v5, vcc
	v_mad_u64_u32 v[4:5], s[10:11], s14, v6, 0
	v_add3_u32 v5, v5, v2, v9
	v_lshlrev_b64 v[4:5], 2, v[4:5]
	v_add_co_u32_e32 v58, vcc, s16, v4
	v_mbcnt_lo_u32_b32 v2, -1, 0
	v_addc_co_u32_e32 v57, vcc, v7, v5, vcc
	v_mbcnt_hi_u32_b32 v2, -1, v2
	s_mov_b32 s20, 0
	v_add_co_u32_e32 v60, vcc, s18, v4
	v_lshlrev_b32_e32 v2, 2, v2
	v_mov_b32_e32 v1, v3
	s_mov_b32 s33, s20
	s_mov_b64 s[36:37], 7
	v_addc_co_u32_e32 v59, vcc, v8, v5, vcc
	v_and_b32_e32 v65, 0x100, v2
	s_mov_b64 s[40:41], s[30:31]
	v_mov_b32_e32 v66, 0
.LBB145_3:                              ; =>This Inner Loop Header: Depth=1
	s_add_u32 s10, s30, s36
	s_addc_u32 s11, 0, s37
	v_pk_mov_b32 v[4:5], s[12:13], s[12:13] op_sel:[0,1]
	v_cmp_ge_i64_e32 vcc, s[10:11], v[4:5]
	v_mov_b32_e32 v2, s31
	v_add_co_u32_e64 v62, s[10:11], s30, v26
	v_addc_co_u32_e64 v63, s[10:11], v2, v1, s[10:11]
	s_cbranch_vccz .LBB145_25
; %bb.4:                                ;   in Loop: Header=BB145_3 Depth=1
	s_load_dword s10, s[34:35], 0xc
	v_mov_b32_e32 v67, 0
	s_waitcnt lgkmcnt(0)
	s_and_b32 s10, s10, 0xffff
	v_mad_u32_u24 v2, v64, s10, v61
	v_and_b32_e32 v2, 63, v2
	v_cmp_gt_u32_e32 vcc, 8, v2
	s_and_saveexec_b64 s[10:11], vcc
	s_cbranch_execz .LBB145_8
; %bb.5:                                ;   in Loop: Header=BB145_3 Depth=1
	v_add_co_u32_e32 v4, vcc, v62, v2
	v_addc_co_u32_e32 v5, vcc, 0, v63, vcc
	v_cmp_gt_i64_e32 vcc, s[12:13], v[4:5]
	v_mov_b32_e32 v67, 0
	s_and_saveexec_b64 s[22:23], vcc
	s_cbranch_execz .LBB145_7
; %bb.6:                                ;   in Loop: Header=BB145_3 Depth=1
	v_lshlrev_b64 v[4:5], 2, v[4:5]
	v_mov_b32_e32 v2, s29
	v_add_co_u32_e32 v4, vcc, s28, v4
	v_addc_co_u32_e32 v5, vcc, v2, v5, vcc
	global_load_dword v67, v[4:5], off
.LBB145_7:                              ;   in Loop: Header=BB145_3 Depth=1
	s_or_b64 exec, exec, s[22:23]
.LBB145_8:                              ;   in Loop: Header=BB145_3 Depth=1
	s_or_b64 exec, exec, s[10:11]
	s_mov_b32 s21, s20
	s_mov_b32 s22, s20
	;; [unrolled: 1-line block ×7, first 2 shown]
	v_pk_mov_b32 v[10:11], s[20:21], s[20:21] op_sel:[0,1]
	v_pk_mov_b32 v[16:17], s[26:27], s[26:27] op_sel:[0,1]
	v_cmp_gt_i64_e32 vcc, s[12:13], v[62:63]
	v_pk_mov_b32 v[12:13], s[22:23], s[22:23] op_sel:[0,1]
	v_pk_mov_b32 v[14:15], s[24:25], s[24:25] op_sel:[0,1]
	;; [unrolled: 1-line block ×3, first 2 shown]
	s_and_b64 s[42:43], s[2:3], vcc
	v_pk_mov_b32 v[22:23], v[14:15], v[14:15] op_sel:[0,1]
	v_pk_mov_b32 v[20:21], v[12:13], v[12:13] op_sel:[0,1]
	;; [unrolled: 1-line block ×3, first 2 shown]
	s_and_saveexec_b64 s[10:11], s[42:43]
	s_cbranch_execz .LBB145_10
; %bb.9:                                ;   in Loop: Header=BB145_3 Depth=1
	v_add_co_u32_e32 v4, vcc, v58, v28
	v_addc_co_u32_e32 v5, vcc, v57, v29, vcc
	global_load_dword v2, v[4:5], off
	v_add_co_u32_e32 v4, vcc, v60, v28
	v_addc_co_u32_e32 v5, vcc, v59, v29, vcc
	global_load_dword v10, v[4:5], off
	v_mov_b32_e32 v8, v3
	v_mov_b32_e32 v9, v3
	;; [unrolled: 1-line block ×6, first 2 shown]
	s_waitcnt vmcnt(1)
	v_pk_mov_b32 v[24:25], v[8:9], v[8:9] op_sel:[0,1]
	v_mov_b32_e32 v11, v3
	v_mov_b32_e32 v12, v3
	;; [unrolled: 1-line block ×7, first 2 shown]
	v_pk_mov_b32 v[22:23], v[6:7], v[6:7] op_sel:[0,1]
	v_pk_mov_b32 v[20:21], v[4:5], v[4:5] op_sel:[0,1]
	v_pk_mov_b32 v[18:19], v[2:3], v[2:3] op_sel:[0,1]
.LBB145_10:                             ;   in Loop: Header=BB145_3 Depth=1
	s_or_b64 exec, exec, s[10:11]
	v_add_co_u32_e32 v4, vcc, 1, v62
	v_addc_co_u32_e32 v5, vcc, 0, v63, vcc
	v_cmp_gt_i64_e32 vcc, s[12:13], v[4:5]
	s_and_b64 s[22:23], s[2:3], vcc
	s_and_saveexec_b64 s[10:11], s[22:23]
	s_cbranch_execz .LBB145_12
; %bb.11:                               ;   in Loop: Header=BB145_3 Depth=1
	v_add_co_u32_e32 v4, vcc, v54, v28
	v_addc_co_u32_e32 v5, vcc, v53, v29, vcc
	global_load_dword v19, v[4:5], off
	v_add_co_u32_e32 v4, vcc, v56, v28
	v_addc_co_u32_e32 v5, vcc, v55, v29, vcc
	global_load_dword v11, v[4:5], off
.LBB145_12:                             ;   in Loop: Header=BB145_3 Depth=1
	s_or_b64 exec, exec, s[10:11]
	v_add_co_u32_e32 v4, vcc, 2, v62
	v_addc_co_u32_e32 v5, vcc, 0, v63, vcc
	v_cmp_gt_i64_e32 vcc, s[12:13], v[4:5]
	s_and_b64 s[22:23], s[2:3], vcc
	s_and_saveexec_b64 s[10:11], s[22:23]
	s_cbranch_execz .LBB145_14
; %bb.13:                               ;   in Loop: Header=BB145_3 Depth=1
	v_add_co_u32_e32 v4, vcc, v50, v28
	v_addc_co_u32_e32 v5, vcc, v49, v29, vcc
	global_load_dword v20, v[4:5], off
	v_add_co_u32_e32 v4, vcc, v52, v28
	v_addc_co_u32_e32 v5, vcc, v51, v29, vcc
	global_load_dword v12, v[4:5], off
.LBB145_14:                             ;   in Loop: Header=BB145_3 Depth=1
	;; [unrolled: 15-line block ×7, first 2 shown]
	s_or_b64 exec, exec, s[10:11]
	s_waitcnt vmcnt(0)
	ds_bpermute_b32 v4, v65, v67 offset:4
	ds_bpermute_b32 v5, v65, v67 offset:8
	ds_bpermute_b32 v2, v65, v67
	v_mul_f32_e32 v8, v10, v18
	v_pk_mul_f32 v[10:11], v[10:11], v[18:19]
	v_pk_mul_f32 v[12:13], v[12:13], v[20:21]
	v_mov_b32_e32 v10, v11
	v_mov_b32_e32 v11, v12
	s_waitcnt lgkmcnt(1)
	v_pk_mul_f32 v[4:5], v[10:11], v[4:5]
	ds_bpermute_b32 v10, v65, v67 offset:12
	ds_bpermute_b32 v11, v65, v67 offset:16
	s_waitcnt lgkmcnt(2)
	v_fma_f32 v2, v8, v2, v66
	v_pk_mul_f32 v[8:9], v[14:15], v[22:23]
	v_add_f32_e32 v2, v2, v4
	v_add_f32_e32 v2, v2, v5
	v_mov_b32_e32 v4, v13
	v_mov_b32_e32 v5, v8
	s_waitcnt lgkmcnt(0)
	v_pk_mul_f32 v[4:5], v[4:5], v[10:11]
	ds_bpermute_b32 v10, v65, v67 offset:20
	ds_bpermute_b32 v11, v65, v67 offset:24
	v_pk_mul_f32 v[6:7], v[16:17], v[24:25]
	v_add_f32_e32 v2, v2, v4
	v_add_f32_e32 v7, v2, v5
	ds_bpermute_b32 v2, v65, v67 offset:28
	v_mov_b32_e32 v4, v9
	v_mov_b32_e32 v5, v6
	s_waitcnt lgkmcnt(1)
	v_pk_mul_f32 v[4:5], v[4:5], v[10:11]
	v_add_f32_e32 v4, v7, v4
	v_add_f32_e32 v4, v4, v5
	s_branch .LBB145_40
.LBB145_25:                             ;   in Loop: Header=BB145_3 Depth=1
                                        ; implicit-def: $vgpr4
                                        ; implicit-def: $vgpr10_vgpr11_vgpr12_vgpr13_vgpr14_vgpr15_vgpr16_vgpr17
                                        ; implicit-def: $vgpr18_vgpr19_vgpr20_vgpr21_vgpr22_vgpr23_vgpr24_vgpr25
                                        ; implicit-def: $vgpr2
	s_cbranch_execz .LBB145_40
; %bb.26:                               ;   in Loop: Header=BB145_3 Depth=1
	s_load_dword s10, s[34:35], 0x0
	v_mov_b32_e32 v67, 0
	s_waitcnt lgkmcnt(0)
	s_cmp_lt_u32 s6, s10
	s_cselect_b32 s10, 12, 18
	s_add_u32 s10, s34, s10
	s_addc_u32 s11, s35, 0
	global_load_ushort v2, v3, s[10:11]
	s_waitcnt vmcnt(0)
	v_mad_u32_u24 v2, v64, v2, v61
	v_and_b32_e32 v2, 63, v2
	v_cmp_gt_u32_e32 vcc, 8, v2
	s_and_saveexec_b64 s[10:11], vcc
	s_cbranch_execz .LBB145_30
; %bb.27:                               ;   in Loop: Header=BB145_3 Depth=1
	v_add_co_u32_e32 v4, vcc, v62, v2
	v_addc_co_u32_e32 v5, vcc, 0, v63, vcc
	v_cmp_gt_i64_e32 vcc, s[12:13], v[4:5]
	v_mov_b32_e32 v67, 0
	s_and_saveexec_b64 s[22:23], vcc
	s_cbranch_execz .LBB145_29
; %bb.28:                               ;   in Loop: Header=BB145_3 Depth=1
	v_lshlrev_b64 v[4:5], 2, v[4:5]
	v_mov_b32_e32 v2, s29
	v_add_co_u32_e32 v4, vcc, s28, v4
	v_addc_co_u32_e32 v5, vcc, v2, v5, vcc
	global_load_dword v67, v[4:5], off
.LBB145_29:                             ;   in Loop: Header=BB145_3 Depth=1
	s_or_b64 exec, exec, s[22:23]
.LBB145_30:                             ;   in Loop: Header=BB145_3 Depth=1
	s_or_b64 exec, exec, s[10:11]
	s_mov_b32 s21, s20
	s_mov_b32 s22, s20
	;; [unrolled: 1-line block ×7, first 2 shown]
	v_pk_mov_b32 v[10:11], s[20:21], s[20:21] op_sel:[0,1]
	v_pk_mov_b32 v[16:17], s[26:27], s[26:27] op_sel:[0,1]
	;; [unrolled: 1-line block ×8, first 2 shown]
	s_and_saveexec_b64 s[10:11], s[2:3]
	s_cbranch_execnz .LBB145_42
; %bb.31:                               ;   in Loop: Header=BB145_3 Depth=1
	s_or_b64 exec, exec, s[10:11]
	s_and_saveexec_b64 s[10:11], s[2:3]
	s_cbranch_execnz .LBB145_43
.LBB145_32:                             ;   in Loop: Header=BB145_3 Depth=1
	s_or_b64 exec, exec, s[10:11]
	s_and_saveexec_b64 s[10:11], s[2:3]
	s_cbranch_execnz .LBB145_44
.LBB145_33:                             ;   in Loop: Header=BB145_3 Depth=1
	s_or_b64 exec, exec, s[10:11]
	s_and_saveexec_b64 s[10:11], s[2:3]
	s_cbranch_execnz .LBB145_45
.LBB145_34:                             ;   in Loop: Header=BB145_3 Depth=1
	s_or_b64 exec, exec, s[10:11]
	s_and_saveexec_b64 s[10:11], s[2:3]
	s_cbranch_execnz .LBB145_46
.LBB145_35:                             ;   in Loop: Header=BB145_3 Depth=1
	s_or_b64 exec, exec, s[10:11]
	s_and_saveexec_b64 s[10:11], s[2:3]
	s_cbranch_execnz .LBB145_47
.LBB145_36:                             ;   in Loop: Header=BB145_3 Depth=1
	s_or_b64 exec, exec, s[10:11]
	s_and_saveexec_b64 s[10:11], s[2:3]
	s_cbranch_execnz .LBB145_48
.LBB145_37:                             ;   in Loop: Header=BB145_3 Depth=1
	s_or_b64 exec, exec, s[10:11]
	s_and_saveexec_b64 s[10:11], s[2:3]
	s_cbranch_execz .LBB145_39
.LBB145_38:                             ;   in Loop: Header=BB145_3 Depth=1
	v_add_co_u32_e32 v4, vcc, v30, v28
	v_addc_co_u32_e32 v5, vcc, v27, v29, vcc
	global_load_dword v25, v[4:5], off
	v_add_co_u32_e32 v4, vcc, v32, v28
	v_addc_co_u32_e32 v5, vcc, v31, v29, vcc
	global_load_dword v17, v[4:5], off
.LBB145_39:                             ;   in Loop: Header=BB145_3 Depth=1
	s_or_b64 exec, exec, s[10:11]
	s_waitcnt vmcnt(0)
	ds_bpermute_b32 v4, v65, v67 offset:4
	ds_bpermute_b32 v5, v65, v67 offset:8
	ds_bpermute_b32 v2, v65, v67
	v_mul_f32_e32 v8, v10, v18
	v_pk_mul_f32 v[10:11], v[10:11], v[18:19]
	v_pk_mul_f32 v[12:13], v[12:13], v[20:21]
	v_mov_b32_e32 v10, v11
	v_mov_b32_e32 v11, v12
	s_waitcnt lgkmcnt(1)
	v_pk_mul_f32 v[4:5], v[10:11], v[4:5]
	ds_bpermute_b32 v10, v65, v67 offset:12
	ds_bpermute_b32 v11, v65, v67 offset:16
	s_waitcnt lgkmcnt(2)
	v_fmac_f32_e32 v66, v8, v2
	v_pk_mul_f32 v[8:9], v[14:15], v[22:23]
	v_add_f32_e32 v2, v66, v4
	v_add_f32_e32 v2, v2, v5
	v_mov_b32_e32 v4, v13
	v_mov_b32_e32 v5, v8
	s_waitcnt lgkmcnt(0)
	v_pk_mul_f32 v[4:5], v[4:5], v[10:11]
	ds_bpermute_b32 v10, v65, v67 offset:20
	ds_bpermute_b32 v11, v65, v67 offset:24
	v_pk_mul_f32 v[6:7], v[16:17], v[24:25]
	v_add_f32_e32 v2, v2, v4
	v_add_f32_e32 v7, v2, v5
	v_mov_b32_e32 v4, v9
	v_mov_b32_e32 v5, v6
	s_waitcnt lgkmcnt(0)
	v_pk_mul_f32 v[4:5], v[4:5], v[10:11]
	v_add_f32_e32 v4, v7, v4
	ds_bpermute_b32 v2, v65, v67 offset:28
	v_add_f32_e32 v4, v4, v5
.LBB145_40:                             ;   in Loop: Header=BB145_3 Depth=1
	v_mul_f32_e32 v5, v25, v17
	s_waitcnt lgkmcnt(0)
	v_fmac_f32_e32 v4, v5, v2
	v_mov_b32_e32 v2, s39
	v_add_co_u32_e32 v30, vcc, s38, v30
	v_addc_co_u32_e32 v27, vcc, v27, v2, vcc
	v_add_co_u32_e32 v32, vcc, s38, v32
	v_addc_co_u32_e32 v31, vcc, v31, v2, vcc
	;; [unrolled: 2-line block ×14, first 2 shown]
	v_mov_b32_e32 v5, s33
	v_add_co_u32_e32 v26, vcc, s9, v26
	v_addc_co_u32_e32 v1, vcc, v1, v5, vcc
	v_add_co_u32_e32 v58, vcc, s38, v58
	v_addc_co_u32_e32 v57, vcc, v57, v2, vcc
	s_add_u32 s40, s40, s9
	v_add_co_u32_e32 v60, vcc, s38, v60
	s_addc_u32 s41, s41, 0
	v_addc_co_u32_e32 v59, vcc, v59, v2, vcc
	v_pk_mov_b32 v[6:7], s[12:13], s[12:13] op_sel:[0,1]
	s_add_u32 s36, s36, s9
	v_cmp_lt_i64_e32 vcc, s[40:41], v[6:7]
	s_addc_u32 s37, s37, 0
	s_cbranch_vccz .LBB145_50
; %bb.41:                               ;   in Loop: Header=BB145_3 Depth=1
	v_mov_b32_e32 v66, v4
	s_branch .LBB145_3
.LBB145_42:                             ;   in Loop: Header=BB145_3 Depth=1
	v_add_co_u32_e32 v4, vcc, v58, v28
	v_addc_co_u32_e32 v5, vcc, v57, v29, vcc
	global_load_dword v2, v[4:5], off
	v_add_co_u32_e32 v4, vcc, v60, v28
	v_addc_co_u32_e32 v5, vcc, v59, v29, vcc
	global_load_dword v10, v[4:5], off
	v_mov_b32_e32 v8, v3
	v_mov_b32_e32 v9, v3
	v_mov_b32_e32 v4, v3
	v_mov_b32_e32 v5, v3
	v_mov_b32_e32 v6, v3
	v_mov_b32_e32 v7, v3
	s_waitcnt vmcnt(1)
	v_pk_mov_b32 v[24:25], v[8:9], v[8:9] op_sel:[0,1]
	v_mov_b32_e32 v11, v3
	v_mov_b32_e32 v12, v3
	v_mov_b32_e32 v13, v3
	v_mov_b32_e32 v14, v3
	v_mov_b32_e32 v15, v3
	v_mov_b32_e32 v16, v3
	v_mov_b32_e32 v17, v3
	v_pk_mov_b32 v[22:23], v[6:7], v[6:7] op_sel:[0,1]
	v_pk_mov_b32 v[20:21], v[4:5], v[4:5] op_sel:[0,1]
	;; [unrolled: 1-line block ×3, first 2 shown]
	s_or_b64 exec, exec, s[10:11]
	s_and_saveexec_b64 s[10:11], s[2:3]
	s_cbranch_execz .LBB145_32
.LBB145_43:                             ;   in Loop: Header=BB145_3 Depth=1
	v_add_co_u32_e32 v4, vcc, v54, v28
	v_addc_co_u32_e32 v5, vcc, v53, v29, vcc
	global_load_dword v19, v[4:5], off
	v_add_co_u32_e32 v4, vcc, v56, v28
	v_addc_co_u32_e32 v5, vcc, v55, v29, vcc
	global_load_dword v11, v[4:5], off
	s_or_b64 exec, exec, s[10:11]
	s_and_saveexec_b64 s[10:11], s[2:3]
	s_cbranch_execz .LBB145_33
.LBB145_44:                             ;   in Loop: Header=BB145_3 Depth=1
	v_add_co_u32_e32 v4, vcc, v50, v28
	v_addc_co_u32_e32 v5, vcc, v49, v29, vcc
	global_load_dword v20, v[4:5], off
	v_add_co_u32_e32 v4, vcc, v52, v28
	v_addc_co_u32_e32 v5, vcc, v51, v29, vcc
	global_load_dword v12, v[4:5], off
	s_or_b64 exec, exec, s[10:11]
	s_and_saveexec_b64 s[10:11], s[2:3]
	s_cbranch_execz .LBB145_34
.LBB145_45:                             ;   in Loop: Header=BB145_3 Depth=1
	v_add_co_u32_e32 v4, vcc, v46, v28
	v_addc_co_u32_e32 v5, vcc, v45, v29, vcc
	global_load_dword v21, v[4:5], off
	v_add_co_u32_e32 v4, vcc, v48, v28
	v_addc_co_u32_e32 v5, vcc, v47, v29, vcc
	global_load_dword v13, v[4:5], off
	s_or_b64 exec, exec, s[10:11]
	s_and_saveexec_b64 s[10:11], s[2:3]
	s_cbranch_execz .LBB145_35
.LBB145_46:                             ;   in Loop: Header=BB145_3 Depth=1
	v_add_co_u32_e32 v4, vcc, v42, v28
	v_addc_co_u32_e32 v5, vcc, v41, v29, vcc
	global_load_dword v22, v[4:5], off
	v_add_co_u32_e32 v4, vcc, v44, v28
	v_addc_co_u32_e32 v5, vcc, v43, v29, vcc
	global_load_dword v14, v[4:5], off
	s_or_b64 exec, exec, s[10:11]
	s_and_saveexec_b64 s[10:11], s[2:3]
	s_cbranch_execz .LBB145_36
.LBB145_47:                             ;   in Loop: Header=BB145_3 Depth=1
	v_add_co_u32_e32 v4, vcc, v38, v28
	v_addc_co_u32_e32 v5, vcc, v37, v29, vcc
	global_load_dword v23, v[4:5], off
	v_add_co_u32_e32 v4, vcc, v40, v28
	v_addc_co_u32_e32 v5, vcc, v39, v29, vcc
	global_load_dword v15, v[4:5], off
	s_or_b64 exec, exec, s[10:11]
	s_and_saveexec_b64 s[10:11], s[2:3]
	s_cbranch_execz .LBB145_37
.LBB145_48:                             ;   in Loop: Header=BB145_3 Depth=1
	v_add_co_u32_e32 v4, vcc, v34, v28
	v_addc_co_u32_e32 v5, vcc, v33, v29, vcc
	global_load_dword v24, v[4:5], off
	v_add_co_u32_e32 v4, vcc, v36, v28
	v_addc_co_u32_e32 v5, vcc, v35, v29, vcc
	global_load_dword v16, v[4:5], off
	s_or_b64 exec, exec, s[10:11]
	s_and_saveexec_b64 s[10:11], s[2:3]
	s_cbranch_execnz .LBB145_38
	s_branch .LBB145_39
.LBB145_49:
                                        ; implicit-def: $vgpr4
	s_load_dwordx2 s[2:3], s[4:5], 0x30
	s_branch .LBB145_51
.LBB145_50:
	s_load_dwordx2 s[2:3], s[4:5], 0x30
	s_cbranch_execnz .LBB145_83
.LBB145_51:
	s_and_b64 vcc, exec, s[0:1]
	v_mov_b32_e32 v4, 0
	s_cbranch_vccnz .LBB145_83
; %bb.52:
	v_bfe_u32 v87, v0, 10, 10
	s_add_u32 s10, s4, 64
	s_addc_u32 s11, s5, 0
	v_lshlrev_b32_e32 v1, 5, v87
	s_lshl_b64 s[0:1], s[30:31], 2
	v_mov_b32_e32 v2, s1
	v_add_co_u32_e32 v1, vcc, s0, v1
	v_addc_co_u32_e32 v4, vcc, 0, v2, vcc
	v_add_co_u32_e32 v6, vcc, 4, v1
	v_addc_co_u32_e32 v5, vcc, 0, v4, vcc
	v_add_co_u32_e32 v9, vcc, 8, v1
	v_mul_lo_u32 v7, s14, v5
	v_addc_co_u32_e32 v5, vcc, 0, v4, vcc
	v_add_co_u32_e32 v12, vcc, 12, v1
	v_mul_lo_u32 v10, s14, v5
	;; [unrolled: 3-line block ×5, first 2 shown]
	v_addc_co_u32_e32 v5, vcc, 0, v4, vcc
	v_add_co_u32_e32 v24, vcc, 28, v1
	v_lshlrev_b32_e32 v26, 3, v87
	v_addc_co_u32_e32 v1, vcc, 0, v4, vcc
	v_mul_lo_u32 v25, s14, v1
	v_mov_b32_e32 v1, s31
	v_add_co_u32_e32 v43, vcc, s30, v26
	v_pk_mov_b32 v[2:3], s[16:17], s[16:17] op_sel:[0,1]
	v_addc_co_u32_e32 v59, vcc, 0, v1, vcc
	v_mad_u64_u32 v[28:29], s[0:1], s14, v6, v[2:3]
	v_mad_u64_u32 v[30:31], s[0:1], s14, v9, v[2:3]
	;; [unrolled: 1-line block ×7, first 2 shown]
	v_mul_lo_u32 v60, s15, v43
	v_mul_lo_u32 v61, s14, v59
	v_mad_u64_u32 v[2:3], s[0:1], s14, v43, 0
	v_add3_u32 v3, v3, v61, v60
	v_lshlrev_b64 v[2:3], 2, v[2:3]
	v_mul_lo_u32 v22, s14, v5
	v_mov_b32_e32 v81, s17
	v_add_co_u32_e32 v42, vcc, s16, v2
	v_pk_mov_b32 v[4:5], s[18:19], s[18:19] op_sel:[0,1]
	v_mul_lo_u32 v17, s15, v15
	v_addc_co_u32_e32 v1, vcc, v81, v3, vcc
	v_mad_u64_u32 v[50:51], s[0:1], s14, v15, v[4:5]
	v_add3_u32 v35, v17, v35, v16
	v_mul_lo_u32 v27, s15, v24
	v_add3_u32 v51, v17, v51, v16
	v_mad_u64_u32 v[56:57], s[0:1], s14, v24, v[4:5]
	v_mov_b32_e32 v16, s19
	v_add_co_u32_e32 v58, vcc, s18, v2
	v_add3_u32 v41, v27, v41, v25
	v_add3_u32 v57, v27, v57, v25
	v_addc_co_u32_e32 v27, vcc, v16, v3, vcc
	v_add_co_u32_e32 v2, vcc, 7, v43
	v_addc_co_u32_e32 v3, vcc, 0, v59, vcc
	v_mad_u64_u32 v[44:45], s[0:1], s14, v6, v[4:5]
	v_mad_u64_u32 v[46:47], s[0:1], s14, v9, v[4:5]
	;; [unrolled: 1-line block ×5, first 2 shown]
	v_mul_lo_u32 v4, s15, v2
	v_mul_lo_u32 v5, s14, v3
	v_mad_u64_u32 v[2:3], s[0:1], s14, v2, 0
	v_add3_u32 v3, v3, v5, v4
	v_add_co_u32_e32 v4, vcc, 6, v43
	v_mul_lo_u32 v8, s15, v6
	v_addc_co_u32_e32 v5, vcc, 0, v59, vcc
	v_add3_u32 v29, v8, v29, v7
	v_add3_u32 v45, v8, v45, v7
	v_mul_lo_u32 v6, s15, v4
	v_mul_lo_u32 v7, s14, v5
	v_mad_u64_u32 v[4:5], s[0:1], s14, v4, 0
	v_add3_u32 v5, v5, v7, v6
	v_add_co_u32_e32 v6, vcc, 5, v43
	v_addc_co_u32_e32 v7, vcc, 0, v59, vcc
	v_mul_lo_u32 v11, s15, v9
	v_mul_lo_u32 v8, s15, v6
	;; [unrolled: 1-line block ×3, first 2 shown]
	v_mad_u64_u32 v[6:7], s[0:1], s14, v6, 0
	v_add3_u32 v7, v7, v9, v8
	v_add_co_u32_e32 v8, vcc, 4, v43
	v_addc_co_u32_e32 v9, vcc, 0, v59, vcc
	v_add3_u32 v31, v11, v31, v10
	v_add3_u32 v47, v11, v47, v10
	v_mul_lo_u32 v10, s15, v8
	v_mul_lo_u32 v11, s14, v9
	v_mad_u64_u32 v[8:9], s[0:1], s14, v8, 0
	v_add3_u32 v9, v9, v11, v10
	v_add_co_u32_e32 v10, vcc, 3, v43
	v_mul_lo_u32 v14, s15, v12
	v_addc_co_u32_e32 v11, vcc, 0, v59, vcc
	v_add3_u32 v33, v14, v33, v13
	v_add3_u32 v49, v14, v49, v13
	v_mul_lo_u32 v12, s15, v10
	v_mul_lo_u32 v13, s14, v11
	v_mad_u64_u32 v[10:11], s[0:1], s14, v10, 0
	v_add3_u32 v11, v11, v13, v12
	v_add_co_u32_e32 v12, vcc, 2, v43
	v_addc_co_u32_e32 v13, vcc, 0, v59, vcc
	v_mul_lo_u32 v14, s15, v12
	v_mul_lo_u32 v15, s14, v13
	v_mad_u64_u32 v[12:13], s[0:1], s14, v12, 0
	v_add3_u32 v13, v13, v15, v14
	v_pk_mov_b32 v[14:15], s[14:15], s[14:15] op_sel:[0,1]
	v_lshlrev_b64 v[2:3], 2, v[2:3]
	v_mad_u64_u32 v[14:15], s[0:1], s14, v43, v[14:15]
	v_add3_u32 v15, v60, v15, v61
	v_add_co_u32_e32 v60, vcc, s16, v2
	v_addc_co_u32_e32 v43, vcc, v81, v3, vcc
	v_add_co_u32_e32 v62, vcc, s18, v2
	v_addc_co_u32_e32 v59, vcc, v16, v3, vcc
	v_lshlrev_b64 v[2:3], 2, v[4:5]
	v_add_co_u32_e32 v64, vcc, s16, v2
	v_addc_co_u32_e32 v61, vcc, v81, v3, vcc
	v_add_co_u32_e32 v66, vcc, s18, v2
	v_addc_co_u32_e32 v63, vcc, v16, v3, vcc
	v_lshlrev_b64 v[2:3], 2, v[6:7]
	;; [unrolled: 5-line block ×5, first 2 shown]
	v_add_co_u32_e32 v80, vcc, s16, v2
	v_addc_co_u32_e32 v77, vcc, v81, v3, vcc
	s_load_dword s0, s[4:5], 0x44
	v_add_co_u32_e32 v82, vcc, s18, v2
	v_addc_co_u32_e32 v79, vcc, v16, v3, vcc
	v_lshlrev_b64 v[2:3], 2, v[14:15]
	v_add_co_u32_e32 v84, vcc, s16, v2
	v_addc_co_u32_e32 v81, vcc, v81, v3, vcc
	v_and_b32_e32 v92, 0x3ff, v0
	v_add_co_u32_e32 v86, vcc, s18, v2
	v_add_u32_e32 v2, s7, v92
	s_waitcnt lgkmcnt(0)
	s_lshl_b32 s7, s0, 3
	v_mbcnt_lo_u32_b32 v4, -1, 0
	s_mul_i32 s0, s15, s7
	s_mul_hi_u32 s1, s14, s7
	v_mbcnt_hi_u32_b32 v4, -1, v4
	v_mul_lo_u32 v20, s15, v18
	v_mul_lo_u32 v23, s15, v21
	v_addc_co_u32_e32 v83, vcc, v16, v3, vcc
	s_mov_b32 s16, 0
	v_mov_b32_e32 v3, 0
	s_add_i32 s1, s1, s0
	s_mul_i32 s0, s14, s7
	v_lshlrev_b32_e32 v4, 2, v4
	v_add3_u32 v37, v20, v37, v19
	v_add3_u32 v39, v23, v39, v22
	;; [unrolled: 1-line block ×4, first 2 shown]
	s_mov_b32 s9, s16
	s_lshl_b64 s[24:25], s[0:1], 2
	s_mov_b64 s[26:27], 7
	v_and_b32_e32 v93, 0x100, v4
	s_mov_b64 s[34:35], s[30:31]
	v_mov_b32_e32 v94, 0
	v_mov_b32_e32 v85, v3
	v_lshlrev_b64 v[88:89], 2, v[2:3]
.LBB145_53:                             ; =>This Inner Loop Header: Depth=1
	s_add_u32 s0, s30, s26
	s_addc_u32 s1, 0, s27
	v_pk_mov_b32 v[4:5], s[12:13], s[12:13] op_sel:[0,1]
	v_cmp_ge_i64_e32 vcc, s[0:1], v[4:5]
	v_mov_b32_e32 v2, s31
	v_add_co_u32_e64 v90, s[0:1], s30, v26
	v_addc_co_u32_e64 v91, s[0:1], v2, v85, s[0:1]
	s_cbranch_vccz .LBB145_75
; %bb.54:                               ;   in Loop: Header=BB145_53 Depth=1
	s_load_dword s0, s[10:11], 0xc
	v_mov_b32_e32 v95, 0
	s_waitcnt lgkmcnt(0)
	s_and_b32 s0, s0, 0xffff
	v_mad_u32_u24 v2, v87, s0, v92
	v_and_b32_e32 v2, 63, v2
	v_cmp_gt_u32_e32 vcc, 8, v2
	s_and_saveexec_b64 s[0:1], vcc
	s_cbranch_execz .LBB145_58
; %bb.55:                               ;   in Loop: Header=BB145_53 Depth=1
	v_add_co_u32_e32 v4, vcc, v90, v2
	v_addc_co_u32_e32 v5, vcc, 0, v91, vcc
	v_cmp_gt_i64_e32 vcc, s[12:13], v[4:5]
	v_mov_b32_e32 v95, 0
	s_and_saveexec_b64 s[18:19], vcc
	s_cbranch_execz .LBB145_57
; %bb.56:                               ;   in Loop: Header=BB145_53 Depth=1
	v_lshlrev_b64 v[4:5], 2, v[4:5]
	v_mov_b32_e32 v2, s29
	v_add_co_u32_e32 v4, vcc, s28, v4
	v_addc_co_u32_e32 v5, vcc, v2, v5, vcc
	global_load_dword v95, v[4:5], off
.LBB145_57:                             ;   in Loop: Header=BB145_53 Depth=1
	s_or_b64 exec, exec, s[18:19]
.LBB145_58:                             ;   in Loop: Header=BB145_53 Depth=1
	s_or_b64 exec, exec, s[0:1]
	s_mov_b32 s17, s16
	s_mov_b32 s18, s16
	;; [unrolled: 1-line block ×7, first 2 shown]
	v_pk_mov_b32 v[10:11], s[16:17], s[16:17] op_sel:[0,1]
	v_pk_mov_b32 v[16:17], s[22:23], s[22:23] op_sel:[0,1]
	;; [unrolled: 1-line block ×5, first 2 shown]
	v_cmp_gt_i64_e32 vcc, s[12:13], v[90:91]
	v_pk_mov_b32 v[22:23], v[14:15], v[14:15] op_sel:[0,1]
	v_pk_mov_b32 v[20:21], v[12:13], v[12:13] op_sel:[0,1]
	;; [unrolled: 1-line block ×3, first 2 shown]
	s_and_saveexec_b64 s[0:1], vcc
	s_cbranch_execz .LBB145_60
; %bb.59:                               ;   in Loop: Header=BB145_53 Depth=1
	v_add_co_u32_e32 v4, vcc, v42, v88
	v_addc_co_u32_e32 v5, vcc, v1, v89, vcc
	global_load_dword v2, v[4:5], off
	v_add_co_u32_e32 v4, vcc, v58, v88
	v_addc_co_u32_e32 v5, vcc, v27, v89, vcc
	global_load_dword v10, v[4:5], off
	v_mov_b32_e32 v8, v3
	v_mov_b32_e32 v9, v3
	;; [unrolled: 1-line block ×6, first 2 shown]
	s_waitcnt vmcnt(1)
	v_pk_mov_b32 v[24:25], v[8:9], v[8:9] op_sel:[0,1]
	v_mov_b32_e32 v11, v3
	v_mov_b32_e32 v12, v3
	;; [unrolled: 1-line block ×7, first 2 shown]
	v_pk_mov_b32 v[22:23], v[6:7], v[6:7] op_sel:[0,1]
	v_pk_mov_b32 v[20:21], v[4:5], v[4:5] op_sel:[0,1]
	;; [unrolled: 1-line block ×3, first 2 shown]
.LBB145_60:                             ;   in Loop: Header=BB145_53 Depth=1
	s_or_b64 exec, exec, s[0:1]
	v_add_co_u32_e32 v4, vcc, 1, v90
	v_addc_co_u32_e32 v5, vcc, 0, v91, vcc
	v_cmp_gt_i64_e32 vcc, s[12:13], v[4:5]
	s_and_saveexec_b64 s[0:1], vcc
	s_cbranch_execz .LBB145_62
; %bb.61:                               ;   in Loop: Header=BB145_53 Depth=1
	v_add_co_u32_e32 v4, vcc, v84, v88
	v_addc_co_u32_e32 v5, vcc, v81, v89, vcc
	global_load_dword v19, v[4:5], off
	v_add_co_u32_e32 v4, vcc, v86, v88
	v_addc_co_u32_e32 v5, vcc, v83, v89, vcc
	global_load_dword v11, v[4:5], off
.LBB145_62:                             ;   in Loop: Header=BB145_53 Depth=1
	s_or_b64 exec, exec, s[0:1]
	v_add_co_u32_e32 v4, vcc, 2, v90
	v_addc_co_u32_e32 v5, vcc, 0, v91, vcc
	v_cmp_gt_i64_e32 vcc, s[12:13], v[4:5]
	s_and_saveexec_b64 s[0:1], vcc
	s_cbranch_execz .LBB145_64
; %bb.63:                               ;   in Loop: Header=BB145_53 Depth=1
	v_add_co_u32_e32 v4, vcc, v80, v88
	v_addc_co_u32_e32 v5, vcc, v77, v89, vcc
	global_load_dword v20, v[4:5], off
	v_add_co_u32_e32 v4, vcc, v82, v88
	v_addc_co_u32_e32 v5, vcc, v79, v89, vcc
	global_load_dword v12, v[4:5], off
.LBB145_64:                             ;   in Loop: Header=BB145_53 Depth=1
	;; [unrolled: 14-line block ×7, first 2 shown]
	s_or_b64 exec, exec, s[0:1]
	s_waitcnt vmcnt(0)
	ds_bpermute_b32 v4, v93, v95
	ds_bpermute_b32 v5, v93, v95 offset:4
	v_pk_mul_f32 v[8:9], v[14:15], v[22:23]
	ds_bpermute_b32 v14, v93, v95 offset:8
	ds_bpermute_b32 v15, v93, v95 offset:12
	v_pk_mul_f32 v[10:11], v[10:11], v[18:19]
	s_waitcnt lgkmcnt(2)
	v_pk_mul_f32 v[4:5], v[10:11], v[4:5]
	ds_bpermute_b32 v10, v93, v95 offset:16
	ds_bpermute_b32 v11, v93, v95 offset:20
	v_pk_mul_f32 v[12:13], v[12:13], v[20:21]
	v_add_f32_e32 v2, v94, v4
	v_add_f32_e32 v2, v2, v5
	s_waitcnt lgkmcnt(2)
	v_pk_mul_f32 v[4:5], v[12:13], v[14:15]
	ds_bpermute_b32 v12, v93, v95 offset:24
	ds_bpermute_b32 v13, v93, v95 offset:28
	v_add_f32_e32 v2, v2, v4
	v_add_f32_e32 v2, v2, v5
	s_waitcnt lgkmcnt(2)
	v_pk_mul_f32 v[4:5], v[8:9], v[10:11]
	v_pk_mul_f32 v[6:7], v[16:17], v[24:25]
	v_add_f32_e32 v2, v2, v4
	v_add_f32_e32 v2, v2, v5
	s_waitcnt lgkmcnt(0)
	v_pk_mul_f32 v[4:5], v[6:7], v[12:13]
	v_add_f32_e32 v2, v2, v4
	v_add_f32_e32 v4, v2, v5
	s_branch .LBB145_81
.LBB145_75:                             ;   in Loop: Header=BB145_53 Depth=1
                                        ; implicit-def: $vgpr4
	s_cbranch_execz .LBB145_81
; %bb.76:                               ;   in Loop: Header=BB145_53 Depth=1
	s_load_dword s0, s[10:11], 0x0
	s_waitcnt lgkmcnt(0)
	s_cmp_lt_u32 s6, s0
	s_cselect_b32 s0, 12, 18
	s_add_u32 s0, s10, s0
	s_addc_u32 s1, s11, 0
	global_load_ushort v2, v3, s[0:1]
	s_waitcnt vmcnt(0)
	v_mad_u32_u24 v2, v87, v2, v92
	v_and_b32_e32 v4, 63, v2
	v_cmp_gt_u32_e32 vcc, 8, v4
	v_mov_b32_e32 v2, 0
	s_and_saveexec_b64 s[0:1], vcc
	s_cbranch_execz .LBB145_80
; %bb.77:                               ;   in Loop: Header=BB145_53 Depth=1
	v_add_co_u32_e32 v4, vcc, v90, v4
	v_addc_co_u32_e32 v5, vcc, 0, v91, vcc
	v_cmp_gt_i64_e32 vcc, s[12:13], v[4:5]
	v_mov_b32_e32 v2, 0
	s_and_saveexec_b64 s[18:19], vcc
	s_cbranch_execz .LBB145_79
; %bb.78:                               ;   in Loop: Header=BB145_53 Depth=1
	v_lshlrev_b64 v[4:5], 2, v[4:5]
	v_mov_b32_e32 v2, s29
	v_add_co_u32_e32 v4, vcc, s28, v4
	v_addc_co_u32_e32 v5, vcc, v2, v5, vcc
	global_load_dword v2, v[4:5], off
.LBB145_79:                             ;   in Loop: Header=BB145_53 Depth=1
	s_or_b64 exec, exec, s[18:19]
.LBB145_80:                             ;   in Loop: Header=BB145_53 Depth=1
	s_or_b64 exec, exec, s[0:1]
	v_add_co_u32_e32 v4, vcc, v42, v88
	v_addc_co_u32_e32 v5, vcc, v1, v89, vcc
	v_add_co_u32_e32 v6, vcc, v58, v88
	v_addc_co_u32_e32 v7, vcc, v27, v89, vcc
	;; [unrolled: 2-line block ×3, first 2 shown]
	global_load_dword v4, v[4:5], off
	s_nop 0
	global_load_dword v5, v[8:9], off
	v_add_co_u32_e32 v8, vcc, v44, v88
	v_addc_co_u32_e32 v9, vcc, v45, v89, vcc
	global_load_dword v6, v[6:7], off
	s_nop 0
	global_load_dword v7, v[8:9], off
	v_add_co_u32_e32 v8, vcc, v30, v88
	v_addc_co_u32_e32 v9, vcc, v31, v89, vcc
	v_add_co_u32_e32 v10, vcc, v46, v88
	v_addc_co_u32_e32 v11, vcc, v47, v89, vcc
	;; [unrolled: 2-line block ×3, first 2 shown]
	global_load_dword v8, v[8:9], off
	s_waitcnt vmcnt(1)
	v_pk_mul_f32 v[4:5], v[4:5], v[6:7]
	global_load_dword v9, v[12:13], off
	v_add_co_u32_e32 v12, vcc, v48, v88
	v_addc_co_u32_e32 v13, vcc, v49, v89, vcc
	global_load_dword v10, v[10:11], off
	ds_bpermute_b32 v6, v93, v2 offset:8
	global_load_dword v11, v[12:13], off
	v_add_co_u32_e32 v12, vcc, v34, v88
	v_addc_co_u32_e32 v13, vcc, v35, v89, vcc
	v_add_co_u32_e32 v14, vcc, v50, v88
	v_addc_co_u32_e32 v15, vcc, v51, v89, vcc
	;; [unrolled: 2-line block ×3, first 2 shown]
	global_load_dword v12, v[12:13], off
	ds_bpermute_b32 v7, v93, v2 offset:12
	global_load_dword v13, v[16:17], off
	v_add_co_u32_e32 v16, vcc, v52, v88
	v_addc_co_u32_e32 v17, vcc, v53, v89, vcc
	global_load_dword v14, v[14:15], off
	s_nop 0
	global_load_dword v15, v[16:17], off
	v_add_co_u32_e32 v16, vcc, v38, v88
	v_addc_co_u32_e32 v17, vcc, v39, v89, vcc
	v_add_co_u32_e32 v18, vcc, v54, v88
	v_addc_co_u32_e32 v19, vcc, v55, v89, vcc
	;; [unrolled: 2-line block ×3, first 2 shown]
	global_load_dword v16, v[16:17], off
	s_nop 0
	global_load_dword v17, v[20:21], off
	v_add_co_u32_e32 v20, vcc, v56, v88
	v_addc_co_u32_e32 v21, vcc, v57, v89, vcc
	global_load_dword v18, v[18:19], off
	s_nop 0
	global_load_dword v19, v[20:21], off
	ds_bpermute_b32 v20, v93, v2
	ds_bpermute_b32 v21, v93, v2 offset:4
	s_waitcnt lgkmcnt(0)
	v_pk_mul_f32 v[4:5], v[4:5], v[20:21]
	v_add_f32_e32 v4, v94, v4
	v_add_f32_e32 v20, v4, v5
	s_waitcnt vmcnt(8)
	v_pk_mul_f32 v[4:5], v[8:9], v[10:11]
	v_pk_mul_f32 v[4:5], v[4:5], v[6:7]
	ds_bpermute_b32 v6, v93, v2 offset:16
	ds_bpermute_b32 v7, v93, v2 offset:20
	v_add_f32_e32 v4, v20, v4
	ds_bpermute_b32 v8, v93, v2 offset:24
	ds_bpermute_b32 v9, v93, v2 offset:28
	v_add_f32_e32 v10, v4, v5
	s_waitcnt vmcnt(4)
	v_pk_mul_f32 v[4:5], v[12:13], v[14:15]
	s_waitcnt lgkmcnt(2)
	v_pk_mul_f32 v[4:5], v[4:5], v[6:7]
	v_add_f32_e32 v2, v10, v4
	v_add_f32_e32 v2, v2, v5
	s_waitcnt vmcnt(0)
	v_pk_mul_f32 v[4:5], v[16:17], v[18:19]
	s_waitcnt lgkmcnt(0)
	v_pk_mul_f32 v[4:5], v[4:5], v[8:9]
	v_add_f32_e32 v2, v2, v4
	v_add_f32_e32 v4, v2, v5
.LBB145_81:                             ;   in Loop: Header=BB145_53 Depth=1
	v_mov_b32_e32 v2, s9
	v_add_co_u32_e64 v26, s[0:1], s7, v26
	v_addc_co_u32_e64 v85, s[0:1], v85, v2, s[0:1]
	v_mov_b32_e32 v2, s25
	v_add_co_u32_e64 v28, s[0:1], s24, v28
	v_addc_co_u32_e64 v29, s[0:1], v29, v2, s[0:1]
	v_add_co_u32_e64 v30, s[0:1], s24, v30
	v_addc_co_u32_e64 v31, s[0:1], v31, v2, s[0:1]
	;; [unrolled: 2-line block ×28, first 2 shown]
	s_add_u32 s34, s34, s7
	v_add_co_u32_e64 v84, s[0:1], s24, v84
	s_addc_u32 s35, s35, 0
	v_pk_mov_b32 v[6:7], s[12:13], s[12:13] op_sel:[0,1]
	v_addc_co_u32_e64 v81, s[0:1], v81, v2, s[0:1]
	v_cmp_ge_i64_e32 vcc, s[34:35], v[6:7]
	v_add_co_u32_e64 v86, s[0:1], s24, v86
	s_add_u32 s26, s26, s7
	v_addc_co_u32_e64 v83, s[0:1], v83, v2, s[0:1]
	s_addc_u32 s27, s27, 0
	s_cbranch_vccnz .LBB145_83
; %bb.82:                               ;   in Loop: Header=BB145_53 Depth=1
	v_mov_b32_e32 v94, v4
	s_branch .LBB145_53
.LBB145_83:
	s_mov_b32 s7, 0
	s_lshl_b64 s[0:1], s[6:7], 6
	v_and_b32_e32 v1, 0x3ff, v0
	v_or_b32_e32 v2, s0, v1
	v_mov_b32_e32 v3, s1
	s_waitcnt lgkmcnt(0)
	s_cmp_lg_u64 s[2:3], 0
	v_cmp_gt_i64_e32 vcc, s[14:15], v[2:3]
	s_cselect_b64 s[0:1], -1, 0
	s_and_b64 s[0:1], vcc, s[0:1]
	s_and_saveexec_b64 s[6:7], s[0:1]
	s_cbranch_execz .LBB145_85
; %bb.84:
	s_load_dword s0, s[4:5], 0x4c
	v_bfe_u32 v0, v0, 10, 10
	v_mov_b32_e32 v1, 0
	v_mov_b32_e32 v5, s8
	s_waitcnt lgkmcnt(0)
	s_lshr_b32 s0, s0, 16
	v_mad_u64_u32 v[0:1], s[0:1], s0, v5, v[0:1]
	v_mul_lo_u32 v5, v1, s14
	v_mul_lo_u32 v6, v0, s15
	v_mad_u64_u32 v[0:1], s[0:1], v0, s14, 0
	v_add3_u32 v1, v1, v6, v5
	v_lshlrev_b64 v[0:1], 2, v[0:1]
	v_mov_b32_e32 v5, s3
	v_add_co_u32_e32 v6, vcc, s2, v0
	v_addc_co_u32_e32 v5, vcc, v5, v1, vcc
	v_lshlrev_b64 v[0:1], 2, v[2:3]
	v_add_co_u32_e32 v0, vcc, v6, v0
	v_addc_co_u32_e32 v1, vcc, v5, v1, vcc
	global_store_dword v[0:1], v4, off
.LBB145_85:
	s_endpgm
	.section	.rodata,"a",@progbits
	.p2align	6, 0x0
	.amdhsa_kernel _ZN2at6native12_GLOBAL__N_135GammaBetaBackwardCUDAKernelTemplateIffLj64ELj1ELj8ELb1ELb0ELb1EEEvllPKT_S5_PKT0_S8_PS3_S9_
		.amdhsa_group_segment_fixed_size 0
		.amdhsa_private_segment_fixed_size 0
		.amdhsa_kernarg_size 320
		.amdhsa_user_sgpr_count 6
		.amdhsa_user_sgpr_private_segment_buffer 1
		.amdhsa_user_sgpr_dispatch_ptr 0
		.amdhsa_user_sgpr_queue_ptr 0
		.amdhsa_user_sgpr_kernarg_segment_ptr 1
		.amdhsa_user_sgpr_dispatch_id 0
		.amdhsa_user_sgpr_flat_scratch_init 0
		.amdhsa_user_sgpr_kernarg_preload_length 0
		.amdhsa_user_sgpr_kernarg_preload_offset 0
		.amdhsa_user_sgpr_private_segment_size 0
		.amdhsa_uses_dynamic_stack 0
		.amdhsa_system_sgpr_private_segment_wavefront_offset 0
		.amdhsa_system_sgpr_workgroup_id_x 1
		.amdhsa_system_sgpr_workgroup_id_y 1
		.amdhsa_system_sgpr_workgroup_id_z 0
		.amdhsa_system_sgpr_workgroup_info 0
		.amdhsa_system_vgpr_workitem_id 1
		.amdhsa_next_free_vgpr 96
		.amdhsa_next_free_sgpr 44
		.amdhsa_accum_offset 96
		.amdhsa_reserve_vcc 1
		.amdhsa_reserve_flat_scratch 0
		.amdhsa_float_round_mode_32 0
		.amdhsa_float_round_mode_16_64 0
		.amdhsa_float_denorm_mode_32 3
		.amdhsa_float_denorm_mode_16_64 3
		.amdhsa_dx10_clamp 1
		.amdhsa_ieee_mode 1
		.amdhsa_fp16_overflow 0
		.amdhsa_tg_split 0
		.amdhsa_exception_fp_ieee_invalid_op 0
		.amdhsa_exception_fp_denorm_src 0
		.amdhsa_exception_fp_ieee_div_zero 0
		.amdhsa_exception_fp_ieee_overflow 0
		.amdhsa_exception_fp_ieee_underflow 0
		.amdhsa_exception_fp_ieee_inexact 0
		.amdhsa_exception_int_div_zero 0
	.end_amdhsa_kernel
	.section	.text._ZN2at6native12_GLOBAL__N_135GammaBetaBackwardCUDAKernelTemplateIffLj64ELj1ELj8ELb1ELb0ELb1EEEvllPKT_S5_PKT0_S8_PS3_S9_,"axG",@progbits,_ZN2at6native12_GLOBAL__N_135GammaBetaBackwardCUDAKernelTemplateIffLj64ELj1ELj8ELb1ELb0ELb1EEEvllPKT_S5_PKT0_S8_PS3_S9_,comdat
.Lfunc_end145:
	.size	_ZN2at6native12_GLOBAL__N_135GammaBetaBackwardCUDAKernelTemplateIffLj64ELj1ELj8ELb1ELb0ELb1EEEvllPKT_S5_PKT0_S8_PS3_S9_, .Lfunc_end145-_ZN2at6native12_GLOBAL__N_135GammaBetaBackwardCUDAKernelTemplateIffLj64ELj1ELj8ELb1ELb0ELb1EEEvllPKT_S5_PKT0_S8_PS3_S9_
                                        ; -- End function
	.section	.AMDGPU.csdata,"",@progbits
; Kernel info:
; codeLenInByte = 6272
; NumSgprs: 48
; NumVgprs: 96
; NumAgprs: 0
; TotalNumVgprs: 96
; ScratchSize: 0
; MemoryBound: 0
; FloatMode: 240
; IeeeMode: 1
; LDSByteSize: 0 bytes/workgroup (compile time only)
; SGPRBlocks: 5
; VGPRBlocks: 11
; NumSGPRsForWavesPerEU: 48
; NumVGPRsForWavesPerEU: 96
; AccumOffset: 96
; Occupancy: 5
; WaveLimiterHint : 0
; COMPUTE_PGM_RSRC2:SCRATCH_EN: 0
; COMPUTE_PGM_RSRC2:USER_SGPR: 6
; COMPUTE_PGM_RSRC2:TRAP_HANDLER: 0
; COMPUTE_PGM_RSRC2:TGID_X_EN: 1
; COMPUTE_PGM_RSRC2:TGID_Y_EN: 1
; COMPUTE_PGM_RSRC2:TGID_Z_EN: 0
; COMPUTE_PGM_RSRC2:TIDIG_COMP_CNT: 1
; COMPUTE_PGM_RSRC3_GFX90A:ACCUM_OFFSET: 23
; COMPUTE_PGM_RSRC3_GFX90A:TG_SPLIT: 0
	.section	.text._ZN2at6native12_GLOBAL__N_135GammaBetaBackwardCUDAKernelTemplateIffLj64ELj8ELj64ELb0ELb1ELb1EEEvllPKT_S5_PKT0_S8_PS3_S9_,"axG",@progbits,_ZN2at6native12_GLOBAL__N_135GammaBetaBackwardCUDAKernelTemplateIffLj64ELj8ELj64ELb0ELb1ELb1EEEvllPKT_S5_PKT0_S8_PS3_S9_,comdat
	.globl	_ZN2at6native12_GLOBAL__N_135GammaBetaBackwardCUDAKernelTemplateIffLj64ELj8ELj64ELb0ELb1ELb1EEEvllPKT_S5_PKT0_S8_PS3_S9_ ; -- Begin function _ZN2at6native12_GLOBAL__N_135GammaBetaBackwardCUDAKernelTemplateIffLj64ELj8ELj64ELb0ELb1ELb1EEEvllPKT_S5_PKT0_S8_PS3_S9_
	.p2align	8
	.type	_ZN2at6native12_GLOBAL__N_135GammaBetaBackwardCUDAKernelTemplateIffLj64ELj8ELj64ELb0ELb1ELb1EEEvllPKT_S5_PKT0_S8_PS3_S9_,@function
_ZN2at6native12_GLOBAL__N_135GammaBetaBackwardCUDAKernelTemplateIffLj64ELj8ELj64ELb0ELb1ELb1EEEvllPKT_S5_PKT0_S8_PS3_S9_: ; @_ZN2at6native12_GLOBAL__N_135GammaBetaBackwardCUDAKernelTemplateIffLj64ELj8ELj64ELb0ELb1ELb1EEEvllPKT_S5_PKT0_S8_PS3_S9_
; %bb.0:
	s_load_dwordx4 s[8:11], s[4:5], 0x0
	s_lshl_b32 s16, s7, 6
	s_mov_b32 s17, 0
	v_bfe_u32 v11, v0, 10, 10
	s_waitcnt lgkmcnt(0)
	v_pk_mov_b32 v[2:3], s[8:9], s[8:9] op_sel:[0,1]
	v_cmp_lt_i64_e32 vcc, s[16:17], v[2:3]
	s_cbranch_vccnz .LBB146_2
; %bb.1:
	s_mov_b64 s[0:1], 0
	v_bfe_u32 v4, v0, 10, 10
	s_branch .LBB146_3
.LBB146_2:
	s_mov_b64 s[0:1], -1
                                        ; implicit-def: $vgpr4
.LBB146_3:
	s_load_dwordx2 s[2:3], s[4:5], 0x30
	v_and_b32_e32 v6, 0x3ff, v0
	s_andn2_b64 vcc, exec, s[0:1]
	v_mov_b32_e32 v1, s17
	v_mbcnt_lo_u32_b32 v10, -1, 0
	s_cbranch_vccnz .LBB146_11
; %bb.4:
	s_load_dword s0, s[4:5], 0x4c
	s_load_dword s7, s[4:5], 0x44
	s_load_dwordx4 s[12:15], s[4:5], 0x10
	s_load_dwordx2 s[18:19], s[4:5], 0x28
	v_mbcnt_hi_u32_b32 v4, -1, v10
	v_lshlrev_b32_e32 v2, 3, v11
	s_waitcnt lgkmcnt(0)
	s_and_b32 s0, s0, 0xffff
	v_lshlrev_b32_e32 v4, 2, v4
	v_mad_u32_u24 v0, v11, s0, v6
	v_and_b32_e32 v12, 0x100, v4
	v_mov_b32_e32 v4, s17
	v_add_co_u32_e32 v7, vcc, s16, v2
	v_and_b32_e32 v3, 63, v0
	v_addc_co_u32_e32 v8, vcc, 0, v4, vcc
	v_add_co_u32_e32 v2, vcc, v7, v3
	v_cmp_gt_u32_e64 s[0:1], 8, v3
	v_addc_co_u32_e32 v3, vcc, 0, v8, vcc
	v_lshlrev_b64 v[4:5], 2, v[2:3]
	v_mov_b32_e32 v9, s19
	v_add_co_u32_e32 v4, vcc, s18, v4
	s_lshl_b32 s4, s7, 6
	v_addc_co_u32_e32 v5, vcc, v9, v5, vcc
	v_mul_lo_u32 v20, s11, v7
	v_mul_lo_u32 v21, s10, v8
	v_mad_u64_u32 v[8:9], s[20:21], s10, v7, 0
	v_mov_b32_e32 v1, 0
	v_lshl_add_u32 v0, s6, 6, v6
	v_add3_u32 v9, v9, v21, v20
	s_mul_i32 s7, s11, s4
	s_mul_hi_u32 s20, s10, s4
	s_mov_b32 s5, 0
	v_lshlrev_b64 v[8:9], 2, v[8:9]
	v_lshlrev_b64 v[20:21], 2, v[0:1]
	s_add_i32 s21, s20, s7
	s_mul_i32 s20, s10, s4
	s_lshl_b64 s[18:19], s[4:5], 2
	v_add_co_u32_e32 v0, vcc, v8, v20
	s_lshl_b64 s[20:21], s[20:21], 2
	s_lshl_b64 s[10:11], s[10:11], 2
	v_or_b32_e32 v13, 4, v12
	v_or_b32_e32 v14, 8, v12
	;; [unrolled: 1-line block ×7, first 2 shown]
	v_addc_co_u32_e32 v7, vcc, v9, v21, vcc
	v_mov_b32_e32 v20, s13
	v_mov_b32_e32 v21, s15
	;; [unrolled: 1-line block ×6, first 2 shown]
	v_pk_mov_b32 v[8:9], s[8:9], s[8:9] op_sel:[0,1]
	s_branch .LBB146_7
.LBB146_5:                              ;   in Loop: Header=BB146_7 Depth=1
	s_or_b64 exec, exec, s[24:25]
.LBB146_6:                              ;   in Loop: Header=BB146_7 Depth=1
	s_or_b64 exec, exec, s[22:23]
	v_add_co_u32_e32 v28, vcc, s12, v0
	v_addc_co_u32_e32 v29, vcc, v20, v7, vcc
	v_add_co_u32_e32 v32, vcc, s14, v0
	v_addc_co_u32_e32 v33, vcc, v21, v7, vcc
	global_load_dword v30, v[28:29], off
	v_add_co_u32_e32 v28, vcc, s10, v28
	v_addc_co_u32_e32 v29, vcc, v29, v22, vcc
	global_load_dword v34, v[32:33], off
	;; [unrolled: 3-line block ×15, first 2 shown]
	global_load_dword v47, v[28:29], off
	s_waitcnt vmcnt(16)
	ds_bpermute_b32 v28, v12, v26
	ds_bpermute_b32 v29, v13, v26
	;; [unrolled: 1-line block ×4, first 2 shown]
	v_add_co_u32_e32 v4, vcc, s18, v4
	v_addc_co_u32_e32 v5, vcc, v5, v23, vcc
	v_add_co_u32_e32 v2, vcc, s4, v2
	v_addc_co_u32_e32 v3, vcc, v3, v24, vcc
	s_add_u32 s16, s16, s4
	v_add_co_u32_e32 v0, vcc, s20, v0
	s_addc_u32 s17, s17, 0
	v_addc_co_u32_e32 v7, vcc, v7, v25, vcc
	v_cmp_lt_i64_e32 vcc, s[16:17], v[8:9]
	s_and_b64 vcc, exec, vcc
	s_waitcnt vmcnt(12)
	v_pk_mul_f32 v[30:31], v[30:31], v[34:35]
	s_waitcnt lgkmcnt(2)
	v_pk_mul_f32 v[28:29], v[30:31], v[28:29]
	v_add_f32_e32 v1, v1, v28
	ds_bpermute_b32 v30, v16, v26
	ds_bpermute_b32 v31, v17, v26
	v_add_f32_e32 v1, v1, v29
	s_waitcnt vmcnt(8)
	v_pk_mul_f32 v[28:29], v[36:37], v[38:39]
	s_waitcnt lgkmcnt(2)
	v_pk_mul_f32 v[28:29], v[28:29], v[32:33]
	v_add_f32_e32 v1, v1, v28
	ds_bpermute_b32 v32, v18, v26
	ds_bpermute_b32 v33, v19, v26
	v_add_f32_e32 v1, v1, v29
	s_waitcnt vmcnt(4)
	v_pk_mul_f32 v[28:29], v[40:41], v[42:43]
	s_waitcnt lgkmcnt(2)
	v_pk_mul_f32 v[26:27], v[28:29], v[30:31]
	v_add_f32_e32 v1, v1, v26
	v_add_f32_e32 v1, v1, v27
	s_waitcnt vmcnt(0)
	v_pk_mul_f32 v[26:27], v[44:45], v[46:47]
	s_waitcnt lgkmcnt(0)
	v_pk_mul_f32 v[26:27], v[26:27], v[32:33]
	v_add_f32_e32 v1, v1, v26
	v_add_f32_e32 v1, v1, v27
	s_cbranch_vccz .LBB146_10
.LBB146_7:                              ; =>This Inner Loop Header: Depth=1
	v_mov_b32_e32 v26, 0
	s_and_saveexec_b64 s[22:23], s[0:1]
	s_cbranch_execz .LBB146_6
; %bb.8:                                ;   in Loop: Header=BB146_7 Depth=1
	v_cmp_gt_i64_e32 vcc, s[8:9], v[2:3]
	v_mov_b32_e32 v26, 0
	s_and_saveexec_b64 s[24:25], vcc
	s_cbranch_execz .LBB146_5
; %bb.9:                                ;   in Loop: Header=BB146_7 Depth=1
	global_load_dword v26, v[4:5], off
	s_branch .LBB146_5
.LBB146_10:
	v_mov_b32_e32 v4, v11
.LBB146_11:
	s_movk_i32 s0, 0x41
	v_mad_u32_u24 v0, v4, s0, v6
	v_lshl_add_u32 v0, v0, 2, 0
	ds_write_b32 v0, v1
	v_mov_b32_e32 v1, 0
	ds_write_b32 v0, v1 offset:2080
	v_lshrrev_b32_e32 v0, 6, v6
	v_add_u32_e32 v1, v0, v4
	s_mov_b32 s7, 0
	v_cmp_gt_u32_e32 vcc, 64, v1
	s_waitcnt lgkmcnt(0)
	s_barrier
	s_and_saveexec_b64 s[0:1], vcc
	s_cbranch_execz .LBB146_18
; %bb.12:
	v_mbcnt_hi_u32_b32 v5, -1, v10
	v_and_b32_e32 v2, 63, v6
	v_and_b32_e32 v3, 64, v5
	s_cmp_lg_u64 s[2:3], 0
	v_cmp_gt_u32_e32 vcc, 8, v2
	v_add_u32_e32 v7, 64, v3
	v_cmp_eq_u32_e64 s[0:1], 0, v6
	s_cselect_b64 s[8:9], -1, 0
	v_mul_u32_u24_e32 v6, 0x104, v2
	v_xor_b32_e32 v2, 4, v5
	s_and_b64 s[8:9], s[0:1], s[8:9]
	v_cmp_lt_i32_e64 s[0:1], v2, v7
	v_xor_b32_e32 v3, 2, v5
	v_cndmask_b32_e64 v2, v5, v2, s[0:1]
	v_cmp_lt_i32_e64 s[0:1], v3, v7
	v_xor_b32_e32 v8, 1, v5
	v_cndmask_b32_e64 v3, v5, v3, s[0:1]
	v_cmp_lt_i32_e64 s[0:1], v8, v7
	v_cndmask_b32_e64 v5, v5, v8, s[0:1]
	v_lshlrev_b32_e32 v7, 2, v1
	v_add_co_u32_e64 v0, s[0:1], v0, v4
	s_lshl_b64 s[6:7], s[6:7], 8
	v_add3_u32 v6, v6, v7, 0
	v_add_u32_e32 v7, -8, v1
	v_addc_co_u32_e64 v1, s[0:1], 0, 0, s[0:1]
	s_add_u32 s0, s2, s6
	v_lshlrev_b64 v[0:1], 2, v[0:1]
	s_addc_u32 s1, s3, s7
	v_mov_b32_e32 v4, s1
	v_add_co_u32_e64 v0, s[0:1], s0, v0
	s_mov_b64 s[4:5], 0
	v_lshlrev_b32_e32 v2, 2, v2
	v_lshlrev_b32_e32 v3, 2, v3
	v_lshlrev_b32_e32 v5, 2, v5
	v_addc_co_u32_e64 v1, s[0:1], v4, v1, s[0:1]
                                        ; implicit-def: $vgpr4
	s_branch .LBB146_14
.LBB146_13:                             ;   in Loop: Header=BB146_14 Depth=1
	s_or_b64 exec, exec, s[0:1]
	v_add_u32_e32 v7, 8, v7
	v_cmp_lt_u32_e64 s[0:1], 55, v7
	s_or_b64 s[4:5], s[0:1], s[4:5]
	v_add_co_u32_e64 v0, s[0:1], 32, v0
	v_add_u32_e32 v6, 32, v6
	v_addc_co_u32_e64 v1, s[0:1], 0, v1, s[0:1]
	s_andn2_b64 exec, exec, s[4:5]
	s_cbranch_execz .LBB146_18
.LBB146_14:                             ; =>This Inner Loop Header: Depth=1
	s_and_saveexec_b64 s[0:1], vcc
	s_cbranch_execz .LBB146_16
; %bb.15:                               ;   in Loop: Header=BB146_14 Depth=1
	ds_read_b32 v4, v6
.LBB146_16:                             ;   in Loop: Header=BB146_14 Depth=1
	s_or_b64 exec, exec, s[0:1]
	s_waitcnt lgkmcnt(0)
	ds_bpermute_b32 v8, v2, v4
	s_waitcnt lgkmcnt(0)
	v_add_f32_e32 v4, v4, v8
	ds_bpermute_b32 v8, v3, v4
	s_waitcnt lgkmcnt(0)
	v_add_f32_e32 v4, v4, v8
	;; [unrolled: 3-line block ×3, first 2 shown]
	s_and_saveexec_b64 s[0:1], s[8:9]
	s_cbranch_execz .LBB146_13
; %bb.17:                               ;   in Loop: Header=BB146_14 Depth=1
	global_store_dword v[0:1], v4, off
	s_branch .LBB146_13
.LBB146_18:
	s_endpgm
	.section	.rodata,"a",@progbits
	.p2align	6, 0x0
	.amdhsa_kernel _ZN2at6native12_GLOBAL__N_135GammaBetaBackwardCUDAKernelTemplateIffLj64ELj8ELj64ELb0ELb1ELb1EEEvllPKT_S5_PKT0_S8_PS3_S9_
		.amdhsa_group_segment_fixed_size 0
		.amdhsa_private_segment_fixed_size 0
		.amdhsa_kernarg_size 320
		.amdhsa_user_sgpr_count 6
		.amdhsa_user_sgpr_private_segment_buffer 1
		.amdhsa_user_sgpr_dispatch_ptr 0
		.amdhsa_user_sgpr_queue_ptr 0
		.amdhsa_user_sgpr_kernarg_segment_ptr 1
		.amdhsa_user_sgpr_dispatch_id 0
		.amdhsa_user_sgpr_flat_scratch_init 0
		.amdhsa_user_sgpr_kernarg_preload_length 0
		.amdhsa_user_sgpr_kernarg_preload_offset 0
		.amdhsa_user_sgpr_private_segment_size 0
		.amdhsa_uses_dynamic_stack 0
		.amdhsa_system_sgpr_private_segment_wavefront_offset 0
		.amdhsa_system_sgpr_workgroup_id_x 1
		.amdhsa_system_sgpr_workgroup_id_y 1
		.amdhsa_system_sgpr_workgroup_id_z 0
		.amdhsa_system_sgpr_workgroup_info 0
		.amdhsa_system_vgpr_workitem_id 1
		.amdhsa_next_free_vgpr 48
		.amdhsa_next_free_sgpr 26
		.amdhsa_accum_offset 48
		.amdhsa_reserve_vcc 1
		.amdhsa_reserve_flat_scratch 0
		.amdhsa_float_round_mode_32 0
		.amdhsa_float_round_mode_16_64 0
		.amdhsa_float_denorm_mode_32 3
		.amdhsa_float_denorm_mode_16_64 3
		.amdhsa_dx10_clamp 1
		.amdhsa_ieee_mode 1
		.amdhsa_fp16_overflow 0
		.amdhsa_tg_split 0
		.amdhsa_exception_fp_ieee_invalid_op 0
		.amdhsa_exception_fp_denorm_src 0
		.amdhsa_exception_fp_ieee_div_zero 0
		.amdhsa_exception_fp_ieee_overflow 0
		.amdhsa_exception_fp_ieee_underflow 0
		.amdhsa_exception_fp_ieee_inexact 0
		.amdhsa_exception_int_div_zero 0
	.end_amdhsa_kernel
	.section	.text._ZN2at6native12_GLOBAL__N_135GammaBetaBackwardCUDAKernelTemplateIffLj64ELj8ELj64ELb0ELb1ELb1EEEvllPKT_S5_PKT0_S8_PS3_S9_,"axG",@progbits,_ZN2at6native12_GLOBAL__N_135GammaBetaBackwardCUDAKernelTemplateIffLj64ELj8ELj64ELb0ELb1ELb1EEEvllPKT_S5_PKT0_S8_PS3_S9_,comdat
.Lfunc_end146:
	.size	_ZN2at6native12_GLOBAL__N_135GammaBetaBackwardCUDAKernelTemplateIffLj64ELj8ELj64ELb0ELb1ELb1EEEvllPKT_S5_PKT0_S8_PS3_S9_, .Lfunc_end146-_ZN2at6native12_GLOBAL__N_135GammaBetaBackwardCUDAKernelTemplateIffLj64ELj8ELj64ELb0ELb1ELb1EEEvllPKT_S5_PKT0_S8_PS3_S9_
                                        ; -- End function
	.section	.AMDGPU.csdata,"",@progbits
; Kernel info:
; codeLenInByte = 1364
; NumSgprs: 30
; NumVgprs: 48
; NumAgprs: 0
; TotalNumVgprs: 48
; ScratchSize: 0
; MemoryBound: 0
; FloatMode: 240
; IeeeMode: 1
; LDSByteSize: 0 bytes/workgroup (compile time only)
; SGPRBlocks: 3
; VGPRBlocks: 5
; NumSGPRsForWavesPerEU: 30
; NumVGPRsForWavesPerEU: 48
; AccumOffset: 48
; Occupancy: 8
; WaveLimiterHint : 0
; COMPUTE_PGM_RSRC2:SCRATCH_EN: 0
; COMPUTE_PGM_RSRC2:USER_SGPR: 6
; COMPUTE_PGM_RSRC2:TRAP_HANDLER: 0
; COMPUTE_PGM_RSRC2:TGID_X_EN: 1
; COMPUTE_PGM_RSRC2:TGID_Y_EN: 1
; COMPUTE_PGM_RSRC2:TGID_Z_EN: 0
; COMPUTE_PGM_RSRC2:TIDIG_COMP_CNT: 1
; COMPUTE_PGM_RSRC3_GFX90A:ACCUM_OFFSET: 11
; COMPUTE_PGM_RSRC3_GFX90A:TG_SPLIT: 0
	.section	.text._ZN2at6native12_GLOBAL__N_135GammaBetaBackwardCUDAKernelTemplateIffLj64ELj8ELj64ELb0ELb0ELb1EEEvllPKT_S5_PKT0_S8_PS3_S9_,"axG",@progbits,_ZN2at6native12_GLOBAL__N_135GammaBetaBackwardCUDAKernelTemplateIffLj64ELj8ELj64ELb0ELb0ELb1EEEvllPKT_S5_PKT0_S8_PS3_S9_,comdat
	.globl	_ZN2at6native12_GLOBAL__N_135GammaBetaBackwardCUDAKernelTemplateIffLj64ELj8ELj64ELb0ELb0ELb1EEEvllPKT_S5_PKT0_S8_PS3_S9_ ; -- Begin function _ZN2at6native12_GLOBAL__N_135GammaBetaBackwardCUDAKernelTemplateIffLj64ELj8ELj64ELb0ELb0ELb1EEEvllPKT_S5_PKT0_S8_PS3_S9_
	.p2align	8
	.type	_ZN2at6native12_GLOBAL__N_135GammaBetaBackwardCUDAKernelTemplateIffLj64ELj8ELj64ELb0ELb0ELb1EEEvllPKT_S5_PKT0_S8_PS3_S9_,@function
_ZN2at6native12_GLOBAL__N_135GammaBetaBackwardCUDAKernelTemplateIffLj64ELj8ELj64ELb0ELb0ELb1EEEvllPKT_S5_PKT0_S8_PS3_S9_: ; @_ZN2at6native12_GLOBAL__N_135GammaBetaBackwardCUDAKernelTemplateIffLj64ELj8ELj64ELb0ELb0ELb1EEEvllPKT_S5_PKT0_S8_PS3_S9_
; %bb.0:
	s_load_dwordx8 s[12:19], s[4:5], 0x0
	s_load_dwordx2 s[10:11], s[4:5], 0x28
	s_lshl_b32 s33, s6, 6
	s_or_b32 s28, s33, 63
	s_mov_b32 s29, 0
	s_waitcnt lgkmcnt(0)
	v_pk_mov_b32 v[2:3], s[14:15], s[14:15] op_sel:[0,1]
	v_cmp_ge_i64_e32 vcc, s[28:29], v[2:3]
	s_lshl_b32 s28, s7, 6
	v_pk_mov_b32 v[2:3], s[12:13], s[12:13] op_sel:[0,1]
	v_cmp_lt_i64_e64 s[0:1], s[28:29], v[2:3]
	v_cndmask_b32_e64 v1, 0, 1, s[0:1]
	v_cmp_ne_u32_e64 s[0:1], 1, v1
	s_cbranch_vccz .LBB147_49
; %bb.1:
	s_and_b64 vcc, exec, s[0:1]
	v_mov_b32_e32 v2, 0
	s_cbranch_vccnz .LBB147_50
; %bb.2:
	v_and_b32_e32 v59, 0x3ff, v0
	v_bfe_u32 v61, v0, 10, 10
	v_add_u32_e32 v2, s33, v59
	v_mov_b32_e32 v3, 0
	v_lshlrev_b32_e32 v26, 3, v61
	v_cmp_gt_i64_e64 s[2:3], s[14:15], v[2:3]
	v_lshlrev_b64 v[28:29], 2, v[2:3]
	v_mov_b32_e32 v1, s29
	v_add_co_u32_e32 v2, vcc, s28, v26
	v_addc_co_u32_e32 v6, vcc, 0, v1, vcc
	v_add_co_u32_e32 v1, vcc, 7, v2
	v_addc_co_u32_e32 v4, vcc, 0, v6, vcc
	v_mul_lo_u32 v7, s15, v1
	v_mul_lo_u32 v8, s14, v4
	v_mad_u64_u32 v[4:5], s[8:9], s14, v1, 0
	s_load_dword s7, s[4:5], 0x44
	v_add3_u32 v5, v5, v8, v7
	v_lshlrev_b64 v[4:5], 2, v[4:5]
	v_mov_b32_e32 v7, s17
	v_add_co_u32_e32 v30, vcc, s16, v4
	v_addc_co_u32_e32 v1, vcc, v7, v5, vcc
	s_add_u32 s30, s4, 64
	v_mov_b32_e32 v8, s19
	v_add_co_u32_e32 v32, vcc, s18, v4
	s_addc_u32 s31, s5, 0
	s_waitcnt lgkmcnt(0)
	s_lshl_b32 s7, s7, 6
	v_addc_co_u32_e32 v27, vcc, v8, v5, vcc
	s_mul_i32 s8, s15, s7
	s_mul_hi_u32 s9, s14, s7
	v_add_co_u32_e32 v4, vcc, 6, v2
	s_add_i32 s9, s9, s8
	s_mul_i32 s8, s14, s7
	v_addc_co_u32_e32 v5, vcc, 0, v6, vcc
	s_lshl_b64 s[34:35], s[8:9], 2
	v_mul_lo_u32 v9, s15, v4
	v_mul_lo_u32 v10, s14, v5
	v_mad_u64_u32 v[4:5], s[8:9], s14, v4, 0
	v_add3_u32 v5, v5, v10, v9
	v_lshlrev_b64 v[4:5], 2, v[4:5]
	v_add_co_u32_e32 v34, vcc, s16, v4
	v_addc_co_u32_e32 v31, vcc, v7, v5, vcc
	v_add_co_u32_e32 v36, vcc, s18, v4
	v_addc_co_u32_e32 v33, vcc, v8, v5, vcc
	v_add_co_u32_e32 v4, vcc, 5, v2
	v_addc_co_u32_e32 v5, vcc, 0, v6, vcc
	v_mul_lo_u32 v9, s15, v4
	v_mul_lo_u32 v10, s14, v5
	v_mad_u64_u32 v[4:5], s[8:9], s14, v4, 0
	v_add3_u32 v5, v5, v10, v9
	v_lshlrev_b64 v[4:5], 2, v[4:5]
	v_add_co_u32_e32 v38, vcc, s16, v4
	v_addc_co_u32_e32 v35, vcc, v7, v5, vcc
	v_add_co_u32_e32 v40, vcc, s18, v4
	v_addc_co_u32_e32 v37, vcc, v8, v5, vcc
	v_add_co_u32_e32 v4, vcc, 4, v2
	v_addc_co_u32_e32 v5, vcc, 0, v6, vcc
	;; [unrolled: 11-line block ×4, first 2 shown]
	v_mul_lo_u32 v9, s15, v4
	v_mul_lo_u32 v10, s14, v5
	v_mad_u64_u32 v[4:5], s[8:9], s14, v4, 0
	v_add3_u32 v5, v5, v10, v9
	v_lshlrev_b64 v[4:5], 2, v[4:5]
	v_add_co_u32_e32 v50, vcc, s16, v4
	v_addc_co_u32_e32 v47, vcc, v7, v5, vcc
	v_add_co_u32_e32 v52, vcc, s18, v4
	v_addc_co_u32_e32 v49, vcc, v8, v5, vcc
	v_pk_mov_b32 v[4:5], s[14:15], s[14:15] op_sel:[0,1]
	v_mad_u64_u32 v[4:5], s[8:9], s14, v2, v[4:5]
	v_mul_lo_u32 v6, s14, v6
	v_mul_lo_u32 v9, s15, v2
	v_add3_u32 v5, v9, v5, v6
	v_lshlrev_b64 v[4:5], 2, v[4:5]
	v_add_co_u32_e32 v54, vcc, s16, v4
	v_addc_co_u32_e32 v51, vcc, v7, v5, vcc
	v_add_co_u32_e32 v56, vcc, s18, v4
	v_addc_co_u32_e32 v53, vcc, v8, v5, vcc
	v_mad_u64_u32 v[4:5], s[8:9], s14, v2, 0
	v_add3_u32 v5, v5, v6, v9
	v_lshlrev_b64 v[4:5], 2, v[4:5]
	v_add_co_u32_e32 v58, vcc, s16, v4
	v_mbcnt_lo_u32_b32 v2, -1, 0
	v_addc_co_u32_e32 v55, vcc, v7, v5, vcc
	v_mbcnt_hi_u32_b32 v2, -1, v2
	s_add_u32 s36, s28, 63
	v_add_co_u32_e32 v60, vcc, s18, v4
	v_lshlrev_b32_e32 v2, 2, v2
	s_mov_b32 s20, 0
	s_addc_u32 s37, 0, 0
	v_addc_co_u32_e32 v57, vcc, v8, v5, vcc
	v_and_b32_e32 v62, 0x100, v2
	s_mov_b64 s[38:39], s[28:29]
	v_mov_b32_e32 v63, 0
.LBB147_3:                              ; =>This Inner Loop Header: Depth=1
	v_pk_mov_b32 v[4:5], s[12:13], s[12:13] op_sel:[0,1]
	v_cmp_ge_i64_e32 vcc, s[36:37], v[4:5]
	v_mov_b32_e32 v2, s37
	v_add_co_u32_e64 v64, s[8:9], s36, v26
	v_addc_co_u32_e64 v65, s[8:9], 0, v2, s[8:9]
	s_cbranch_vccz .LBB147_25
; %bb.4:                                ;   in Loop: Header=BB147_3 Depth=1
	s_load_dword s8, s[30:31], 0xc
	v_mov_b32_e32 v66, 0
	s_waitcnt lgkmcnt(0)
	s_and_b32 s8, s8, 0xffff
	v_mad_u32_u24 v2, v61, s8, v59
	v_and_b32_e32 v2, 63, v2
	v_cmp_gt_u32_e32 vcc, 8, v2
	s_and_saveexec_b64 s[8:9], vcc
	s_cbranch_execz .LBB147_8
; %bb.5:                                ;   in Loop: Header=BB147_3 Depth=1
	v_add_co_u32_e32 v2, vcc, v64, v2
	v_addc_co_u32_e32 v5, vcc, 0, v65, vcc
	v_add_co_u32_e32 v4, vcc, 0xffffffc1, v2
	v_addc_co_u32_e32 v5, vcc, -1, v5, vcc
	v_cmp_gt_i64_e32 vcc, s[12:13], v[4:5]
	v_mov_b32_e32 v66, 0
	s_and_saveexec_b64 s[22:23], vcc
	s_cbranch_execz .LBB147_7
; %bb.6:                                ;   in Loop: Header=BB147_3 Depth=1
	v_lshlrev_b64 v[4:5], 2, v[4:5]
	v_mov_b32_e32 v2, s11
	v_add_co_u32_e32 v4, vcc, s10, v4
	v_addc_co_u32_e32 v5, vcc, v2, v5, vcc
	global_load_dword v66, v[4:5], off
.LBB147_7:                              ;   in Loop: Header=BB147_3 Depth=1
	s_or_b64 exec, exec, s[22:23]
.LBB147_8:                              ;   in Loop: Header=BB147_3 Depth=1
	s_or_b64 exec, exec, s[8:9]
	s_mov_b32 s21, s20
	v_add_co_u32_e32 v4, vcc, 0xffffffc1, v64
	s_mov_b32 s22, s20
	s_mov_b32 s23, s20
	;; [unrolled: 1-line block ×6, first 2 shown]
	v_pk_mov_b32 v[10:11], s[20:21], s[20:21] op_sel:[0,1]
	v_addc_co_u32_e32 v5, vcc, -1, v65, vcc
	v_pk_mov_b32 v[16:17], s[26:27], s[26:27] op_sel:[0,1]
	v_cmp_gt_i64_e32 vcc, s[12:13], v[4:5]
	v_pk_mov_b32 v[12:13], s[22:23], s[22:23] op_sel:[0,1]
	v_pk_mov_b32 v[14:15], s[24:25], s[24:25] op_sel:[0,1]
	;; [unrolled: 1-line block ×3, first 2 shown]
	s_and_b64 s[40:41], s[2:3], vcc
	v_pk_mov_b32 v[22:23], v[14:15], v[14:15] op_sel:[0,1]
	v_pk_mov_b32 v[20:21], v[12:13], v[12:13] op_sel:[0,1]
	;; [unrolled: 1-line block ×3, first 2 shown]
	s_and_saveexec_b64 s[8:9], s[40:41]
	s_cbranch_execz .LBB147_10
; %bb.9:                                ;   in Loop: Header=BB147_3 Depth=1
	v_add_co_u32_e32 v4, vcc, v58, v28
	v_addc_co_u32_e32 v5, vcc, v55, v29, vcc
	global_load_dword v2, v[4:5], off
	v_add_co_u32_e32 v4, vcc, v60, v28
	v_addc_co_u32_e32 v5, vcc, v57, v29, vcc
	global_load_dword v10, v[4:5], off
	v_mov_b32_e32 v8, v3
	v_mov_b32_e32 v9, v3
	;; [unrolled: 1-line block ×6, first 2 shown]
	s_waitcnt vmcnt(1)
	v_pk_mov_b32 v[24:25], v[8:9], v[8:9] op_sel:[0,1]
	v_mov_b32_e32 v11, v3
	v_mov_b32_e32 v12, v3
	;; [unrolled: 1-line block ×7, first 2 shown]
	v_pk_mov_b32 v[22:23], v[6:7], v[6:7] op_sel:[0,1]
	v_pk_mov_b32 v[20:21], v[4:5], v[4:5] op_sel:[0,1]
	;; [unrolled: 1-line block ×3, first 2 shown]
.LBB147_10:                             ;   in Loop: Header=BB147_3 Depth=1
	s_or_b64 exec, exec, s[8:9]
	v_add_co_u32_e32 v4, vcc, 0xffffffc2, v64
	v_addc_co_u32_e32 v5, vcc, -1, v65, vcc
	v_cmp_gt_i64_e32 vcc, s[12:13], v[4:5]
	s_and_b64 s[22:23], s[2:3], vcc
	s_and_saveexec_b64 s[8:9], s[22:23]
	s_cbranch_execz .LBB147_12
; %bb.11:                               ;   in Loop: Header=BB147_3 Depth=1
	v_add_co_u32_e32 v4, vcc, v54, v28
	v_addc_co_u32_e32 v5, vcc, v51, v29, vcc
	global_load_dword v19, v[4:5], off
	v_add_co_u32_e32 v4, vcc, v56, v28
	v_addc_co_u32_e32 v5, vcc, v53, v29, vcc
	global_load_dword v11, v[4:5], off
.LBB147_12:                             ;   in Loop: Header=BB147_3 Depth=1
	s_or_b64 exec, exec, s[8:9]
	v_add_co_u32_e32 v4, vcc, 0xffffffc3, v64
	v_addc_co_u32_e32 v5, vcc, -1, v65, vcc
	v_cmp_gt_i64_e32 vcc, s[12:13], v[4:5]
	s_and_b64 s[22:23], s[2:3], vcc
	s_and_saveexec_b64 s[8:9], s[22:23]
	s_cbranch_execz .LBB147_14
; %bb.13:                               ;   in Loop: Header=BB147_3 Depth=1
	v_add_co_u32_e32 v4, vcc, v50, v28
	v_addc_co_u32_e32 v5, vcc, v47, v29, vcc
	global_load_dword v20, v[4:5], off
	v_add_co_u32_e32 v4, vcc, v52, v28
	v_addc_co_u32_e32 v5, vcc, v49, v29, vcc
	global_load_dword v12, v[4:5], off
.LBB147_14:                             ;   in Loop: Header=BB147_3 Depth=1
	;; [unrolled: 15-line block ×7, first 2 shown]
	s_or_b64 exec, exec, s[8:9]
	s_waitcnt vmcnt(0)
	ds_bpermute_b32 v4, v62, v66 offset:4
	ds_bpermute_b32 v5, v62, v66 offset:8
	ds_bpermute_b32 v2, v62, v66
	v_mul_f32_e32 v8, v10, v18
	v_pk_mul_f32 v[10:11], v[10:11], v[18:19]
	v_pk_mul_f32 v[12:13], v[12:13], v[20:21]
	v_mov_b32_e32 v10, v11
	v_mov_b32_e32 v11, v12
	s_waitcnt lgkmcnt(1)
	v_pk_mul_f32 v[4:5], v[10:11], v[4:5]
	ds_bpermute_b32 v10, v62, v66 offset:12
	ds_bpermute_b32 v11, v62, v66 offset:16
	s_waitcnt lgkmcnt(2)
	v_fma_f32 v2, v8, v2, v63
	v_pk_mul_f32 v[8:9], v[14:15], v[22:23]
	v_add_f32_e32 v2, v2, v4
	v_add_f32_e32 v2, v2, v5
	v_mov_b32_e32 v4, v13
	v_mov_b32_e32 v5, v8
	s_waitcnt lgkmcnt(0)
	v_pk_mul_f32 v[4:5], v[4:5], v[10:11]
	ds_bpermute_b32 v10, v62, v66 offset:20
	ds_bpermute_b32 v11, v62, v66 offset:24
	v_pk_mul_f32 v[6:7], v[16:17], v[24:25]
	v_add_f32_e32 v2, v2, v4
	ds_bpermute_b32 v4, v62, v66 offset:28
	v_mov_b32_e32 v8, v9
	v_mov_b32_e32 v9, v6
	v_add_f32_e32 v2, v2, v5
	s_waitcnt lgkmcnt(1)
	v_pk_mul_f32 v[6:7], v[8:9], v[10:11]
	v_add_f32_e32 v2, v2, v6
	v_add_f32_e32 v2, v2, v7
	s_branch .LBB147_40
.LBB147_25:                             ;   in Loop: Header=BB147_3 Depth=1
                                        ; implicit-def: $vgpr2
                                        ; implicit-def: $vgpr10_vgpr11_vgpr12_vgpr13_vgpr14_vgpr15_vgpr16_vgpr17
                                        ; implicit-def: $vgpr18_vgpr19_vgpr20_vgpr21_vgpr22_vgpr23_vgpr24_vgpr25
                                        ; implicit-def: $vgpr4
	s_cbranch_execz .LBB147_40
; %bb.26:                               ;   in Loop: Header=BB147_3 Depth=1
	s_load_dword s8, s[30:31], 0x0
	v_mov_b32_e32 v66, 0
	s_waitcnt lgkmcnt(0)
	s_cmp_lt_u32 s6, s8
	s_cselect_b32 s8, 12, 18
	s_add_u32 s8, s30, s8
	s_addc_u32 s9, s31, 0
	global_load_ushort v2, v3, s[8:9]
	s_waitcnt vmcnt(0)
	v_mad_u32_u24 v2, v61, v2, v59
	v_and_b32_e32 v2, 63, v2
	v_cmp_gt_u32_e32 vcc, 8, v2
	s_and_saveexec_b64 s[8:9], vcc
	s_cbranch_execz .LBB147_30
; %bb.27:                               ;   in Loop: Header=BB147_3 Depth=1
	v_add_co_u32_e32 v2, vcc, v64, v2
	v_addc_co_u32_e32 v5, vcc, 0, v65, vcc
	v_add_co_u32_e32 v4, vcc, 0xffffffc1, v2
	v_addc_co_u32_e32 v5, vcc, -1, v5, vcc
	v_cmp_gt_i64_e32 vcc, s[12:13], v[4:5]
	v_mov_b32_e32 v66, 0
	s_and_saveexec_b64 s[22:23], vcc
	s_cbranch_execz .LBB147_29
; %bb.28:                               ;   in Loop: Header=BB147_3 Depth=1
	v_lshlrev_b64 v[4:5], 2, v[4:5]
	v_mov_b32_e32 v2, s11
	v_add_co_u32_e32 v4, vcc, s10, v4
	v_addc_co_u32_e32 v5, vcc, v2, v5, vcc
	global_load_dword v66, v[4:5], off
.LBB147_29:                             ;   in Loop: Header=BB147_3 Depth=1
	s_or_b64 exec, exec, s[22:23]
.LBB147_30:                             ;   in Loop: Header=BB147_3 Depth=1
	s_or_b64 exec, exec, s[8:9]
	s_mov_b32 s21, s20
	s_mov_b32 s22, s20
	;; [unrolled: 1-line block ×7, first 2 shown]
	v_pk_mov_b32 v[10:11], s[20:21], s[20:21] op_sel:[0,1]
	v_pk_mov_b32 v[16:17], s[26:27], s[26:27] op_sel:[0,1]
	;; [unrolled: 1-line block ×8, first 2 shown]
	s_and_saveexec_b64 s[8:9], s[2:3]
	s_cbranch_execnz .LBB147_42
; %bb.31:                               ;   in Loop: Header=BB147_3 Depth=1
	s_or_b64 exec, exec, s[8:9]
	s_and_saveexec_b64 s[8:9], s[2:3]
	s_cbranch_execnz .LBB147_43
.LBB147_32:                             ;   in Loop: Header=BB147_3 Depth=1
	s_or_b64 exec, exec, s[8:9]
	s_and_saveexec_b64 s[8:9], s[2:3]
	s_cbranch_execnz .LBB147_44
.LBB147_33:                             ;   in Loop: Header=BB147_3 Depth=1
	s_or_b64 exec, exec, s[8:9]
	s_and_saveexec_b64 s[8:9], s[2:3]
	s_cbranch_execnz .LBB147_45
.LBB147_34:                             ;   in Loop: Header=BB147_3 Depth=1
	s_or_b64 exec, exec, s[8:9]
	s_and_saveexec_b64 s[8:9], s[2:3]
	s_cbranch_execnz .LBB147_46
.LBB147_35:                             ;   in Loop: Header=BB147_3 Depth=1
	s_or_b64 exec, exec, s[8:9]
	s_and_saveexec_b64 s[8:9], s[2:3]
	s_cbranch_execnz .LBB147_47
.LBB147_36:                             ;   in Loop: Header=BB147_3 Depth=1
	s_or_b64 exec, exec, s[8:9]
	s_and_saveexec_b64 s[8:9], s[2:3]
	s_cbranch_execnz .LBB147_48
.LBB147_37:                             ;   in Loop: Header=BB147_3 Depth=1
	s_or_b64 exec, exec, s[8:9]
	s_and_saveexec_b64 s[8:9], s[2:3]
	s_cbranch_execz .LBB147_39
.LBB147_38:                             ;   in Loop: Header=BB147_3 Depth=1
	v_add_co_u32_e32 v4, vcc, v30, v28
	v_addc_co_u32_e32 v5, vcc, v1, v29, vcc
	global_load_dword v25, v[4:5], off
	v_add_co_u32_e32 v4, vcc, v32, v28
	v_addc_co_u32_e32 v5, vcc, v27, v29, vcc
	global_load_dword v17, v[4:5], off
.LBB147_39:                             ;   in Loop: Header=BB147_3 Depth=1
	s_or_b64 exec, exec, s[8:9]
	s_waitcnt vmcnt(0)
	ds_bpermute_b32 v4, v62, v66 offset:4
	ds_bpermute_b32 v5, v62, v66 offset:8
	ds_bpermute_b32 v2, v62, v66
	v_mul_f32_e32 v8, v10, v18
	v_pk_mul_f32 v[10:11], v[10:11], v[18:19]
	v_pk_mul_f32 v[12:13], v[12:13], v[20:21]
	v_mov_b32_e32 v10, v11
	v_mov_b32_e32 v11, v12
	s_waitcnt lgkmcnt(1)
	v_pk_mul_f32 v[4:5], v[10:11], v[4:5]
	ds_bpermute_b32 v10, v62, v66 offset:12
	ds_bpermute_b32 v11, v62, v66 offset:16
	s_waitcnt lgkmcnt(2)
	v_fmac_f32_e32 v63, v8, v2
	v_pk_mul_f32 v[8:9], v[14:15], v[22:23]
	v_add_f32_e32 v2, v63, v4
	v_add_f32_e32 v2, v2, v5
	v_mov_b32_e32 v4, v13
	v_mov_b32_e32 v5, v8
	s_waitcnt lgkmcnt(0)
	v_pk_mul_f32 v[4:5], v[4:5], v[10:11]
	ds_bpermute_b32 v10, v62, v66 offset:20
	ds_bpermute_b32 v11, v62, v66 offset:24
	v_pk_mul_f32 v[6:7], v[16:17], v[24:25]
	v_add_f32_e32 v2, v2, v4
	v_mov_b32_e32 v8, v9
	v_mov_b32_e32 v9, v6
	v_add_f32_e32 v2, v2, v5
	s_waitcnt lgkmcnt(0)
	v_pk_mul_f32 v[6:7], v[8:9], v[10:11]
	v_add_f32_e32 v2, v2, v6
	ds_bpermute_b32 v4, v62, v66 offset:28
	v_add_f32_e32 v2, v2, v7
.LBB147_40:                             ;   in Loop: Header=BB147_3 Depth=1
	v_mul_f32_e32 v5, v25, v17
	s_waitcnt lgkmcnt(0)
	v_fmac_f32_e32 v2, v5, v4
	v_mov_b32_e32 v4, s35
	v_add_co_u32_e32 v30, vcc, s34, v30
	v_addc_co_u32_e32 v1, vcc, v1, v4, vcc
	v_add_co_u32_e32 v32, vcc, s34, v32
	v_addc_co_u32_e32 v27, vcc, v27, v4, vcc
	;; [unrolled: 2-line block ×15, first 2 shown]
	s_add_u32 s38, s38, s7
	v_add_co_u32_e32 v60, vcc, s34, v60
	s_addc_u32 s39, s39, 0
	v_addc_co_u32_e32 v57, vcc, v57, v4, vcc
	v_pk_mov_b32 v[4:5], s[12:13], s[12:13] op_sel:[0,1]
	s_add_u32 s36, s36, s7
	v_cmp_lt_i64_e32 vcc, s[38:39], v[4:5]
	s_addc_u32 s37, s37, 0
	s_cbranch_vccz .LBB147_50
; %bb.41:                               ;   in Loop: Header=BB147_3 Depth=1
	v_mov_b32_e32 v63, v2
	s_branch .LBB147_3
.LBB147_42:                             ;   in Loop: Header=BB147_3 Depth=1
	v_add_co_u32_e32 v4, vcc, v58, v28
	v_addc_co_u32_e32 v5, vcc, v55, v29, vcc
	global_load_dword v2, v[4:5], off
	v_add_co_u32_e32 v4, vcc, v60, v28
	v_addc_co_u32_e32 v5, vcc, v57, v29, vcc
	global_load_dword v10, v[4:5], off
	v_mov_b32_e32 v8, v3
	v_mov_b32_e32 v9, v3
	;; [unrolled: 1-line block ×6, first 2 shown]
	s_waitcnt vmcnt(1)
	v_pk_mov_b32 v[24:25], v[8:9], v[8:9] op_sel:[0,1]
	v_mov_b32_e32 v11, v3
	v_mov_b32_e32 v12, v3
	;; [unrolled: 1-line block ×7, first 2 shown]
	v_pk_mov_b32 v[22:23], v[6:7], v[6:7] op_sel:[0,1]
	v_pk_mov_b32 v[20:21], v[4:5], v[4:5] op_sel:[0,1]
	;; [unrolled: 1-line block ×3, first 2 shown]
	s_or_b64 exec, exec, s[8:9]
	s_and_saveexec_b64 s[8:9], s[2:3]
	s_cbranch_execz .LBB147_32
.LBB147_43:                             ;   in Loop: Header=BB147_3 Depth=1
	v_add_co_u32_e32 v4, vcc, v54, v28
	v_addc_co_u32_e32 v5, vcc, v51, v29, vcc
	global_load_dword v19, v[4:5], off
	v_add_co_u32_e32 v4, vcc, v56, v28
	v_addc_co_u32_e32 v5, vcc, v53, v29, vcc
	global_load_dword v11, v[4:5], off
	s_or_b64 exec, exec, s[8:9]
	s_and_saveexec_b64 s[8:9], s[2:3]
	s_cbranch_execz .LBB147_33
.LBB147_44:                             ;   in Loop: Header=BB147_3 Depth=1
	v_add_co_u32_e32 v4, vcc, v50, v28
	v_addc_co_u32_e32 v5, vcc, v47, v29, vcc
	global_load_dword v20, v[4:5], off
	v_add_co_u32_e32 v4, vcc, v52, v28
	v_addc_co_u32_e32 v5, vcc, v49, v29, vcc
	global_load_dword v12, v[4:5], off
	s_or_b64 exec, exec, s[8:9]
	s_and_saveexec_b64 s[8:9], s[2:3]
	s_cbranch_execz .LBB147_34
.LBB147_45:                             ;   in Loop: Header=BB147_3 Depth=1
	v_add_co_u32_e32 v4, vcc, v46, v28
	v_addc_co_u32_e32 v5, vcc, v43, v29, vcc
	global_load_dword v21, v[4:5], off
	v_add_co_u32_e32 v4, vcc, v48, v28
	v_addc_co_u32_e32 v5, vcc, v45, v29, vcc
	global_load_dword v13, v[4:5], off
	s_or_b64 exec, exec, s[8:9]
	s_and_saveexec_b64 s[8:9], s[2:3]
	s_cbranch_execz .LBB147_35
.LBB147_46:                             ;   in Loop: Header=BB147_3 Depth=1
	v_add_co_u32_e32 v4, vcc, v42, v28
	v_addc_co_u32_e32 v5, vcc, v39, v29, vcc
	global_load_dword v22, v[4:5], off
	v_add_co_u32_e32 v4, vcc, v44, v28
	v_addc_co_u32_e32 v5, vcc, v41, v29, vcc
	global_load_dword v14, v[4:5], off
	s_or_b64 exec, exec, s[8:9]
	s_and_saveexec_b64 s[8:9], s[2:3]
	s_cbranch_execz .LBB147_36
.LBB147_47:                             ;   in Loop: Header=BB147_3 Depth=1
	v_add_co_u32_e32 v4, vcc, v38, v28
	v_addc_co_u32_e32 v5, vcc, v35, v29, vcc
	global_load_dword v23, v[4:5], off
	v_add_co_u32_e32 v4, vcc, v40, v28
	v_addc_co_u32_e32 v5, vcc, v37, v29, vcc
	global_load_dword v15, v[4:5], off
	s_or_b64 exec, exec, s[8:9]
	s_and_saveexec_b64 s[8:9], s[2:3]
	s_cbranch_execz .LBB147_37
.LBB147_48:                             ;   in Loop: Header=BB147_3 Depth=1
	v_add_co_u32_e32 v4, vcc, v34, v28
	v_addc_co_u32_e32 v5, vcc, v31, v29, vcc
	global_load_dword v24, v[4:5], off
	v_add_co_u32_e32 v4, vcc, v36, v28
	v_addc_co_u32_e32 v5, vcc, v33, v29, vcc
	global_load_dword v16, v[4:5], off
	s_or_b64 exec, exec, s[8:9]
	s_and_saveexec_b64 s[8:9], s[2:3]
	s_cbranch_execnz .LBB147_38
	s_branch .LBB147_39
.LBB147_49:
                                        ; implicit-def: $vgpr2
	s_branch .LBB147_51
.LBB147_50:
	s_cbranch_execnz .LBB147_83
.LBB147_51:
	s_and_b64 vcc, exec, s[0:1]
	v_mov_b32_e32 v2, 0
	s_cbranch_vccnz .LBB147_83
; %bb.52:
	s_load_dword s0, s[4:5], 0x44
	s_add_u32 s2, s4, 64
	s_addc_u32 s3, s5, 0
	v_bfe_u32 v85, v0, 10, 10
	v_lshlrev_b32_e32 v1, 5, v85
	s_waitcnt lgkmcnt(0)
	s_lshl_b32 s7, s0, 6
	s_add_u32 s8, s28, 63
	s_addc_u32 s9, 0, 0
	s_lshl_b64 s[0:1], s[28:29], 2
	v_mov_b32_e32 v2, s1
	v_add_co_u32_e32 v1, vcc, s0, v1
	v_addc_co_u32_e32 v4, vcc, 0, v2, vcc
	v_add_co_u32_e32 v6, vcc, 4, v1
	v_addc_co_u32_e32 v5, vcc, 0, v4, vcc
	v_add_co_u32_e32 v9, vcc, 8, v1
	v_mul_lo_u32 v7, s14, v5
	v_addc_co_u32_e32 v5, vcc, 0, v4, vcc
	v_add_co_u32_e32 v12, vcc, 12, v1
	v_mul_lo_u32 v10, s14, v5
	;; [unrolled: 3-line block ×5, first 2 shown]
	v_addc_co_u32_e32 v5, vcc, 0, v4, vcc
	v_add_co_u32_e32 v24, vcc, 28, v1
	v_lshlrev_b32_e32 v26, 3, v85
	v_addc_co_u32_e32 v1, vcc, 0, v4, vcc
	v_mul_lo_u32 v25, s14, v1
	v_mov_b32_e32 v1, s29
	v_add_co_u32_e32 v43, vcc, s28, v26
	v_pk_mov_b32 v[2:3], s[16:17], s[16:17] op_sel:[0,1]
	v_addc_co_u32_e32 v59, vcc, 0, v1, vcc
	v_mad_u64_u32 v[28:29], s[0:1], s14, v6, v[2:3]
	v_mad_u64_u32 v[30:31], s[0:1], s14, v9, v[2:3]
	;; [unrolled: 1-line block ×7, first 2 shown]
	v_mul_lo_u32 v60, s15, v43
	v_mul_lo_u32 v61, s14, v59
	v_mad_u64_u32 v[2:3], s[0:1], s14, v43, 0
	v_add3_u32 v3, v3, v61, v60
	v_lshlrev_b64 v[2:3], 2, v[2:3]
	v_mul_lo_u32 v22, s14, v5
	v_mov_b32_e32 v81, s17
	v_add_co_u32_e32 v42, vcc, s16, v2
	v_pk_mov_b32 v[4:5], s[18:19], s[18:19] op_sel:[0,1]
	v_mul_lo_u32 v17, s15, v15
	v_addc_co_u32_e32 v1, vcc, v81, v3, vcc
	v_mad_u64_u32 v[50:51], s[0:1], s14, v15, v[4:5]
	v_add3_u32 v35, v17, v35, v16
	v_mul_lo_u32 v27, s15, v24
	v_add3_u32 v51, v17, v51, v16
	v_mad_u64_u32 v[56:57], s[0:1], s14, v24, v[4:5]
	v_mov_b32_e32 v16, s19
	v_add_co_u32_e32 v58, vcc, s18, v2
	v_add3_u32 v41, v27, v41, v25
	v_add3_u32 v57, v27, v57, v25
	v_addc_co_u32_e32 v27, vcc, v16, v3, vcc
	v_add_co_u32_e32 v2, vcc, 7, v43
	v_addc_co_u32_e32 v3, vcc, 0, v59, vcc
	v_mad_u64_u32 v[44:45], s[0:1], s14, v6, v[4:5]
	v_mad_u64_u32 v[46:47], s[0:1], s14, v9, v[4:5]
	;; [unrolled: 1-line block ×5, first 2 shown]
	v_mul_lo_u32 v4, s15, v2
	v_mul_lo_u32 v5, s14, v3
	v_mad_u64_u32 v[2:3], s[0:1], s14, v2, 0
	v_add3_u32 v3, v3, v5, v4
	v_add_co_u32_e32 v4, vcc, 6, v43
	v_mul_lo_u32 v8, s15, v6
	v_addc_co_u32_e32 v5, vcc, 0, v59, vcc
	v_add3_u32 v29, v8, v29, v7
	v_add3_u32 v45, v8, v45, v7
	v_mul_lo_u32 v6, s15, v4
	v_mul_lo_u32 v7, s14, v5
	v_mad_u64_u32 v[4:5], s[0:1], s14, v4, 0
	v_add3_u32 v5, v5, v7, v6
	v_add_co_u32_e32 v6, vcc, 5, v43
	v_addc_co_u32_e32 v7, vcc, 0, v59, vcc
	v_mul_lo_u32 v11, s15, v9
	v_mul_lo_u32 v8, s15, v6
	;; [unrolled: 1-line block ×3, first 2 shown]
	v_mad_u64_u32 v[6:7], s[0:1], s14, v6, 0
	v_add3_u32 v7, v7, v9, v8
	v_add_co_u32_e32 v8, vcc, 4, v43
	v_addc_co_u32_e32 v9, vcc, 0, v59, vcc
	v_add3_u32 v31, v11, v31, v10
	v_add3_u32 v47, v11, v47, v10
	v_mul_lo_u32 v10, s15, v8
	v_mul_lo_u32 v11, s14, v9
	v_mad_u64_u32 v[8:9], s[0:1], s14, v8, 0
	v_add3_u32 v9, v9, v11, v10
	v_add_co_u32_e32 v10, vcc, 3, v43
	v_mul_lo_u32 v14, s15, v12
	v_addc_co_u32_e32 v11, vcc, 0, v59, vcc
	v_add3_u32 v33, v14, v33, v13
	v_add3_u32 v49, v14, v49, v13
	v_mul_lo_u32 v12, s15, v10
	v_mul_lo_u32 v13, s14, v11
	v_mad_u64_u32 v[10:11], s[0:1], s14, v10, 0
	v_add3_u32 v11, v11, v13, v12
	v_add_co_u32_e32 v12, vcc, 2, v43
	v_addc_co_u32_e32 v13, vcc, 0, v59, vcc
	v_mul_lo_u32 v14, s15, v12
	v_mul_lo_u32 v15, s14, v13
	v_mad_u64_u32 v[12:13], s[0:1], s14, v12, 0
	v_add3_u32 v13, v13, v15, v14
	v_pk_mov_b32 v[14:15], s[14:15], s[14:15] op_sel:[0,1]
	v_lshlrev_b64 v[2:3], 2, v[2:3]
	v_mad_u64_u32 v[14:15], s[0:1], s14, v43, v[14:15]
	v_add3_u32 v15, v60, v15, v61
	v_add_co_u32_e32 v60, vcc, s16, v2
	v_addc_co_u32_e32 v43, vcc, v81, v3, vcc
	v_add_co_u32_e32 v62, vcc, s18, v2
	v_addc_co_u32_e32 v59, vcc, v16, v3, vcc
	v_lshlrev_b64 v[2:3], 2, v[4:5]
	v_add_co_u32_e32 v64, vcc, s16, v2
	v_addc_co_u32_e32 v61, vcc, v81, v3, vcc
	v_add_co_u32_e32 v66, vcc, s18, v2
	v_addc_co_u32_e32 v63, vcc, v16, v3, vcc
	v_lshlrev_b64 v[2:3], 2, v[6:7]
	v_add_co_u32_e32 v68, vcc, s16, v2
	v_addc_co_u32_e32 v65, vcc, v81, v3, vcc
	v_add_co_u32_e32 v70, vcc, s18, v2
	v_addc_co_u32_e32 v67, vcc, v16, v3, vcc
	v_lshlrev_b64 v[2:3], 2, v[8:9]
	v_add_co_u32_e32 v72, vcc, s16, v2
	v_addc_co_u32_e32 v69, vcc, v81, v3, vcc
	v_add_co_u32_e32 v74, vcc, s18, v2
	v_addc_co_u32_e32 v71, vcc, v16, v3, vcc
	v_lshlrev_b64 v[2:3], 2, v[10:11]
	v_add_co_u32_e32 v76, vcc, s16, v2
	v_addc_co_u32_e32 v73, vcc, v81, v3, vcc
	v_add_co_u32_e32 v78, vcc, s18, v2
	v_addc_co_u32_e32 v75, vcc, v16, v3, vcc
	v_lshlrev_b64 v[2:3], 2, v[12:13]
	v_add_co_u32_e32 v80, vcc, s16, v2
	v_addc_co_u32_e32 v77, vcc, v81, v3, vcc
	v_add_co_u32_e32 v82, vcc, s18, v2
	v_addc_co_u32_e32 v79, vcc, v16, v3, vcc
	v_lshlrev_b64 v[2:3], 2, v[14:15]
	v_add_co_u32_e32 v84, vcc, s16, v2
	v_addc_co_u32_e32 v81, vcc, v81, v3, vcc
	v_mbcnt_lo_u32_b32 v4, -1, 0
	v_add_co_u32_e32 v86, vcc, s18, v2
	v_and_b32_e32 v87, 0x3ff, v0
	s_mul_i32 s0, s15, s7
	s_mul_hi_u32 s1, s14, s7
	v_mbcnt_hi_u32_b32 v4, -1, v4
	v_mul_lo_u32 v20, s15, v18
	v_mul_lo_u32 v23, s15, v21
	v_addc_co_u32_e32 v83, vcc, v16, v3, vcc
	v_add_u32_e32 v2, s33, v87
	v_mov_b32_e32 v3, 0
	s_add_i32 s1, s1, s0
	s_mul_i32 s0, s14, s7
	v_lshlrev_b32_e32 v4, 2, v4
	v_add3_u32 v37, v20, v37, v19
	v_add3_u32 v39, v23, v39, v22
	;; [unrolled: 1-line block ×4, first 2 shown]
	s_mov_b32 s16, 0
	s_lshl_b64 s[24:25], s[0:1], 2
	v_and_b32_e32 v90, 0x100, v4
	v_mov_b32_e32 v91, 0
	v_lshlrev_b64 v[88:89], 2, v[2:3]
.LBB147_53:                             ; =>This Inner Loop Header: Depth=1
	v_pk_mov_b32 v[4:5], s[12:13], s[12:13] op_sel:[0,1]
	v_cmp_ge_i64_e32 vcc, s[8:9], v[4:5]
	v_mov_b32_e32 v2, s9
	v_add_co_u32_e64 v92, s[0:1], s8, v26
	v_addc_co_u32_e64 v93, s[0:1], 0, v2, s[0:1]
	s_cbranch_vccz .LBB147_75
; %bb.54:                               ;   in Loop: Header=BB147_53 Depth=1
	s_load_dword s0, s[2:3], 0xc
	v_mov_b32_e32 v94, 0
	s_waitcnt lgkmcnt(0)
	s_and_b32 s0, s0, 0xffff
	v_mad_u32_u24 v2, v85, s0, v87
	v_and_b32_e32 v2, 63, v2
	v_cmp_gt_u32_e32 vcc, 8, v2
	s_and_saveexec_b64 s[0:1], vcc
	s_cbranch_execz .LBB147_58
; %bb.55:                               ;   in Loop: Header=BB147_53 Depth=1
	v_add_co_u32_e32 v2, vcc, v92, v2
	v_addc_co_u32_e32 v5, vcc, 0, v93, vcc
	v_add_co_u32_e32 v4, vcc, 0xffffffc1, v2
	v_addc_co_u32_e32 v5, vcc, -1, v5, vcc
	v_cmp_gt_i64_e32 vcc, s[12:13], v[4:5]
	v_mov_b32_e32 v94, 0
	s_and_saveexec_b64 s[18:19], vcc
	s_cbranch_execz .LBB147_57
; %bb.56:                               ;   in Loop: Header=BB147_53 Depth=1
	v_lshlrev_b64 v[4:5], 2, v[4:5]
	v_mov_b32_e32 v2, s11
	v_add_co_u32_e32 v4, vcc, s10, v4
	v_addc_co_u32_e32 v5, vcc, v2, v5, vcc
	global_load_dword v94, v[4:5], off
.LBB147_57:                             ;   in Loop: Header=BB147_53 Depth=1
	s_or_b64 exec, exec, s[18:19]
.LBB147_58:                             ;   in Loop: Header=BB147_53 Depth=1
	s_or_b64 exec, exec, s[0:1]
	s_mov_b32 s17, s16
	s_mov_b32 s18, s16
	s_mov_b32 s19, s16
	s_mov_b32 s20, s16
	s_mov_b32 s21, s16
	s_mov_b32 s22, s16
	s_mov_b32 s23, s16
	v_pk_mov_b32 v[10:11], s[16:17], s[16:17] op_sel:[0,1]
	v_add_co_u32_e32 v4, vcc, 0xffffffc1, v92
	v_pk_mov_b32 v[16:17], s[22:23], s[22:23] op_sel:[0,1]
	v_addc_co_u32_e32 v5, vcc, -1, v93, vcc
	v_pk_mov_b32 v[12:13], s[18:19], s[18:19] op_sel:[0,1]
	v_pk_mov_b32 v[14:15], s[20:21], s[20:21] op_sel:[0,1]
	;; [unrolled: 1-line block ×3, first 2 shown]
	v_cmp_gt_i64_e32 vcc, s[12:13], v[4:5]
	v_pk_mov_b32 v[22:23], v[14:15], v[14:15] op_sel:[0,1]
	v_pk_mov_b32 v[20:21], v[12:13], v[12:13] op_sel:[0,1]
	;; [unrolled: 1-line block ×3, first 2 shown]
	s_and_saveexec_b64 s[0:1], vcc
	s_cbranch_execz .LBB147_60
; %bb.59:                               ;   in Loop: Header=BB147_53 Depth=1
	v_add_co_u32_e32 v4, vcc, v42, v88
	v_addc_co_u32_e32 v5, vcc, v1, v89, vcc
	global_load_dword v2, v[4:5], off
	v_add_co_u32_e32 v4, vcc, v58, v88
	v_addc_co_u32_e32 v5, vcc, v27, v89, vcc
	global_load_dword v10, v[4:5], off
	v_mov_b32_e32 v8, v3
	v_mov_b32_e32 v9, v3
	;; [unrolled: 1-line block ×6, first 2 shown]
	s_waitcnt vmcnt(1)
	v_pk_mov_b32 v[24:25], v[8:9], v[8:9] op_sel:[0,1]
	v_mov_b32_e32 v11, v3
	v_mov_b32_e32 v12, v3
	;; [unrolled: 1-line block ×7, first 2 shown]
	v_pk_mov_b32 v[22:23], v[6:7], v[6:7] op_sel:[0,1]
	v_pk_mov_b32 v[20:21], v[4:5], v[4:5] op_sel:[0,1]
	;; [unrolled: 1-line block ×3, first 2 shown]
.LBB147_60:                             ;   in Loop: Header=BB147_53 Depth=1
	s_or_b64 exec, exec, s[0:1]
	v_add_co_u32_e32 v4, vcc, 0xffffffc2, v92
	v_addc_co_u32_e32 v5, vcc, -1, v93, vcc
	v_cmp_gt_i64_e32 vcc, s[12:13], v[4:5]
	s_and_saveexec_b64 s[0:1], vcc
	s_cbranch_execz .LBB147_62
; %bb.61:                               ;   in Loop: Header=BB147_53 Depth=1
	v_add_co_u32_e32 v4, vcc, v84, v88
	v_addc_co_u32_e32 v5, vcc, v81, v89, vcc
	global_load_dword v19, v[4:5], off
	v_add_co_u32_e32 v4, vcc, v86, v88
	v_addc_co_u32_e32 v5, vcc, v83, v89, vcc
	global_load_dword v11, v[4:5], off
.LBB147_62:                             ;   in Loop: Header=BB147_53 Depth=1
	s_or_b64 exec, exec, s[0:1]
	v_add_co_u32_e32 v4, vcc, 0xffffffc3, v92
	v_addc_co_u32_e32 v5, vcc, -1, v93, vcc
	v_cmp_gt_i64_e32 vcc, s[12:13], v[4:5]
	s_and_saveexec_b64 s[0:1], vcc
	s_cbranch_execz .LBB147_64
; %bb.63:                               ;   in Loop: Header=BB147_53 Depth=1
	v_add_co_u32_e32 v4, vcc, v80, v88
	v_addc_co_u32_e32 v5, vcc, v77, v89, vcc
	global_load_dword v20, v[4:5], off
	v_add_co_u32_e32 v4, vcc, v82, v88
	v_addc_co_u32_e32 v5, vcc, v79, v89, vcc
	global_load_dword v12, v[4:5], off
.LBB147_64:                             ;   in Loop: Header=BB147_53 Depth=1
	;; [unrolled: 14-line block ×7, first 2 shown]
	s_or_b64 exec, exec, s[0:1]
	s_waitcnt vmcnt(0)
	ds_bpermute_b32 v4, v90, v94
	ds_bpermute_b32 v5, v90, v94 offset:4
	v_pk_mul_f32 v[8:9], v[14:15], v[22:23]
	ds_bpermute_b32 v14, v90, v94 offset:8
	ds_bpermute_b32 v15, v90, v94 offset:12
	v_pk_mul_f32 v[10:11], v[10:11], v[18:19]
	s_waitcnt lgkmcnt(2)
	v_pk_mul_f32 v[4:5], v[10:11], v[4:5]
	ds_bpermute_b32 v10, v90, v94 offset:16
	ds_bpermute_b32 v11, v90, v94 offset:20
	v_pk_mul_f32 v[12:13], v[12:13], v[20:21]
	v_add_f32_e32 v2, v91, v4
	v_add_f32_e32 v2, v2, v5
	s_waitcnt lgkmcnt(2)
	v_pk_mul_f32 v[4:5], v[12:13], v[14:15]
	ds_bpermute_b32 v12, v90, v94 offset:24
	ds_bpermute_b32 v13, v90, v94 offset:28
	v_add_f32_e32 v2, v2, v4
	v_add_f32_e32 v2, v2, v5
	s_waitcnt lgkmcnt(2)
	v_pk_mul_f32 v[4:5], v[8:9], v[10:11]
	v_pk_mul_f32 v[6:7], v[16:17], v[24:25]
	v_add_f32_e32 v2, v2, v4
	v_add_f32_e32 v2, v2, v5
	s_waitcnt lgkmcnt(0)
	v_pk_mul_f32 v[4:5], v[6:7], v[12:13]
	v_add_f32_e32 v2, v2, v4
	v_add_f32_e32 v2, v2, v5
	s_branch .LBB147_81
.LBB147_75:                             ;   in Loop: Header=BB147_53 Depth=1
                                        ; implicit-def: $vgpr2
	s_cbranch_execz .LBB147_81
; %bb.76:                               ;   in Loop: Header=BB147_53 Depth=1
	s_load_dword s0, s[2:3], 0x0
	s_waitcnt lgkmcnt(0)
	s_cmp_lt_u32 s6, s0
	s_cselect_b32 s0, 12, 18
	s_add_u32 s0, s2, s0
	s_addc_u32 s1, s3, 0
	global_load_ushort v2, v3, s[0:1]
	s_waitcnt vmcnt(0)
	v_mad_u32_u24 v2, v85, v2, v87
	v_and_b32_e32 v4, 63, v2
	v_cmp_gt_u32_e32 vcc, 8, v4
	v_mov_b32_e32 v2, 0
	s_and_saveexec_b64 s[0:1], vcc
	s_cbranch_execz .LBB147_80
; %bb.77:                               ;   in Loop: Header=BB147_53 Depth=1
	v_add_co_u32_e32 v2, vcc, v92, v4
	v_addc_co_u32_e32 v5, vcc, 0, v93, vcc
	v_add_co_u32_e32 v4, vcc, 0xffffffc1, v2
	v_addc_co_u32_e32 v5, vcc, -1, v5, vcc
	v_cmp_gt_i64_e32 vcc, s[12:13], v[4:5]
	v_mov_b32_e32 v2, 0
	s_and_saveexec_b64 s[18:19], vcc
	s_cbranch_execz .LBB147_79
; %bb.78:                               ;   in Loop: Header=BB147_53 Depth=1
	v_lshlrev_b64 v[4:5], 2, v[4:5]
	v_mov_b32_e32 v2, s11
	v_add_co_u32_e32 v4, vcc, s10, v4
	v_addc_co_u32_e32 v5, vcc, v2, v5, vcc
	global_load_dword v2, v[4:5], off
.LBB147_79:                             ;   in Loop: Header=BB147_53 Depth=1
	s_or_b64 exec, exec, s[18:19]
.LBB147_80:                             ;   in Loop: Header=BB147_53 Depth=1
	s_or_b64 exec, exec, s[0:1]
	v_add_co_u32_e32 v4, vcc, v42, v88
	v_addc_co_u32_e32 v5, vcc, v1, v89, vcc
	v_add_co_u32_e32 v6, vcc, v58, v88
	v_addc_co_u32_e32 v7, vcc, v27, v89, vcc
	;; [unrolled: 2-line block ×3, first 2 shown]
	global_load_dword v4, v[4:5], off
	s_nop 0
	global_load_dword v5, v[8:9], off
	v_add_co_u32_e32 v8, vcc, v44, v88
	v_addc_co_u32_e32 v9, vcc, v45, v89, vcc
	global_load_dword v6, v[6:7], off
	s_nop 0
	global_load_dword v7, v[8:9], off
	v_add_co_u32_e32 v8, vcc, v30, v88
	v_addc_co_u32_e32 v9, vcc, v31, v89, vcc
	v_add_co_u32_e32 v10, vcc, v46, v88
	v_addc_co_u32_e32 v11, vcc, v47, v89, vcc
	;; [unrolled: 2-line block ×3, first 2 shown]
	global_load_dword v8, v[8:9], off
	s_waitcnt vmcnt(1)
	v_pk_mul_f32 v[4:5], v[4:5], v[6:7]
	global_load_dword v9, v[12:13], off
	v_add_co_u32_e32 v12, vcc, v48, v88
	v_addc_co_u32_e32 v13, vcc, v49, v89, vcc
	global_load_dword v10, v[10:11], off
	ds_bpermute_b32 v6, v90, v2 offset:8
	global_load_dword v11, v[12:13], off
	v_add_co_u32_e32 v12, vcc, v34, v88
	v_addc_co_u32_e32 v13, vcc, v35, v89, vcc
	v_add_co_u32_e32 v14, vcc, v50, v88
	v_addc_co_u32_e32 v15, vcc, v51, v89, vcc
	;; [unrolled: 2-line block ×3, first 2 shown]
	global_load_dword v12, v[12:13], off
	ds_bpermute_b32 v7, v90, v2 offset:12
	global_load_dword v13, v[16:17], off
	v_add_co_u32_e32 v16, vcc, v52, v88
	v_addc_co_u32_e32 v17, vcc, v53, v89, vcc
	global_load_dword v14, v[14:15], off
	s_nop 0
	global_load_dword v15, v[16:17], off
	v_add_co_u32_e32 v16, vcc, v38, v88
	v_addc_co_u32_e32 v17, vcc, v39, v89, vcc
	v_add_co_u32_e32 v18, vcc, v54, v88
	v_addc_co_u32_e32 v19, vcc, v55, v89, vcc
	;; [unrolled: 2-line block ×3, first 2 shown]
	global_load_dword v16, v[16:17], off
	s_nop 0
	global_load_dword v17, v[20:21], off
	v_add_co_u32_e32 v20, vcc, v56, v88
	v_addc_co_u32_e32 v21, vcc, v57, v89, vcc
	global_load_dword v18, v[18:19], off
	s_nop 0
	global_load_dword v19, v[20:21], off
	ds_bpermute_b32 v20, v90, v2
	ds_bpermute_b32 v21, v90, v2 offset:4
	s_waitcnt lgkmcnt(0)
	v_pk_mul_f32 v[4:5], v[4:5], v[20:21]
	v_add_f32_e32 v4, v91, v4
	v_add_f32_e32 v20, v4, v5
	s_waitcnt vmcnt(8)
	v_pk_mul_f32 v[4:5], v[8:9], v[10:11]
	v_pk_mul_f32 v[4:5], v[4:5], v[6:7]
	ds_bpermute_b32 v6, v90, v2 offset:16
	ds_bpermute_b32 v7, v90, v2 offset:20
	v_add_f32_e32 v4, v20, v4
	ds_bpermute_b32 v8, v90, v2 offset:24
	ds_bpermute_b32 v9, v90, v2 offset:28
	v_add_f32_e32 v10, v4, v5
	s_waitcnt vmcnt(4)
	v_pk_mul_f32 v[4:5], v[12:13], v[14:15]
	s_waitcnt lgkmcnt(2)
	v_pk_mul_f32 v[4:5], v[4:5], v[6:7]
	v_add_f32_e32 v2, v10, v4
	v_add_f32_e32 v2, v2, v5
	s_waitcnt vmcnt(0)
	v_pk_mul_f32 v[4:5], v[16:17], v[18:19]
	s_waitcnt lgkmcnt(0)
	v_pk_mul_f32 v[4:5], v[4:5], v[8:9]
	v_add_f32_e32 v2, v2, v4
	v_add_f32_e32 v2, v2, v5
.LBB147_81:                             ;   in Loop: Header=BB147_53 Depth=1
	s_add_u32 s28, s28, s7
	s_addc_u32 s29, s29, 0
	v_pk_mov_b32 v[4:5], s[12:13], s[12:13] op_sel:[0,1]
	v_cmp_ge_i64_e32 vcc, s[28:29], v[4:5]
	v_mov_b32_e32 v4, s25
	v_add_co_u32_e64 v28, s[0:1], s24, v28
	v_addc_co_u32_e64 v29, s[0:1], v29, v4, s[0:1]
	v_add_co_u32_e64 v30, s[0:1], s24, v30
	v_addc_co_u32_e64 v31, s[0:1], v31, v4, s[0:1]
	;; [unrolled: 2-line block ×29, first 2 shown]
	v_add_co_u32_e64 v86, s[0:1], s24, v86
	s_add_u32 s8, s8, s7
	v_addc_co_u32_e64 v83, s[0:1], v83, v4, s[0:1]
	s_addc_u32 s9, s9, 0
	s_cbranch_vccnz .LBB147_83
; %bb.82:                               ;   in Loop: Header=BB147_53 Depth=1
	v_mov_b32_e32 v91, v2
	s_branch .LBB147_53
.LBB147_83:
	v_bfe_u32 v1, v0, 10, 10
	v_and_b32_e32 v3, 0x3ff, v0
	s_movk_i32 s0, 0x41
	v_mad_u32_u24 v0, v1, s0, v3
	v_lshl_add_u32 v0, v0, 2, 0
	ds_write_b32 v0, v2
	v_mov_b32_e32 v2, 0
	ds_write_b32 v0, v2 offset:2080
	v_lshrrev_b32_e32 v0, 6, v3
	v_add_u32_e32 v2, v0, v1
	s_mov_b32 s7, 0
	v_cmp_gt_u32_e32 vcc, 64, v2
	s_waitcnt lgkmcnt(0)
	s_barrier
	s_and_saveexec_b64 s[0:1], vcc
	s_cbranch_execz .LBB147_90
; %bb.84:
	v_mbcnt_lo_u32_b32 v5, -1, 0
	v_mbcnt_hi_u32_b32 v6, -1, v5
	v_and_b32_e32 v4, 63, v3
	v_and_b32_e32 v5, 64, v6
	v_cmp_gt_u32_e32 vcc, 8, v4
	v_add_u32_e32 v7, 64, v5
	v_cmp_ne_u32_e64 s[0:1], 0, v3
	v_mul_u32_u24_e32 v3, 0x104, v4
	v_xor_b32_e32 v4, 4, v6
	v_cmp_lt_i32_e64 s[2:3], v4, v7
	v_xor_b32_e32 v5, 2, v6
	v_cndmask_b32_e64 v4, v6, v4, s[2:3]
	v_cmp_lt_i32_e64 s[2:3], v5, v7
	v_xor_b32_e32 v8, 1, v6
	v_cndmask_b32_e64 v5, v6, v5, s[2:3]
	v_cmp_lt_i32_e64 s[2:3], v8, v7
	s_load_dwordx2 s[10:11], s[4:5], 0x30
	v_cndmask_b32_e64 v6, v6, v8, s[2:3]
	v_add_co_u32_e64 v0, s[2:3], v0, v1
	s_lshl_b64 s[4:5], s[6:7], 6
	v_lshlrev_b32_e32 v2, 2, v2
	v_addc_co_u32_e64 v1, s[2:3], 0, 0, s[2:3]
	v_add3_u32 v7, v3, v2, 0
	v_mov_b32_e32 v3, s5
	v_add_co_u32_e64 v2, s[2:3], s4, v0
	v_addc_co_u32_e64 v3, s[2:3], v1, v3, s[2:3]
	v_lshlrev_b64 v[2:3], 2, v[2:3]
	s_waitcnt lgkmcnt(0)
	s_cmp_eq_u64 s[10:11], 0
	v_mov_b32_e32 v8, s11
	v_add_co_u32_e64 v2, s[2:3], s10, v2
	s_mov_b64 s[6:7], 0
	s_cselect_b64 s[8:9], -1, 0
	v_lshlrev_b32_e32 v4, 2, v4
	v_lshlrev_b32_e32 v5, 2, v5
	;; [unrolled: 1-line block ×3, first 2 shown]
	v_addc_co_u32_e64 v3, s[2:3], v8, v3, s[2:3]
	v_mov_b32_e32 v8, s5
                                        ; implicit-def: $vgpr9
	s_branch .LBB147_86
.LBB147_85:                             ;   in Loop: Header=BB147_86 Depth=1
	s_or_b64 exec, exec, s[2:3]
	v_add_co_u32_e64 v0, s[2:3], 8, v0
	v_addc_co_u32_e64 v1, s[2:3], 0, v1, s[2:3]
	v_add_u32_e32 v10, -8, v0
	v_cmp_lt_u32_e64 s[2:3], 55, v10
	s_or_b64 s[6:7], s[2:3], s[6:7]
	v_add_co_u32_e64 v2, s[2:3], 32, v2
	v_add_u32_e32 v7, 32, v7
	v_addc_co_u32_e64 v3, s[2:3], 0, v3, s[2:3]
	s_andn2_b64 exec, exec, s[6:7]
	s_cbranch_execz .LBB147_90
.LBB147_86:                             ; =>This Inner Loop Header: Depth=1
	s_and_saveexec_b64 s[2:3], vcc
	s_cbranch_execz .LBB147_88
; %bb.87:                               ;   in Loop: Header=BB147_86 Depth=1
	ds_read_b32 v9, v7
.LBB147_88:                             ;   in Loop: Header=BB147_86 Depth=1
	s_or_b64 exec, exec, s[2:3]
	s_waitcnt lgkmcnt(0)
	ds_bpermute_b32 v10, v4, v9
	s_waitcnt lgkmcnt(0)
	v_add_f32_e32 v9, v9, v10
	ds_bpermute_b32 v10, v5, v9
	s_waitcnt lgkmcnt(0)
	v_add_f32_e32 v9, v9, v10
	ds_bpermute_b32 v12, v6, v9
	v_add_co_u32_e64 v10, s[2:3], s4, v0
	v_addc_co_u32_e64 v11, s[2:3], v8, v1, s[2:3]
	v_cmp_le_i64_e64 s[2:3], s[14:15], v[10:11]
	s_or_b64 s[2:3], s[0:1], s[2:3]
	s_or_b64 s[2:3], s[8:9], s[2:3]
	s_waitcnt lgkmcnt(0)
	v_add_f32_e32 v9, v9, v12
	s_xor_b64 s[10:11], s[2:3], -1
	s_and_saveexec_b64 s[2:3], s[10:11]
	s_cbranch_execz .LBB147_85
; %bb.89:                               ;   in Loop: Header=BB147_86 Depth=1
	global_store_dword v[2:3], v9, off
	s_branch .LBB147_85
.LBB147_90:
	s_endpgm
	.section	.rodata,"a",@progbits
	.p2align	6, 0x0
	.amdhsa_kernel _ZN2at6native12_GLOBAL__N_135GammaBetaBackwardCUDAKernelTemplateIffLj64ELj8ELj64ELb0ELb0ELb1EEEvllPKT_S5_PKT0_S8_PS3_S9_
		.amdhsa_group_segment_fixed_size 0
		.amdhsa_private_segment_fixed_size 0
		.amdhsa_kernarg_size 320
		.amdhsa_user_sgpr_count 6
		.amdhsa_user_sgpr_private_segment_buffer 1
		.amdhsa_user_sgpr_dispatch_ptr 0
		.amdhsa_user_sgpr_queue_ptr 0
		.amdhsa_user_sgpr_kernarg_segment_ptr 1
		.amdhsa_user_sgpr_dispatch_id 0
		.amdhsa_user_sgpr_flat_scratch_init 0
		.amdhsa_user_sgpr_kernarg_preload_length 0
		.amdhsa_user_sgpr_kernarg_preload_offset 0
		.amdhsa_user_sgpr_private_segment_size 0
		.amdhsa_uses_dynamic_stack 0
		.amdhsa_system_sgpr_private_segment_wavefront_offset 0
		.amdhsa_system_sgpr_workgroup_id_x 1
		.amdhsa_system_sgpr_workgroup_id_y 1
		.amdhsa_system_sgpr_workgroup_id_z 0
		.amdhsa_system_sgpr_workgroup_info 0
		.amdhsa_system_vgpr_workitem_id 1
		.amdhsa_next_free_vgpr 95
		.amdhsa_next_free_sgpr 42
		.amdhsa_accum_offset 96
		.amdhsa_reserve_vcc 1
		.amdhsa_reserve_flat_scratch 0
		.amdhsa_float_round_mode_32 0
		.amdhsa_float_round_mode_16_64 0
		.amdhsa_float_denorm_mode_32 3
		.amdhsa_float_denorm_mode_16_64 3
		.amdhsa_dx10_clamp 1
		.amdhsa_ieee_mode 1
		.amdhsa_fp16_overflow 0
		.amdhsa_tg_split 0
		.amdhsa_exception_fp_ieee_invalid_op 0
		.amdhsa_exception_fp_denorm_src 0
		.amdhsa_exception_fp_ieee_div_zero 0
		.amdhsa_exception_fp_ieee_overflow 0
		.amdhsa_exception_fp_ieee_underflow 0
		.amdhsa_exception_fp_ieee_inexact 0
		.amdhsa_exception_int_div_zero 0
	.end_amdhsa_kernel
	.section	.text._ZN2at6native12_GLOBAL__N_135GammaBetaBackwardCUDAKernelTemplateIffLj64ELj8ELj64ELb0ELb0ELb1EEEvllPKT_S5_PKT0_S8_PS3_S9_,"axG",@progbits,_ZN2at6native12_GLOBAL__N_135GammaBetaBackwardCUDAKernelTemplateIffLj64ELj8ELj64ELb0ELb0ELb1EEEvllPKT_S5_PKT0_S8_PS3_S9_,comdat
.Lfunc_end147:
	.size	_ZN2at6native12_GLOBAL__N_135GammaBetaBackwardCUDAKernelTemplateIffLj64ELj8ELj64ELb0ELb0ELb1EEEvllPKT_S5_PKT0_S8_PS3_S9_, .Lfunc_end147-_ZN2at6native12_GLOBAL__N_135GammaBetaBackwardCUDAKernelTemplateIffLj64ELj8ELj64ELb0ELb0ELb1EEEvllPKT_S5_PKT0_S8_PS3_S9_
                                        ; -- End function
	.section	.AMDGPU.csdata,"",@progbits
; Kernel info:
; codeLenInByte = 6664
; NumSgprs: 46
; NumVgprs: 95
; NumAgprs: 0
; TotalNumVgprs: 95
; ScratchSize: 0
; MemoryBound: 0
; FloatMode: 240
; IeeeMode: 1
; LDSByteSize: 0 bytes/workgroup (compile time only)
; SGPRBlocks: 5
; VGPRBlocks: 11
; NumSGPRsForWavesPerEU: 46
; NumVGPRsForWavesPerEU: 95
; AccumOffset: 96
; Occupancy: 5
; WaveLimiterHint : 0
; COMPUTE_PGM_RSRC2:SCRATCH_EN: 0
; COMPUTE_PGM_RSRC2:USER_SGPR: 6
; COMPUTE_PGM_RSRC2:TRAP_HANDLER: 0
; COMPUTE_PGM_RSRC2:TGID_X_EN: 1
; COMPUTE_PGM_RSRC2:TGID_Y_EN: 1
; COMPUTE_PGM_RSRC2:TGID_Z_EN: 0
; COMPUTE_PGM_RSRC2:TIDIG_COMP_CNT: 1
; COMPUTE_PGM_RSRC3_GFX90A:ACCUM_OFFSET: 23
; COMPUTE_PGM_RSRC3_GFX90A:TG_SPLIT: 0
	.section	.text._ZN2at6native12_GLOBAL__N_135GammaBetaBackwardCUDAKernelTemplateIffLj64ELj16ELj128ELb0ELb1ELb1EEEvllPKT_S5_PKT0_S8_PS3_S9_,"axG",@progbits,_ZN2at6native12_GLOBAL__N_135GammaBetaBackwardCUDAKernelTemplateIffLj64ELj16ELj128ELb0ELb1ELb1EEEvllPKT_S5_PKT0_S8_PS3_S9_,comdat
	.globl	_ZN2at6native12_GLOBAL__N_135GammaBetaBackwardCUDAKernelTemplateIffLj64ELj16ELj128ELb0ELb1ELb1EEEvllPKT_S5_PKT0_S8_PS3_S9_ ; -- Begin function _ZN2at6native12_GLOBAL__N_135GammaBetaBackwardCUDAKernelTemplateIffLj64ELj16ELj128ELb0ELb1ELb1EEEvllPKT_S5_PKT0_S8_PS3_S9_
	.p2align	8
	.type	_ZN2at6native12_GLOBAL__N_135GammaBetaBackwardCUDAKernelTemplateIffLj64ELj16ELj128ELb0ELb1ELb1EEEvllPKT_S5_PKT0_S8_PS3_S9_,@function
_ZN2at6native12_GLOBAL__N_135GammaBetaBackwardCUDAKernelTemplateIffLj64ELj16ELj128ELb0ELb1ELb1EEEvllPKT_S5_PKT0_S8_PS3_S9_: ; @_ZN2at6native12_GLOBAL__N_135GammaBetaBackwardCUDAKernelTemplateIffLj64ELj16ELj128ELb0ELb1ELb1EEEvllPKT_S5_PKT0_S8_PS3_S9_
; %bb.0:
	s_load_dwordx4 s[8:11], s[4:5], 0x0
	s_lshl_b32 s16, s7, 7
	s_mov_b32 s17, 0
	v_bfe_u32 v11, v0, 10, 10
	s_waitcnt lgkmcnt(0)
	v_pk_mov_b32 v[2:3], s[8:9], s[8:9] op_sel:[0,1]
	v_cmp_lt_i64_e32 vcc, s[16:17], v[2:3]
	s_cbranch_vccnz .LBB148_2
; %bb.1:
	s_mov_b64 s[0:1], 0
	v_bfe_u32 v5, v0, 10, 10
	s_branch .LBB148_3
.LBB148_2:
	s_mov_b64 s[0:1], -1
                                        ; implicit-def: $vgpr5
.LBB148_3:
	s_load_dwordx2 s[2:3], s[4:5], 0x30
	v_and_b32_e32 v6, 0x3ff, v0
	s_andn2_b64 vcc, exec, s[0:1]
	v_mov_b32_e32 v1, s17
	v_mbcnt_lo_u32_b32 v10, -1, 0
	s_cbranch_vccnz .LBB148_11
; %bb.4:
	s_load_dword s0, s[4:5], 0x4c
	s_load_dword s7, s[4:5], 0x44
	s_load_dwordx4 s[12:15], s[4:5], 0x10
	s_load_dwordx2 s[18:19], s[4:5], 0x28
	v_mbcnt_hi_u32_b32 v4, -1, v10
	v_lshlrev_b32_e32 v2, 3, v11
	s_waitcnt lgkmcnt(0)
	s_and_b32 s0, s0, 0xffff
	v_lshlrev_b32_e32 v4, 2, v4
	v_mad_u32_u24 v0, v11, s0, v6
	v_and_b32_e32 v12, 0x100, v4
	v_mov_b32_e32 v4, s17
	v_add_co_u32_e32 v7, vcc, s16, v2
	v_and_b32_e32 v3, 63, v0
	v_addc_co_u32_e32 v8, vcc, 0, v4, vcc
	v_add_co_u32_e32 v2, vcc, v7, v3
	v_cmp_gt_u32_e64 s[0:1], 8, v3
	v_addc_co_u32_e32 v3, vcc, 0, v8, vcc
	v_lshlrev_b64 v[4:5], 2, v[2:3]
	v_mov_b32_e32 v9, s19
	v_add_co_u32_e32 v4, vcc, s18, v4
	s_lshl_b32 s4, s7, 7
	v_addc_co_u32_e32 v5, vcc, v9, v5, vcc
	v_mul_lo_u32 v20, s11, v7
	v_mul_lo_u32 v21, s10, v8
	v_mad_u64_u32 v[8:9], s[20:21], s10, v7, 0
	v_mov_b32_e32 v1, 0
	v_lshl_add_u32 v0, s6, 6, v6
	v_add3_u32 v9, v9, v21, v20
	s_mul_i32 s7, s11, s4
	s_mul_hi_u32 s20, s10, s4
	s_mov_b32 s5, 0
	v_lshlrev_b64 v[8:9], 2, v[8:9]
	v_lshlrev_b64 v[20:21], 2, v[0:1]
	s_add_i32 s21, s20, s7
	s_mul_i32 s20, s10, s4
	s_lshl_b64 s[18:19], s[4:5], 2
	v_add_co_u32_e32 v0, vcc, v8, v20
	s_lshl_b64 s[20:21], s[20:21], 2
	s_lshl_b64 s[10:11], s[10:11], 2
	v_or_b32_e32 v13, 4, v12
	v_or_b32_e32 v14, 8, v12
	;; [unrolled: 1-line block ×7, first 2 shown]
	v_addc_co_u32_e32 v7, vcc, v9, v21, vcc
	v_mov_b32_e32 v20, s13
	v_mov_b32_e32 v21, s15
	;; [unrolled: 1-line block ×6, first 2 shown]
	v_pk_mov_b32 v[8:9], s[8:9], s[8:9] op_sel:[0,1]
	s_branch .LBB148_7
.LBB148_5:                              ;   in Loop: Header=BB148_7 Depth=1
	s_or_b64 exec, exec, s[24:25]
.LBB148_6:                              ;   in Loop: Header=BB148_7 Depth=1
	s_or_b64 exec, exec, s[22:23]
	v_add_co_u32_e32 v28, vcc, s12, v0
	v_addc_co_u32_e32 v29, vcc, v20, v7, vcc
	v_add_co_u32_e32 v32, vcc, s14, v0
	v_addc_co_u32_e32 v33, vcc, v21, v7, vcc
	global_load_dword v30, v[28:29], off
	v_add_co_u32_e32 v28, vcc, s10, v28
	v_addc_co_u32_e32 v29, vcc, v29, v22, vcc
	global_load_dword v34, v[32:33], off
	;; [unrolled: 3-line block ×15, first 2 shown]
	global_load_dword v47, v[28:29], off
	s_waitcnt vmcnt(16)
	ds_bpermute_b32 v28, v12, v26
	ds_bpermute_b32 v29, v13, v26
	;; [unrolled: 1-line block ×4, first 2 shown]
	v_add_co_u32_e32 v4, vcc, s18, v4
	v_addc_co_u32_e32 v5, vcc, v5, v23, vcc
	v_add_co_u32_e32 v2, vcc, s4, v2
	v_addc_co_u32_e32 v3, vcc, v3, v24, vcc
	s_add_u32 s16, s16, s4
	v_add_co_u32_e32 v0, vcc, s20, v0
	s_addc_u32 s17, s17, 0
	v_addc_co_u32_e32 v7, vcc, v7, v25, vcc
	v_cmp_lt_i64_e32 vcc, s[16:17], v[8:9]
	s_and_b64 vcc, exec, vcc
	s_waitcnt vmcnt(12)
	v_pk_mul_f32 v[30:31], v[30:31], v[34:35]
	s_waitcnt lgkmcnt(2)
	v_pk_mul_f32 v[28:29], v[30:31], v[28:29]
	v_add_f32_e32 v1, v1, v28
	ds_bpermute_b32 v30, v16, v26
	ds_bpermute_b32 v31, v17, v26
	v_add_f32_e32 v1, v1, v29
	s_waitcnt vmcnt(8)
	v_pk_mul_f32 v[28:29], v[36:37], v[38:39]
	s_waitcnt lgkmcnt(2)
	v_pk_mul_f32 v[28:29], v[28:29], v[32:33]
	v_add_f32_e32 v1, v1, v28
	ds_bpermute_b32 v32, v18, v26
	ds_bpermute_b32 v33, v19, v26
	v_add_f32_e32 v1, v1, v29
	s_waitcnt vmcnt(4)
	v_pk_mul_f32 v[28:29], v[40:41], v[42:43]
	s_waitcnt lgkmcnt(2)
	v_pk_mul_f32 v[26:27], v[28:29], v[30:31]
	v_add_f32_e32 v1, v1, v26
	v_add_f32_e32 v1, v1, v27
	s_waitcnt vmcnt(0)
	v_pk_mul_f32 v[26:27], v[44:45], v[46:47]
	s_waitcnt lgkmcnt(0)
	v_pk_mul_f32 v[26:27], v[26:27], v[32:33]
	v_add_f32_e32 v1, v1, v26
	v_add_f32_e32 v1, v1, v27
	s_cbranch_vccz .LBB148_10
.LBB148_7:                              ; =>This Inner Loop Header: Depth=1
	v_mov_b32_e32 v26, 0
	s_and_saveexec_b64 s[22:23], s[0:1]
	s_cbranch_execz .LBB148_6
; %bb.8:                                ;   in Loop: Header=BB148_7 Depth=1
	v_cmp_gt_i64_e32 vcc, s[8:9], v[2:3]
	v_mov_b32_e32 v26, 0
	s_and_saveexec_b64 s[24:25], vcc
	s_cbranch_execz .LBB148_5
; %bb.9:                                ;   in Loop: Header=BB148_7 Depth=1
	global_load_dword v26, v[4:5], off
	s_branch .LBB148_5
.LBB148_10:
	v_mov_b32_e32 v5, v11
.LBB148_11:
	s_movk_i32 s0, 0x41
	v_mad_u32_u24 v0, v5, s0, v6
	v_lshl_add_u32 v0, v0, 2, 0
	ds_write_b32 v0, v1
	v_mov_b32_e32 v1, 0
	ds_write_b32 v0, v1 offset:4160
	v_lshrrev_b32_e32 v0, 6, v6
	v_add_u32_e32 v1, v0, v5
	s_mov_b32 s7, 0
	v_cmp_gt_u32_e32 vcc, 64, v1
	s_waitcnt lgkmcnt(0)
	s_barrier
	s_and_saveexec_b64 s[0:1], vcc
	s_cbranch_execz .LBB148_18
; %bb.12:
	v_mbcnt_hi_u32_b32 v7, -1, v10
	v_and_b32_e32 v2, 63, v6
	v_and_b32_e32 v3, 64, v7
	s_cmp_lg_u64 s[2:3], 0
	v_cmp_gt_u32_e32 vcc, 16, v2
	v_add_u32_e32 v8, 64, v3
	v_cmp_eq_u32_e64 s[0:1], 0, v6
	s_cselect_b64 s[8:9], -1, 0
	v_mul_u32_u24_e32 v9, 0x104, v2
	v_xor_b32_e32 v2, 8, v7
	s_and_b64 s[8:9], s[0:1], s[8:9]
	v_cmp_lt_i32_e64 s[0:1], v2, v8
	v_xor_b32_e32 v3, 4, v7
	v_cndmask_b32_e64 v2, v7, v2, s[0:1]
	v_cmp_lt_i32_e64 s[0:1], v3, v8
	v_xor_b32_e32 v4, 2, v7
	v_cndmask_b32_e64 v3, v7, v3, s[0:1]
	;; [unrolled: 3-line block ×3, first 2 shown]
	v_cmp_lt_i32_e64 s[0:1], v6, v8
	v_cndmask_b32_e64 v6, v7, v6, s[0:1]
	v_add_co_u32_e64 v0, s[0:1], v0, v5
	s_lshl_b64 s[6:7], s[6:7], 8
	v_lshlrev_b32_e32 v7, 2, v1
	v_add_u32_e32 v8, -16, v1
	v_addc_co_u32_e64 v1, s[0:1], 0, 0, s[0:1]
	s_add_u32 s0, s2, s6
	v_lshlrev_b64 v[0:1], 2, v[0:1]
	s_addc_u32 s1, s3, s7
	v_mov_b32_e32 v5, s1
	v_add_co_u32_e64 v0, s[0:1], s0, v0
	s_mov_b64 s[4:5], 0
	v_lshlrev_b32_e32 v2, 2, v2
	v_lshlrev_b32_e32 v3, 2, v3
	;; [unrolled: 1-line block ×4, first 2 shown]
	v_add3_u32 v7, v9, v7, 0
	v_addc_co_u32_e64 v1, s[0:1], v5, v1, s[0:1]
                                        ; implicit-def: $vgpr5
	s_branch .LBB148_14
.LBB148_13:                             ;   in Loop: Header=BB148_14 Depth=1
	s_or_b64 exec, exec, s[0:1]
	v_add_u32_e32 v8, 16, v8
	v_cmp_lt_u32_e64 s[0:1], 47, v8
	s_or_b64 s[4:5], s[0:1], s[4:5]
	v_add_co_u32_e64 v0, s[0:1], 64, v0
	v_add_u32_e32 v7, 64, v7
	v_addc_co_u32_e64 v1, s[0:1], 0, v1, s[0:1]
	s_andn2_b64 exec, exec, s[4:5]
	s_cbranch_execz .LBB148_18
.LBB148_14:                             ; =>This Inner Loop Header: Depth=1
	s_and_saveexec_b64 s[0:1], vcc
	s_cbranch_execz .LBB148_16
; %bb.15:                               ;   in Loop: Header=BB148_14 Depth=1
	ds_read_b32 v5, v7
.LBB148_16:                             ;   in Loop: Header=BB148_14 Depth=1
	s_or_b64 exec, exec, s[0:1]
	s_waitcnt lgkmcnt(0)
	ds_bpermute_b32 v9, v2, v5
	s_waitcnt lgkmcnt(0)
	v_add_f32_e32 v5, v5, v9
	ds_bpermute_b32 v9, v3, v5
	s_waitcnt lgkmcnt(0)
	v_add_f32_e32 v5, v5, v9
	;; [unrolled: 3-line block ×4, first 2 shown]
	s_and_saveexec_b64 s[0:1], s[8:9]
	s_cbranch_execz .LBB148_13
; %bb.17:                               ;   in Loop: Header=BB148_14 Depth=1
	global_store_dword v[0:1], v5, off
	s_branch .LBB148_13
.LBB148_18:
	s_endpgm
	.section	.rodata,"a",@progbits
	.p2align	6, 0x0
	.amdhsa_kernel _ZN2at6native12_GLOBAL__N_135GammaBetaBackwardCUDAKernelTemplateIffLj64ELj16ELj128ELb0ELb1ELb1EEEvllPKT_S5_PKT0_S8_PS3_S9_
		.amdhsa_group_segment_fixed_size 0
		.amdhsa_private_segment_fixed_size 0
		.amdhsa_kernarg_size 320
		.amdhsa_user_sgpr_count 6
		.amdhsa_user_sgpr_private_segment_buffer 1
		.amdhsa_user_sgpr_dispatch_ptr 0
		.amdhsa_user_sgpr_queue_ptr 0
		.amdhsa_user_sgpr_kernarg_segment_ptr 1
		.amdhsa_user_sgpr_dispatch_id 0
		.amdhsa_user_sgpr_flat_scratch_init 0
		.amdhsa_user_sgpr_kernarg_preload_length 0
		.amdhsa_user_sgpr_kernarg_preload_offset 0
		.amdhsa_user_sgpr_private_segment_size 0
		.amdhsa_uses_dynamic_stack 0
		.amdhsa_system_sgpr_private_segment_wavefront_offset 0
		.amdhsa_system_sgpr_workgroup_id_x 1
		.amdhsa_system_sgpr_workgroup_id_y 1
		.amdhsa_system_sgpr_workgroup_id_z 0
		.amdhsa_system_sgpr_workgroup_info 0
		.amdhsa_system_vgpr_workitem_id 1
		.amdhsa_next_free_vgpr 48
		.amdhsa_next_free_sgpr 26
		.amdhsa_accum_offset 48
		.amdhsa_reserve_vcc 1
		.amdhsa_reserve_flat_scratch 0
		.amdhsa_float_round_mode_32 0
		.amdhsa_float_round_mode_16_64 0
		.amdhsa_float_denorm_mode_32 3
		.amdhsa_float_denorm_mode_16_64 3
		.amdhsa_dx10_clamp 1
		.amdhsa_ieee_mode 1
		.amdhsa_fp16_overflow 0
		.amdhsa_tg_split 0
		.amdhsa_exception_fp_ieee_invalid_op 0
		.amdhsa_exception_fp_denorm_src 0
		.amdhsa_exception_fp_ieee_div_zero 0
		.amdhsa_exception_fp_ieee_overflow 0
		.amdhsa_exception_fp_ieee_underflow 0
		.amdhsa_exception_fp_ieee_inexact 0
		.amdhsa_exception_int_div_zero 0
	.end_amdhsa_kernel
	.section	.text._ZN2at6native12_GLOBAL__N_135GammaBetaBackwardCUDAKernelTemplateIffLj64ELj16ELj128ELb0ELb1ELb1EEEvllPKT_S5_PKT0_S8_PS3_S9_,"axG",@progbits,_ZN2at6native12_GLOBAL__N_135GammaBetaBackwardCUDAKernelTemplateIffLj64ELj16ELj128ELb0ELb1ELb1EEEvllPKT_S5_PKT0_S8_PS3_S9_,comdat
.Lfunc_end148:
	.size	_ZN2at6native12_GLOBAL__N_135GammaBetaBackwardCUDAKernelTemplateIffLj64ELj16ELj128ELb0ELb1ELb1EEEvllPKT_S5_PKT0_S8_PS3_S9_, .Lfunc_end148-_ZN2at6native12_GLOBAL__N_135GammaBetaBackwardCUDAKernelTemplateIffLj64ELj16ELj128ELb0ELb1ELb1EEEvllPKT_S5_PKT0_S8_PS3_S9_
                                        ; -- End function
	.section	.AMDGPU.csdata,"",@progbits
; Kernel info:
; codeLenInByte = 1404
; NumSgprs: 30
; NumVgprs: 48
; NumAgprs: 0
; TotalNumVgprs: 48
; ScratchSize: 0
; MemoryBound: 0
; FloatMode: 240
; IeeeMode: 1
; LDSByteSize: 0 bytes/workgroup (compile time only)
; SGPRBlocks: 3
; VGPRBlocks: 5
; NumSGPRsForWavesPerEU: 30
; NumVGPRsForWavesPerEU: 48
; AccumOffset: 48
; Occupancy: 8
; WaveLimiterHint : 0
; COMPUTE_PGM_RSRC2:SCRATCH_EN: 0
; COMPUTE_PGM_RSRC2:USER_SGPR: 6
; COMPUTE_PGM_RSRC2:TRAP_HANDLER: 0
; COMPUTE_PGM_RSRC2:TGID_X_EN: 1
; COMPUTE_PGM_RSRC2:TGID_Y_EN: 1
; COMPUTE_PGM_RSRC2:TGID_Z_EN: 0
; COMPUTE_PGM_RSRC2:TIDIG_COMP_CNT: 1
; COMPUTE_PGM_RSRC3_GFX90A:ACCUM_OFFSET: 11
; COMPUTE_PGM_RSRC3_GFX90A:TG_SPLIT: 0
	.section	.text._ZN2at6native12_GLOBAL__N_135GammaBetaBackwardCUDAKernelTemplateIffLj64ELj16ELj128ELb0ELb0ELb1EEEvllPKT_S5_PKT0_S8_PS3_S9_,"axG",@progbits,_ZN2at6native12_GLOBAL__N_135GammaBetaBackwardCUDAKernelTemplateIffLj64ELj16ELj128ELb0ELb0ELb1EEEvllPKT_S5_PKT0_S8_PS3_S9_,comdat
	.globl	_ZN2at6native12_GLOBAL__N_135GammaBetaBackwardCUDAKernelTemplateIffLj64ELj16ELj128ELb0ELb0ELb1EEEvllPKT_S5_PKT0_S8_PS3_S9_ ; -- Begin function _ZN2at6native12_GLOBAL__N_135GammaBetaBackwardCUDAKernelTemplateIffLj64ELj16ELj128ELb0ELb0ELb1EEEvllPKT_S5_PKT0_S8_PS3_S9_
	.p2align	8
	.type	_ZN2at6native12_GLOBAL__N_135GammaBetaBackwardCUDAKernelTemplateIffLj64ELj16ELj128ELb0ELb0ELb1EEEvllPKT_S5_PKT0_S8_PS3_S9_,@function
_ZN2at6native12_GLOBAL__N_135GammaBetaBackwardCUDAKernelTemplateIffLj64ELj16ELj128ELb0ELb0ELb1EEEvllPKT_S5_PKT0_S8_PS3_S9_: ; @_ZN2at6native12_GLOBAL__N_135GammaBetaBackwardCUDAKernelTemplateIffLj64ELj16ELj128ELb0ELb0ELb1EEEvllPKT_S5_PKT0_S8_PS3_S9_
; %bb.0:
	s_load_dwordx8 s[12:19], s[4:5], 0x0
	s_load_dwordx2 s[10:11], s[4:5], 0x28
	s_lshl_b32 s33, s6, 6
	s_or_b32 s28, s33, 63
	s_mov_b32 s29, 0
	s_waitcnt lgkmcnt(0)
	v_pk_mov_b32 v[2:3], s[14:15], s[14:15] op_sel:[0,1]
	v_cmp_ge_i64_e32 vcc, s[28:29], v[2:3]
	s_lshl_b32 s28, s7, 7
	v_pk_mov_b32 v[2:3], s[12:13], s[12:13] op_sel:[0,1]
	v_cmp_lt_i64_e64 s[0:1], s[28:29], v[2:3]
	v_cndmask_b32_e64 v1, 0, 1, s[0:1]
	v_cmp_ne_u32_e64 s[0:1], 1, v1
	s_cbranch_vccz .LBB149_49
; %bb.1:
	s_and_b64 vcc, exec, s[0:1]
	v_mov_b32_e32 v2, 0
	s_cbranch_vccnz .LBB149_50
; %bb.2:
	v_and_b32_e32 v59, 0x3ff, v0
	v_bfe_u32 v61, v0, 10, 10
	v_add_u32_e32 v2, s33, v59
	v_mov_b32_e32 v3, 0
	v_lshlrev_b32_e32 v26, 3, v61
	v_cmp_gt_i64_e64 s[2:3], s[14:15], v[2:3]
	v_lshlrev_b64 v[28:29], 2, v[2:3]
	v_mov_b32_e32 v1, s29
	v_add_co_u32_e32 v2, vcc, s28, v26
	v_addc_co_u32_e32 v6, vcc, 0, v1, vcc
	v_add_co_u32_e32 v1, vcc, 7, v2
	v_addc_co_u32_e32 v4, vcc, 0, v6, vcc
	v_mul_lo_u32 v7, s15, v1
	v_mul_lo_u32 v8, s14, v4
	v_mad_u64_u32 v[4:5], s[8:9], s14, v1, 0
	s_load_dword s7, s[4:5], 0x44
	v_add3_u32 v5, v5, v8, v7
	v_lshlrev_b64 v[4:5], 2, v[4:5]
	v_mov_b32_e32 v7, s17
	v_add_co_u32_e32 v30, vcc, s16, v4
	v_addc_co_u32_e32 v1, vcc, v7, v5, vcc
	s_add_u32 s30, s4, 64
	v_mov_b32_e32 v8, s19
	v_add_co_u32_e32 v32, vcc, s18, v4
	s_addc_u32 s31, s5, 0
	s_waitcnt lgkmcnt(0)
	s_lshl_b32 s7, s7, 7
	v_addc_co_u32_e32 v27, vcc, v8, v5, vcc
	s_mul_i32 s8, s15, s7
	s_mul_hi_u32 s9, s14, s7
	v_add_co_u32_e32 v4, vcc, 6, v2
	s_add_i32 s9, s9, s8
	s_mul_i32 s8, s14, s7
	v_addc_co_u32_e32 v5, vcc, 0, v6, vcc
	s_lshl_b64 s[34:35], s[8:9], 2
	v_mul_lo_u32 v9, s15, v4
	v_mul_lo_u32 v10, s14, v5
	v_mad_u64_u32 v[4:5], s[8:9], s14, v4, 0
	v_add3_u32 v5, v5, v10, v9
	v_lshlrev_b64 v[4:5], 2, v[4:5]
	v_add_co_u32_e32 v34, vcc, s16, v4
	v_addc_co_u32_e32 v31, vcc, v7, v5, vcc
	v_add_co_u32_e32 v36, vcc, s18, v4
	v_addc_co_u32_e32 v33, vcc, v8, v5, vcc
	v_add_co_u32_e32 v4, vcc, 5, v2
	v_addc_co_u32_e32 v5, vcc, 0, v6, vcc
	v_mul_lo_u32 v9, s15, v4
	v_mul_lo_u32 v10, s14, v5
	v_mad_u64_u32 v[4:5], s[8:9], s14, v4, 0
	v_add3_u32 v5, v5, v10, v9
	v_lshlrev_b64 v[4:5], 2, v[4:5]
	v_add_co_u32_e32 v38, vcc, s16, v4
	v_addc_co_u32_e32 v35, vcc, v7, v5, vcc
	v_add_co_u32_e32 v40, vcc, s18, v4
	v_addc_co_u32_e32 v37, vcc, v8, v5, vcc
	v_add_co_u32_e32 v4, vcc, 4, v2
	v_addc_co_u32_e32 v5, vcc, 0, v6, vcc
	;; [unrolled: 11-line block ×4, first 2 shown]
	v_mul_lo_u32 v9, s15, v4
	v_mul_lo_u32 v10, s14, v5
	v_mad_u64_u32 v[4:5], s[8:9], s14, v4, 0
	v_add3_u32 v5, v5, v10, v9
	v_lshlrev_b64 v[4:5], 2, v[4:5]
	v_add_co_u32_e32 v50, vcc, s16, v4
	v_addc_co_u32_e32 v47, vcc, v7, v5, vcc
	v_add_co_u32_e32 v52, vcc, s18, v4
	v_addc_co_u32_e32 v49, vcc, v8, v5, vcc
	v_pk_mov_b32 v[4:5], s[14:15], s[14:15] op_sel:[0,1]
	v_mad_u64_u32 v[4:5], s[8:9], s14, v2, v[4:5]
	v_mul_lo_u32 v6, s14, v6
	v_mul_lo_u32 v9, s15, v2
	v_add3_u32 v5, v9, v5, v6
	v_lshlrev_b64 v[4:5], 2, v[4:5]
	v_add_co_u32_e32 v54, vcc, s16, v4
	v_addc_co_u32_e32 v51, vcc, v7, v5, vcc
	v_add_co_u32_e32 v56, vcc, s18, v4
	v_addc_co_u32_e32 v53, vcc, v8, v5, vcc
	v_mad_u64_u32 v[4:5], s[8:9], s14, v2, 0
	v_add3_u32 v5, v5, v6, v9
	v_lshlrev_b64 v[4:5], 2, v[4:5]
	v_add_co_u32_e32 v58, vcc, s16, v4
	v_mbcnt_lo_u32_b32 v2, -1, 0
	v_addc_co_u32_e32 v55, vcc, v7, v5, vcc
	v_mbcnt_hi_u32_b32 v2, -1, v2
	s_add_u32 s36, s28, 0x7f
	v_add_co_u32_e32 v60, vcc, s18, v4
	v_lshlrev_b32_e32 v2, 2, v2
	s_mov_b32 s20, 0
	s_addc_u32 s37, 0, 0
	v_addc_co_u32_e32 v57, vcc, v8, v5, vcc
	v_and_b32_e32 v62, 0x100, v2
	s_mov_b64 s[38:39], s[28:29]
	v_mov_b32_e32 v63, 0
.LBB149_3:                              ; =>This Inner Loop Header: Depth=1
	v_pk_mov_b32 v[4:5], s[12:13], s[12:13] op_sel:[0,1]
	v_cmp_ge_i64_e32 vcc, s[36:37], v[4:5]
	v_mov_b32_e32 v2, s37
	v_add_co_u32_e64 v64, s[8:9], s36, v26
	v_addc_co_u32_e64 v65, s[8:9], 0, v2, s[8:9]
	s_cbranch_vccz .LBB149_25
; %bb.4:                                ;   in Loop: Header=BB149_3 Depth=1
	s_load_dword s8, s[30:31], 0xc
	v_mov_b32_e32 v66, 0
	s_waitcnt lgkmcnt(0)
	s_and_b32 s8, s8, 0xffff
	v_mad_u32_u24 v2, v61, s8, v59
	v_and_b32_e32 v2, 63, v2
	v_cmp_gt_u32_e32 vcc, 8, v2
	s_and_saveexec_b64 s[8:9], vcc
	s_cbranch_execz .LBB149_8
; %bb.5:                                ;   in Loop: Header=BB149_3 Depth=1
	v_add_co_u32_e32 v2, vcc, v64, v2
	v_addc_co_u32_e32 v5, vcc, 0, v65, vcc
	v_add_co_u32_e32 v4, vcc, 0xffffff81, v2
	v_addc_co_u32_e32 v5, vcc, -1, v5, vcc
	v_cmp_gt_i64_e32 vcc, s[12:13], v[4:5]
	v_mov_b32_e32 v66, 0
	s_and_saveexec_b64 s[22:23], vcc
	s_cbranch_execz .LBB149_7
; %bb.6:                                ;   in Loop: Header=BB149_3 Depth=1
	v_lshlrev_b64 v[4:5], 2, v[4:5]
	v_mov_b32_e32 v2, s11
	v_add_co_u32_e32 v4, vcc, s10, v4
	v_addc_co_u32_e32 v5, vcc, v2, v5, vcc
	global_load_dword v66, v[4:5], off
.LBB149_7:                              ;   in Loop: Header=BB149_3 Depth=1
	s_or_b64 exec, exec, s[22:23]
.LBB149_8:                              ;   in Loop: Header=BB149_3 Depth=1
	s_or_b64 exec, exec, s[8:9]
	s_mov_b32 s21, s20
	v_add_co_u32_e32 v4, vcc, 0xffffff81, v64
	s_mov_b32 s22, s20
	s_mov_b32 s23, s20
	;; [unrolled: 1-line block ×6, first 2 shown]
	v_pk_mov_b32 v[10:11], s[20:21], s[20:21] op_sel:[0,1]
	v_addc_co_u32_e32 v5, vcc, -1, v65, vcc
	v_pk_mov_b32 v[16:17], s[26:27], s[26:27] op_sel:[0,1]
	v_cmp_gt_i64_e32 vcc, s[12:13], v[4:5]
	v_pk_mov_b32 v[12:13], s[22:23], s[22:23] op_sel:[0,1]
	v_pk_mov_b32 v[14:15], s[24:25], s[24:25] op_sel:[0,1]
	;; [unrolled: 1-line block ×3, first 2 shown]
	s_and_b64 s[40:41], s[2:3], vcc
	v_pk_mov_b32 v[22:23], v[14:15], v[14:15] op_sel:[0,1]
	v_pk_mov_b32 v[20:21], v[12:13], v[12:13] op_sel:[0,1]
	;; [unrolled: 1-line block ×3, first 2 shown]
	s_and_saveexec_b64 s[8:9], s[40:41]
	s_cbranch_execz .LBB149_10
; %bb.9:                                ;   in Loop: Header=BB149_3 Depth=1
	v_add_co_u32_e32 v4, vcc, v58, v28
	v_addc_co_u32_e32 v5, vcc, v55, v29, vcc
	global_load_dword v2, v[4:5], off
	v_add_co_u32_e32 v4, vcc, v60, v28
	v_addc_co_u32_e32 v5, vcc, v57, v29, vcc
	global_load_dword v10, v[4:5], off
	v_mov_b32_e32 v8, v3
	v_mov_b32_e32 v9, v3
	;; [unrolled: 1-line block ×6, first 2 shown]
	s_waitcnt vmcnt(1)
	v_pk_mov_b32 v[24:25], v[8:9], v[8:9] op_sel:[0,1]
	v_mov_b32_e32 v11, v3
	v_mov_b32_e32 v12, v3
	;; [unrolled: 1-line block ×7, first 2 shown]
	v_pk_mov_b32 v[22:23], v[6:7], v[6:7] op_sel:[0,1]
	v_pk_mov_b32 v[20:21], v[4:5], v[4:5] op_sel:[0,1]
	;; [unrolled: 1-line block ×3, first 2 shown]
.LBB149_10:                             ;   in Loop: Header=BB149_3 Depth=1
	s_or_b64 exec, exec, s[8:9]
	v_add_co_u32_e32 v4, vcc, 0xffffff82, v64
	v_addc_co_u32_e32 v5, vcc, -1, v65, vcc
	v_cmp_gt_i64_e32 vcc, s[12:13], v[4:5]
	s_and_b64 s[22:23], s[2:3], vcc
	s_and_saveexec_b64 s[8:9], s[22:23]
	s_cbranch_execz .LBB149_12
; %bb.11:                               ;   in Loop: Header=BB149_3 Depth=1
	v_add_co_u32_e32 v4, vcc, v54, v28
	v_addc_co_u32_e32 v5, vcc, v51, v29, vcc
	global_load_dword v19, v[4:5], off
	v_add_co_u32_e32 v4, vcc, v56, v28
	v_addc_co_u32_e32 v5, vcc, v53, v29, vcc
	global_load_dword v11, v[4:5], off
.LBB149_12:                             ;   in Loop: Header=BB149_3 Depth=1
	s_or_b64 exec, exec, s[8:9]
	v_add_co_u32_e32 v4, vcc, 0xffffff83, v64
	v_addc_co_u32_e32 v5, vcc, -1, v65, vcc
	v_cmp_gt_i64_e32 vcc, s[12:13], v[4:5]
	s_and_b64 s[22:23], s[2:3], vcc
	s_and_saveexec_b64 s[8:9], s[22:23]
	s_cbranch_execz .LBB149_14
; %bb.13:                               ;   in Loop: Header=BB149_3 Depth=1
	v_add_co_u32_e32 v4, vcc, v50, v28
	v_addc_co_u32_e32 v5, vcc, v47, v29, vcc
	global_load_dword v20, v[4:5], off
	v_add_co_u32_e32 v4, vcc, v52, v28
	v_addc_co_u32_e32 v5, vcc, v49, v29, vcc
	global_load_dword v12, v[4:5], off
.LBB149_14:                             ;   in Loop: Header=BB149_3 Depth=1
	;; [unrolled: 15-line block ×7, first 2 shown]
	s_or_b64 exec, exec, s[8:9]
	s_waitcnt vmcnt(0)
	ds_bpermute_b32 v4, v62, v66 offset:4
	ds_bpermute_b32 v5, v62, v66 offset:8
	ds_bpermute_b32 v2, v62, v66
	v_mul_f32_e32 v8, v10, v18
	v_pk_mul_f32 v[10:11], v[10:11], v[18:19]
	v_pk_mul_f32 v[12:13], v[12:13], v[20:21]
	v_mov_b32_e32 v10, v11
	v_mov_b32_e32 v11, v12
	s_waitcnt lgkmcnt(1)
	v_pk_mul_f32 v[4:5], v[10:11], v[4:5]
	ds_bpermute_b32 v10, v62, v66 offset:12
	ds_bpermute_b32 v11, v62, v66 offset:16
	s_waitcnt lgkmcnt(2)
	v_fma_f32 v2, v8, v2, v63
	v_pk_mul_f32 v[8:9], v[14:15], v[22:23]
	v_add_f32_e32 v2, v2, v4
	v_add_f32_e32 v2, v2, v5
	v_mov_b32_e32 v4, v13
	v_mov_b32_e32 v5, v8
	s_waitcnt lgkmcnt(0)
	v_pk_mul_f32 v[4:5], v[4:5], v[10:11]
	ds_bpermute_b32 v10, v62, v66 offset:20
	ds_bpermute_b32 v11, v62, v66 offset:24
	v_pk_mul_f32 v[6:7], v[16:17], v[24:25]
	v_add_f32_e32 v2, v2, v4
	ds_bpermute_b32 v4, v62, v66 offset:28
	v_mov_b32_e32 v8, v9
	v_mov_b32_e32 v9, v6
	v_add_f32_e32 v2, v2, v5
	s_waitcnt lgkmcnt(1)
	v_pk_mul_f32 v[6:7], v[8:9], v[10:11]
	v_add_f32_e32 v2, v2, v6
	v_add_f32_e32 v2, v2, v7
	s_branch .LBB149_40
.LBB149_25:                             ;   in Loop: Header=BB149_3 Depth=1
                                        ; implicit-def: $vgpr2
                                        ; implicit-def: $vgpr10_vgpr11_vgpr12_vgpr13_vgpr14_vgpr15_vgpr16_vgpr17
                                        ; implicit-def: $vgpr18_vgpr19_vgpr20_vgpr21_vgpr22_vgpr23_vgpr24_vgpr25
                                        ; implicit-def: $vgpr4
	s_cbranch_execz .LBB149_40
; %bb.26:                               ;   in Loop: Header=BB149_3 Depth=1
	s_load_dword s8, s[30:31], 0x0
	v_mov_b32_e32 v66, 0
	s_waitcnt lgkmcnt(0)
	s_cmp_lt_u32 s6, s8
	s_cselect_b32 s8, 12, 18
	s_add_u32 s8, s30, s8
	s_addc_u32 s9, s31, 0
	global_load_ushort v2, v3, s[8:9]
	s_waitcnt vmcnt(0)
	v_mad_u32_u24 v2, v61, v2, v59
	v_and_b32_e32 v2, 63, v2
	v_cmp_gt_u32_e32 vcc, 8, v2
	s_and_saveexec_b64 s[8:9], vcc
	s_cbranch_execz .LBB149_30
; %bb.27:                               ;   in Loop: Header=BB149_3 Depth=1
	v_add_co_u32_e32 v2, vcc, v64, v2
	v_addc_co_u32_e32 v5, vcc, 0, v65, vcc
	v_add_co_u32_e32 v4, vcc, 0xffffff81, v2
	v_addc_co_u32_e32 v5, vcc, -1, v5, vcc
	v_cmp_gt_i64_e32 vcc, s[12:13], v[4:5]
	v_mov_b32_e32 v66, 0
	s_and_saveexec_b64 s[22:23], vcc
	s_cbranch_execz .LBB149_29
; %bb.28:                               ;   in Loop: Header=BB149_3 Depth=1
	v_lshlrev_b64 v[4:5], 2, v[4:5]
	v_mov_b32_e32 v2, s11
	v_add_co_u32_e32 v4, vcc, s10, v4
	v_addc_co_u32_e32 v5, vcc, v2, v5, vcc
	global_load_dword v66, v[4:5], off
.LBB149_29:                             ;   in Loop: Header=BB149_3 Depth=1
	s_or_b64 exec, exec, s[22:23]
.LBB149_30:                             ;   in Loop: Header=BB149_3 Depth=1
	s_or_b64 exec, exec, s[8:9]
	s_mov_b32 s21, s20
	s_mov_b32 s22, s20
	s_mov_b32 s23, s20
	s_mov_b32 s24, s20
	s_mov_b32 s25, s20
	s_mov_b32 s26, s20
	s_mov_b32 s27, s20
	v_pk_mov_b32 v[10:11], s[20:21], s[20:21] op_sel:[0,1]
	v_pk_mov_b32 v[16:17], s[26:27], s[26:27] op_sel:[0,1]
	;; [unrolled: 1-line block ×8, first 2 shown]
	s_and_saveexec_b64 s[8:9], s[2:3]
	s_cbranch_execnz .LBB149_42
; %bb.31:                               ;   in Loop: Header=BB149_3 Depth=1
	s_or_b64 exec, exec, s[8:9]
	s_and_saveexec_b64 s[8:9], s[2:3]
	s_cbranch_execnz .LBB149_43
.LBB149_32:                             ;   in Loop: Header=BB149_3 Depth=1
	s_or_b64 exec, exec, s[8:9]
	s_and_saveexec_b64 s[8:9], s[2:3]
	s_cbranch_execnz .LBB149_44
.LBB149_33:                             ;   in Loop: Header=BB149_3 Depth=1
	s_or_b64 exec, exec, s[8:9]
	s_and_saveexec_b64 s[8:9], s[2:3]
	s_cbranch_execnz .LBB149_45
.LBB149_34:                             ;   in Loop: Header=BB149_3 Depth=1
	s_or_b64 exec, exec, s[8:9]
	s_and_saveexec_b64 s[8:9], s[2:3]
	s_cbranch_execnz .LBB149_46
.LBB149_35:                             ;   in Loop: Header=BB149_3 Depth=1
	s_or_b64 exec, exec, s[8:9]
	s_and_saveexec_b64 s[8:9], s[2:3]
	s_cbranch_execnz .LBB149_47
.LBB149_36:                             ;   in Loop: Header=BB149_3 Depth=1
	s_or_b64 exec, exec, s[8:9]
	s_and_saveexec_b64 s[8:9], s[2:3]
	s_cbranch_execnz .LBB149_48
.LBB149_37:                             ;   in Loop: Header=BB149_3 Depth=1
	s_or_b64 exec, exec, s[8:9]
	s_and_saveexec_b64 s[8:9], s[2:3]
	s_cbranch_execz .LBB149_39
.LBB149_38:                             ;   in Loop: Header=BB149_3 Depth=1
	v_add_co_u32_e32 v4, vcc, v30, v28
	v_addc_co_u32_e32 v5, vcc, v1, v29, vcc
	global_load_dword v25, v[4:5], off
	v_add_co_u32_e32 v4, vcc, v32, v28
	v_addc_co_u32_e32 v5, vcc, v27, v29, vcc
	global_load_dword v17, v[4:5], off
.LBB149_39:                             ;   in Loop: Header=BB149_3 Depth=1
	s_or_b64 exec, exec, s[8:9]
	s_waitcnt vmcnt(0)
	ds_bpermute_b32 v4, v62, v66 offset:4
	ds_bpermute_b32 v5, v62, v66 offset:8
	ds_bpermute_b32 v2, v62, v66
	v_mul_f32_e32 v8, v10, v18
	v_pk_mul_f32 v[10:11], v[10:11], v[18:19]
	v_pk_mul_f32 v[12:13], v[12:13], v[20:21]
	v_mov_b32_e32 v10, v11
	v_mov_b32_e32 v11, v12
	s_waitcnt lgkmcnt(1)
	v_pk_mul_f32 v[4:5], v[10:11], v[4:5]
	ds_bpermute_b32 v10, v62, v66 offset:12
	ds_bpermute_b32 v11, v62, v66 offset:16
	s_waitcnt lgkmcnt(2)
	v_fmac_f32_e32 v63, v8, v2
	v_pk_mul_f32 v[8:9], v[14:15], v[22:23]
	v_add_f32_e32 v2, v63, v4
	v_add_f32_e32 v2, v2, v5
	v_mov_b32_e32 v4, v13
	v_mov_b32_e32 v5, v8
	s_waitcnt lgkmcnt(0)
	v_pk_mul_f32 v[4:5], v[4:5], v[10:11]
	ds_bpermute_b32 v10, v62, v66 offset:20
	ds_bpermute_b32 v11, v62, v66 offset:24
	v_pk_mul_f32 v[6:7], v[16:17], v[24:25]
	v_add_f32_e32 v2, v2, v4
	v_mov_b32_e32 v8, v9
	v_mov_b32_e32 v9, v6
	v_add_f32_e32 v2, v2, v5
	s_waitcnt lgkmcnt(0)
	v_pk_mul_f32 v[6:7], v[8:9], v[10:11]
	v_add_f32_e32 v2, v2, v6
	ds_bpermute_b32 v4, v62, v66 offset:28
	v_add_f32_e32 v2, v2, v7
.LBB149_40:                             ;   in Loop: Header=BB149_3 Depth=1
	v_mul_f32_e32 v5, v25, v17
	s_waitcnt lgkmcnt(0)
	v_fmac_f32_e32 v2, v5, v4
	v_mov_b32_e32 v4, s35
	v_add_co_u32_e32 v30, vcc, s34, v30
	v_addc_co_u32_e32 v1, vcc, v1, v4, vcc
	v_add_co_u32_e32 v32, vcc, s34, v32
	v_addc_co_u32_e32 v27, vcc, v27, v4, vcc
	v_add_co_u32_e32 v34, vcc, s34, v34
	v_addc_co_u32_e32 v31, vcc, v31, v4, vcc
	v_add_co_u32_e32 v36, vcc, s34, v36
	v_addc_co_u32_e32 v33, vcc, v33, v4, vcc
	v_add_co_u32_e32 v38, vcc, s34, v38
	v_addc_co_u32_e32 v35, vcc, v35, v4, vcc
	v_add_co_u32_e32 v40, vcc, s34, v40
	v_addc_co_u32_e32 v37, vcc, v37, v4, vcc
	v_add_co_u32_e32 v42, vcc, s34, v42
	v_addc_co_u32_e32 v39, vcc, v39, v4, vcc
	v_add_co_u32_e32 v44, vcc, s34, v44
	v_addc_co_u32_e32 v41, vcc, v41, v4, vcc
	v_add_co_u32_e32 v46, vcc, s34, v46
	v_addc_co_u32_e32 v43, vcc, v43, v4, vcc
	v_add_co_u32_e32 v48, vcc, s34, v48
	v_addc_co_u32_e32 v45, vcc, v45, v4, vcc
	v_add_co_u32_e32 v50, vcc, s34, v50
	v_addc_co_u32_e32 v47, vcc, v47, v4, vcc
	v_add_co_u32_e32 v52, vcc, s34, v52
	v_addc_co_u32_e32 v49, vcc, v49, v4, vcc
	v_add_co_u32_e32 v54, vcc, s34, v54
	v_addc_co_u32_e32 v51, vcc, v51, v4, vcc
	v_add_co_u32_e32 v56, vcc, s34, v56
	v_addc_co_u32_e32 v53, vcc, v53, v4, vcc
	v_add_co_u32_e32 v58, vcc, s34, v58
	v_addc_co_u32_e32 v55, vcc, v55, v4, vcc
	s_add_u32 s38, s38, s7
	v_add_co_u32_e32 v60, vcc, s34, v60
	s_addc_u32 s39, s39, 0
	v_addc_co_u32_e32 v57, vcc, v57, v4, vcc
	v_pk_mov_b32 v[4:5], s[12:13], s[12:13] op_sel:[0,1]
	s_add_u32 s36, s36, s7
	v_cmp_lt_i64_e32 vcc, s[38:39], v[4:5]
	s_addc_u32 s37, s37, 0
	s_cbranch_vccz .LBB149_50
; %bb.41:                               ;   in Loop: Header=BB149_3 Depth=1
	v_mov_b32_e32 v63, v2
	s_branch .LBB149_3
.LBB149_42:                             ;   in Loop: Header=BB149_3 Depth=1
	v_add_co_u32_e32 v4, vcc, v58, v28
	v_addc_co_u32_e32 v5, vcc, v55, v29, vcc
	global_load_dword v2, v[4:5], off
	v_add_co_u32_e32 v4, vcc, v60, v28
	v_addc_co_u32_e32 v5, vcc, v57, v29, vcc
	global_load_dword v10, v[4:5], off
	v_mov_b32_e32 v8, v3
	v_mov_b32_e32 v9, v3
	;; [unrolled: 1-line block ×6, first 2 shown]
	s_waitcnt vmcnt(1)
	v_pk_mov_b32 v[24:25], v[8:9], v[8:9] op_sel:[0,1]
	v_mov_b32_e32 v11, v3
	v_mov_b32_e32 v12, v3
	;; [unrolled: 1-line block ×7, first 2 shown]
	v_pk_mov_b32 v[22:23], v[6:7], v[6:7] op_sel:[0,1]
	v_pk_mov_b32 v[20:21], v[4:5], v[4:5] op_sel:[0,1]
	;; [unrolled: 1-line block ×3, first 2 shown]
	s_or_b64 exec, exec, s[8:9]
	s_and_saveexec_b64 s[8:9], s[2:3]
	s_cbranch_execz .LBB149_32
.LBB149_43:                             ;   in Loop: Header=BB149_3 Depth=1
	v_add_co_u32_e32 v4, vcc, v54, v28
	v_addc_co_u32_e32 v5, vcc, v51, v29, vcc
	global_load_dword v19, v[4:5], off
	v_add_co_u32_e32 v4, vcc, v56, v28
	v_addc_co_u32_e32 v5, vcc, v53, v29, vcc
	global_load_dword v11, v[4:5], off
	s_or_b64 exec, exec, s[8:9]
	s_and_saveexec_b64 s[8:9], s[2:3]
	s_cbranch_execz .LBB149_33
.LBB149_44:                             ;   in Loop: Header=BB149_3 Depth=1
	v_add_co_u32_e32 v4, vcc, v50, v28
	v_addc_co_u32_e32 v5, vcc, v47, v29, vcc
	global_load_dword v20, v[4:5], off
	v_add_co_u32_e32 v4, vcc, v52, v28
	v_addc_co_u32_e32 v5, vcc, v49, v29, vcc
	global_load_dword v12, v[4:5], off
	s_or_b64 exec, exec, s[8:9]
	s_and_saveexec_b64 s[8:9], s[2:3]
	s_cbranch_execz .LBB149_34
.LBB149_45:                             ;   in Loop: Header=BB149_3 Depth=1
	v_add_co_u32_e32 v4, vcc, v46, v28
	v_addc_co_u32_e32 v5, vcc, v43, v29, vcc
	global_load_dword v21, v[4:5], off
	v_add_co_u32_e32 v4, vcc, v48, v28
	v_addc_co_u32_e32 v5, vcc, v45, v29, vcc
	global_load_dword v13, v[4:5], off
	s_or_b64 exec, exec, s[8:9]
	s_and_saveexec_b64 s[8:9], s[2:3]
	s_cbranch_execz .LBB149_35
.LBB149_46:                             ;   in Loop: Header=BB149_3 Depth=1
	v_add_co_u32_e32 v4, vcc, v42, v28
	v_addc_co_u32_e32 v5, vcc, v39, v29, vcc
	global_load_dword v22, v[4:5], off
	v_add_co_u32_e32 v4, vcc, v44, v28
	v_addc_co_u32_e32 v5, vcc, v41, v29, vcc
	global_load_dword v14, v[4:5], off
	s_or_b64 exec, exec, s[8:9]
	s_and_saveexec_b64 s[8:9], s[2:3]
	s_cbranch_execz .LBB149_36
.LBB149_47:                             ;   in Loop: Header=BB149_3 Depth=1
	v_add_co_u32_e32 v4, vcc, v38, v28
	v_addc_co_u32_e32 v5, vcc, v35, v29, vcc
	global_load_dword v23, v[4:5], off
	v_add_co_u32_e32 v4, vcc, v40, v28
	v_addc_co_u32_e32 v5, vcc, v37, v29, vcc
	global_load_dword v15, v[4:5], off
	s_or_b64 exec, exec, s[8:9]
	s_and_saveexec_b64 s[8:9], s[2:3]
	s_cbranch_execz .LBB149_37
.LBB149_48:                             ;   in Loop: Header=BB149_3 Depth=1
	v_add_co_u32_e32 v4, vcc, v34, v28
	v_addc_co_u32_e32 v5, vcc, v31, v29, vcc
	global_load_dword v24, v[4:5], off
	v_add_co_u32_e32 v4, vcc, v36, v28
	v_addc_co_u32_e32 v5, vcc, v33, v29, vcc
	global_load_dword v16, v[4:5], off
	s_or_b64 exec, exec, s[8:9]
	s_and_saveexec_b64 s[8:9], s[2:3]
	s_cbranch_execnz .LBB149_38
	s_branch .LBB149_39
.LBB149_49:
                                        ; implicit-def: $vgpr2
	s_branch .LBB149_51
.LBB149_50:
	s_cbranch_execnz .LBB149_83
.LBB149_51:
	s_and_b64 vcc, exec, s[0:1]
	v_mov_b32_e32 v2, 0
	s_cbranch_vccnz .LBB149_83
; %bb.52:
	s_load_dword s0, s[4:5], 0x44
	s_add_u32 s2, s4, 64
	s_addc_u32 s3, s5, 0
	v_bfe_u32 v85, v0, 10, 10
	v_lshlrev_b32_e32 v1, 5, v85
	s_waitcnt lgkmcnt(0)
	s_lshl_b32 s7, s0, 7
	s_add_u32 s8, s28, 0x7f
	s_addc_u32 s9, 0, 0
	s_lshl_b64 s[0:1], s[28:29], 2
	v_mov_b32_e32 v2, s1
	v_add_co_u32_e32 v1, vcc, s0, v1
	v_addc_co_u32_e32 v4, vcc, 0, v2, vcc
	v_add_co_u32_e32 v6, vcc, 4, v1
	v_addc_co_u32_e32 v5, vcc, 0, v4, vcc
	v_add_co_u32_e32 v9, vcc, 8, v1
	v_mul_lo_u32 v7, s14, v5
	v_addc_co_u32_e32 v5, vcc, 0, v4, vcc
	v_add_co_u32_e32 v12, vcc, 12, v1
	v_mul_lo_u32 v10, s14, v5
	;; [unrolled: 3-line block ×5, first 2 shown]
	v_addc_co_u32_e32 v5, vcc, 0, v4, vcc
	v_add_co_u32_e32 v24, vcc, 28, v1
	v_lshlrev_b32_e32 v26, 3, v85
	v_addc_co_u32_e32 v1, vcc, 0, v4, vcc
	v_mul_lo_u32 v25, s14, v1
	v_mov_b32_e32 v1, s29
	v_add_co_u32_e32 v43, vcc, s28, v26
	v_pk_mov_b32 v[2:3], s[16:17], s[16:17] op_sel:[0,1]
	v_addc_co_u32_e32 v59, vcc, 0, v1, vcc
	v_mad_u64_u32 v[28:29], s[0:1], s14, v6, v[2:3]
	v_mad_u64_u32 v[30:31], s[0:1], s14, v9, v[2:3]
	;; [unrolled: 1-line block ×7, first 2 shown]
	v_mul_lo_u32 v60, s15, v43
	v_mul_lo_u32 v61, s14, v59
	v_mad_u64_u32 v[2:3], s[0:1], s14, v43, 0
	v_add3_u32 v3, v3, v61, v60
	v_lshlrev_b64 v[2:3], 2, v[2:3]
	v_mul_lo_u32 v22, s14, v5
	v_mov_b32_e32 v81, s17
	v_add_co_u32_e32 v42, vcc, s16, v2
	v_pk_mov_b32 v[4:5], s[18:19], s[18:19] op_sel:[0,1]
	v_mul_lo_u32 v17, s15, v15
	v_addc_co_u32_e32 v1, vcc, v81, v3, vcc
	v_mad_u64_u32 v[50:51], s[0:1], s14, v15, v[4:5]
	v_add3_u32 v35, v17, v35, v16
	v_mul_lo_u32 v27, s15, v24
	v_add3_u32 v51, v17, v51, v16
	v_mad_u64_u32 v[56:57], s[0:1], s14, v24, v[4:5]
	v_mov_b32_e32 v16, s19
	v_add_co_u32_e32 v58, vcc, s18, v2
	v_add3_u32 v41, v27, v41, v25
	v_add3_u32 v57, v27, v57, v25
	v_addc_co_u32_e32 v27, vcc, v16, v3, vcc
	v_add_co_u32_e32 v2, vcc, 7, v43
	v_addc_co_u32_e32 v3, vcc, 0, v59, vcc
	v_mad_u64_u32 v[44:45], s[0:1], s14, v6, v[4:5]
	v_mad_u64_u32 v[46:47], s[0:1], s14, v9, v[4:5]
	;; [unrolled: 1-line block ×5, first 2 shown]
	v_mul_lo_u32 v4, s15, v2
	v_mul_lo_u32 v5, s14, v3
	v_mad_u64_u32 v[2:3], s[0:1], s14, v2, 0
	v_add3_u32 v3, v3, v5, v4
	v_add_co_u32_e32 v4, vcc, 6, v43
	v_mul_lo_u32 v8, s15, v6
	v_addc_co_u32_e32 v5, vcc, 0, v59, vcc
	v_add3_u32 v29, v8, v29, v7
	v_add3_u32 v45, v8, v45, v7
	v_mul_lo_u32 v6, s15, v4
	v_mul_lo_u32 v7, s14, v5
	v_mad_u64_u32 v[4:5], s[0:1], s14, v4, 0
	v_add3_u32 v5, v5, v7, v6
	v_add_co_u32_e32 v6, vcc, 5, v43
	v_addc_co_u32_e32 v7, vcc, 0, v59, vcc
	v_mul_lo_u32 v11, s15, v9
	v_mul_lo_u32 v8, s15, v6
	;; [unrolled: 1-line block ×3, first 2 shown]
	v_mad_u64_u32 v[6:7], s[0:1], s14, v6, 0
	v_add3_u32 v7, v7, v9, v8
	v_add_co_u32_e32 v8, vcc, 4, v43
	v_addc_co_u32_e32 v9, vcc, 0, v59, vcc
	v_add3_u32 v31, v11, v31, v10
	v_add3_u32 v47, v11, v47, v10
	v_mul_lo_u32 v10, s15, v8
	v_mul_lo_u32 v11, s14, v9
	v_mad_u64_u32 v[8:9], s[0:1], s14, v8, 0
	v_add3_u32 v9, v9, v11, v10
	v_add_co_u32_e32 v10, vcc, 3, v43
	v_mul_lo_u32 v14, s15, v12
	v_addc_co_u32_e32 v11, vcc, 0, v59, vcc
	v_add3_u32 v33, v14, v33, v13
	v_add3_u32 v49, v14, v49, v13
	v_mul_lo_u32 v12, s15, v10
	v_mul_lo_u32 v13, s14, v11
	v_mad_u64_u32 v[10:11], s[0:1], s14, v10, 0
	v_add3_u32 v11, v11, v13, v12
	v_add_co_u32_e32 v12, vcc, 2, v43
	v_addc_co_u32_e32 v13, vcc, 0, v59, vcc
	v_mul_lo_u32 v14, s15, v12
	v_mul_lo_u32 v15, s14, v13
	v_mad_u64_u32 v[12:13], s[0:1], s14, v12, 0
	v_add3_u32 v13, v13, v15, v14
	v_pk_mov_b32 v[14:15], s[14:15], s[14:15] op_sel:[0,1]
	v_lshlrev_b64 v[2:3], 2, v[2:3]
	v_mad_u64_u32 v[14:15], s[0:1], s14, v43, v[14:15]
	v_add3_u32 v15, v60, v15, v61
	v_add_co_u32_e32 v60, vcc, s16, v2
	v_addc_co_u32_e32 v43, vcc, v81, v3, vcc
	v_add_co_u32_e32 v62, vcc, s18, v2
	v_addc_co_u32_e32 v59, vcc, v16, v3, vcc
	v_lshlrev_b64 v[2:3], 2, v[4:5]
	v_add_co_u32_e32 v64, vcc, s16, v2
	v_addc_co_u32_e32 v61, vcc, v81, v3, vcc
	v_add_co_u32_e32 v66, vcc, s18, v2
	v_addc_co_u32_e32 v63, vcc, v16, v3, vcc
	v_lshlrev_b64 v[2:3], 2, v[6:7]
	;; [unrolled: 5-line block ×6, first 2 shown]
	v_add_co_u32_e32 v84, vcc, s16, v2
	v_addc_co_u32_e32 v81, vcc, v81, v3, vcc
	v_mbcnt_lo_u32_b32 v4, -1, 0
	v_add_co_u32_e32 v86, vcc, s18, v2
	v_and_b32_e32 v87, 0x3ff, v0
	s_mul_i32 s0, s15, s7
	s_mul_hi_u32 s1, s14, s7
	v_mbcnt_hi_u32_b32 v4, -1, v4
	v_mul_lo_u32 v20, s15, v18
	v_mul_lo_u32 v23, s15, v21
	v_addc_co_u32_e32 v83, vcc, v16, v3, vcc
	v_add_u32_e32 v2, s33, v87
	v_mov_b32_e32 v3, 0
	s_add_i32 s1, s1, s0
	s_mul_i32 s0, s14, s7
	v_lshlrev_b32_e32 v4, 2, v4
	v_add3_u32 v37, v20, v37, v19
	v_add3_u32 v39, v23, v39, v22
	;; [unrolled: 1-line block ×4, first 2 shown]
	s_mov_b32 s16, 0
	s_lshl_b64 s[24:25], s[0:1], 2
	v_and_b32_e32 v90, 0x100, v4
	v_mov_b32_e32 v91, 0
	v_lshlrev_b64 v[88:89], 2, v[2:3]
.LBB149_53:                             ; =>This Inner Loop Header: Depth=1
	v_pk_mov_b32 v[4:5], s[12:13], s[12:13] op_sel:[0,1]
	v_cmp_ge_i64_e32 vcc, s[8:9], v[4:5]
	v_mov_b32_e32 v2, s9
	v_add_co_u32_e64 v92, s[0:1], s8, v26
	v_addc_co_u32_e64 v93, s[0:1], 0, v2, s[0:1]
	s_cbranch_vccz .LBB149_75
; %bb.54:                               ;   in Loop: Header=BB149_53 Depth=1
	s_load_dword s0, s[2:3], 0xc
	v_mov_b32_e32 v94, 0
	s_waitcnt lgkmcnt(0)
	s_and_b32 s0, s0, 0xffff
	v_mad_u32_u24 v2, v85, s0, v87
	v_and_b32_e32 v2, 63, v2
	v_cmp_gt_u32_e32 vcc, 8, v2
	s_and_saveexec_b64 s[0:1], vcc
	s_cbranch_execz .LBB149_58
; %bb.55:                               ;   in Loop: Header=BB149_53 Depth=1
	v_add_co_u32_e32 v2, vcc, v92, v2
	v_addc_co_u32_e32 v5, vcc, 0, v93, vcc
	v_add_co_u32_e32 v4, vcc, 0xffffff81, v2
	v_addc_co_u32_e32 v5, vcc, -1, v5, vcc
	v_cmp_gt_i64_e32 vcc, s[12:13], v[4:5]
	v_mov_b32_e32 v94, 0
	s_and_saveexec_b64 s[18:19], vcc
	s_cbranch_execz .LBB149_57
; %bb.56:                               ;   in Loop: Header=BB149_53 Depth=1
	v_lshlrev_b64 v[4:5], 2, v[4:5]
	v_mov_b32_e32 v2, s11
	v_add_co_u32_e32 v4, vcc, s10, v4
	v_addc_co_u32_e32 v5, vcc, v2, v5, vcc
	global_load_dword v94, v[4:5], off
.LBB149_57:                             ;   in Loop: Header=BB149_53 Depth=1
	s_or_b64 exec, exec, s[18:19]
.LBB149_58:                             ;   in Loop: Header=BB149_53 Depth=1
	s_or_b64 exec, exec, s[0:1]
	s_mov_b32 s17, s16
	s_mov_b32 s18, s16
	;; [unrolled: 1-line block ×7, first 2 shown]
	v_pk_mov_b32 v[10:11], s[16:17], s[16:17] op_sel:[0,1]
	v_add_co_u32_e32 v4, vcc, 0xffffff81, v92
	v_pk_mov_b32 v[16:17], s[22:23], s[22:23] op_sel:[0,1]
	v_addc_co_u32_e32 v5, vcc, -1, v93, vcc
	v_pk_mov_b32 v[12:13], s[18:19], s[18:19] op_sel:[0,1]
	v_pk_mov_b32 v[14:15], s[20:21], s[20:21] op_sel:[0,1]
	v_pk_mov_b32 v[24:25], v[16:17], v[16:17] op_sel:[0,1]
	v_cmp_gt_i64_e32 vcc, s[12:13], v[4:5]
	v_pk_mov_b32 v[22:23], v[14:15], v[14:15] op_sel:[0,1]
	v_pk_mov_b32 v[20:21], v[12:13], v[12:13] op_sel:[0,1]
	;; [unrolled: 1-line block ×3, first 2 shown]
	s_and_saveexec_b64 s[0:1], vcc
	s_cbranch_execz .LBB149_60
; %bb.59:                               ;   in Loop: Header=BB149_53 Depth=1
	v_add_co_u32_e32 v4, vcc, v42, v88
	v_addc_co_u32_e32 v5, vcc, v1, v89, vcc
	global_load_dword v2, v[4:5], off
	v_add_co_u32_e32 v4, vcc, v58, v88
	v_addc_co_u32_e32 v5, vcc, v27, v89, vcc
	global_load_dword v10, v[4:5], off
	v_mov_b32_e32 v8, v3
	v_mov_b32_e32 v9, v3
	v_mov_b32_e32 v4, v3
	v_mov_b32_e32 v5, v3
	v_mov_b32_e32 v6, v3
	v_mov_b32_e32 v7, v3
	s_waitcnt vmcnt(1)
	v_pk_mov_b32 v[24:25], v[8:9], v[8:9] op_sel:[0,1]
	v_mov_b32_e32 v11, v3
	v_mov_b32_e32 v12, v3
	;; [unrolled: 1-line block ×7, first 2 shown]
	v_pk_mov_b32 v[22:23], v[6:7], v[6:7] op_sel:[0,1]
	v_pk_mov_b32 v[20:21], v[4:5], v[4:5] op_sel:[0,1]
	v_pk_mov_b32 v[18:19], v[2:3], v[2:3] op_sel:[0,1]
.LBB149_60:                             ;   in Loop: Header=BB149_53 Depth=1
	s_or_b64 exec, exec, s[0:1]
	v_add_co_u32_e32 v4, vcc, 0xffffff82, v92
	v_addc_co_u32_e32 v5, vcc, -1, v93, vcc
	v_cmp_gt_i64_e32 vcc, s[12:13], v[4:5]
	s_and_saveexec_b64 s[0:1], vcc
	s_cbranch_execz .LBB149_62
; %bb.61:                               ;   in Loop: Header=BB149_53 Depth=1
	v_add_co_u32_e32 v4, vcc, v84, v88
	v_addc_co_u32_e32 v5, vcc, v81, v89, vcc
	global_load_dword v19, v[4:5], off
	v_add_co_u32_e32 v4, vcc, v86, v88
	v_addc_co_u32_e32 v5, vcc, v83, v89, vcc
	global_load_dword v11, v[4:5], off
.LBB149_62:                             ;   in Loop: Header=BB149_53 Depth=1
	s_or_b64 exec, exec, s[0:1]
	v_add_co_u32_e32 v4, vcc, 0xffffff83, v92
	v_addc_co_u32_e32 v5, vcc, -1, v93, vcc
	v_cmp_gt_i64_e32 vcc, s[12:13], v[4:5]
	s_and_saveexec_b64 s[0:1], vcc
	s_cbranch_execz .LBB149_64
; %bb.63:                               ;   in Loop: Header=BB149_53 Depth=1
	v_add_co_u32_e32 v4, vcc, v80, v88
	v_addc_co_u32_e32 v5, vcc, v77, v89, vcc
	global_load_dword v20, v[4:5], off
	v_add_co_u32_e32 v4, vcc, v82, v88
	v_addc_co_u32_e32 v5, vcc, v79, v89, vcc
	global_load_dword v12, v[4:5], off
.LBB149_64:                             ;   in Loop: Header=BB149_53 Depth=1
	;; [unrolled: 14-line block ×7, first 2 shown]
	s_or_b64 exec, exec, s[0:1]
	s_waitcnt vmcnt(0)
	ds_bpermute_b32 v4, v90, v94
	ds_bpermute_b32 v5, v90, v94 offset:4
	v_pk_mul_f32 v[8:9], v[14:15], v[22:23]
	ds_bpermute_b32 v14, v90, v94 offset:8
	ds_bpermute_b32 v15, v90, v94 offset:12
	v_pk_mul_f32 v[10:11], v[10:11], v[18:19]
	s_waitcnt lgkmcnt(2)
	v_pk_mul_f32 v[4:5], v[10:11], v[4:5]
	ds_bpermute_b32 v10, v90, v94 offset:16
	ds_bpermute_b32 v11, v90, v94 offset:20
	v_pk_mul_f32 v[12:13], v[12:13], v[20:21]
	v_add_f32_e32 v2, v91, v4
	v_add_f32_e32 v2, v2, v5
	s_waitcnt lgkmcnt(2)
	v_pk_mul_f32 v[4:5], v[12:13], v[14:15]
	ds_bpermute_b32 v12, v90, v94 offset:24
	ds_bpermute_b32 v13, v90, v94 offset:28
	v_add_f32_e32 v2, v2, v4
	v_add_f32_e32 v2, v2, v5
	s_waitcnt lgkmcnt(2)
	v_pk_mul_f32 v[4:5], v[8:9], v[10:11]
	v_pk_mul_f32 v[6:7], v[16:17], v[24:25]
	v_add_f32_e32 v2, v2, v4
	v_add_f32_e32 v2, v2, v5
	s_waitcnt lgkmcnt(0)
	v_pk_mul_f32 v[4:5], v[6:7], v[12:13]
	v_add_f32_e32 v2, v2, v4
	v_add_f32_e32 v2, v2, v5
	s_branch .LBB149_81
.LBB149_75:                             ;   in Loop: Header=BB149_53 Depth=1
                                        ; implicit-def: $vgpr2
	s_cbranch_execz .LBB149_81
; %bb.76:                               ;   in Loop: Header=BB149_53 Depth=1
	s_load_dword s0, s[2:3], 0x0
	s_waitcnt lgkmcnt(0)
	s_cmp_lt_u32 s6, s0
	s_cselect_b32 s0, 12, 18
	s_add_u32 s0, s2, s0
	s_addc_u32 s1, s3, 0
	global_load_ushort v2, v3, s[0:1]
	s_waitcnt vmcnt(0)
	v_mad_u32_u24 v2, v85, v2, v87
	v_and_b32_e32 v4, 63, v2
	v_cmp_gt_u32_e32 vcc, 8, v4
	v_mov_b32_e32 v2, 0
	s_and_saveexec_b64 s[0:1], vcc
	s_cbranch_execz .LBB149_80
; %bb.77:                               ;   in Loop: Header=BB149_53 Depth=1
	v_add_co_u32_e32 v2, vcc, v92, v4
	v_addc_co_u32_e32 v5, vcc, 0, v93, vcc
	v_add_co_u32_e32 v4, vcc, 0xffffff81, v2
	v_addc_co_u32_e32 v5, vcc, -1, v5, vcc
	v_cmp_gt_i64_e32 vcc, s[12:13], v[4:5]
	v_mov_b32_e32 v2, 0
	s_and_saveexec_b64 s[18:19], vcc
	s_cbranch_execz .LBB149_79
; %bb.78:                               ;   in Loop: Header=BB149_53 Depth=1
	v_lshlrev_b64 v[4:5], 2, v[4:5]
	v_mov_b32_e32 v2, s11
	v_add_co_u32_e32 v4, vcc, s10, v4
	v_addc_co_u32_e32 v5, vcc, v2, v5, vcc
	global_load_dword v2, v[4:5], off
.LBB149_79:                             ;   in Loop: Header=BB149_53 Depth=1
	s_or_b64 exec, exec, s[18:19]
.LBB149_80:                             ;   in Loop: Header=BB149_53 Depth=1
	s_or_b64 exec, exec, s[0:1]
	v_add_co_u32_e32 v4, vcc, v42, v88
	v_addc_co_u32_e32 v5, vcc, v1, v89, vcc
	v_add_co_u32_e32 v6, vcc, v58, v88
	v_addc_co_u32_e32 v7, vcc, v27, v89, vcc
	;; [unrolled: 2-line block ×3, first 2 shown]
	global_load_dword v4, v[4:5], off
	s_nop 0
	global_load_dword v5, v[8:9], off
	v_add_co_u32_e32 v8, vcc, v44, v88
	v_addc_co_u32_e32 v9, vcc, v45, v89, vcc
	global_load_dword v6, v[6:7], off
	s_nop 0
	global_load_dword v7, v[8:9], off
	v_add_co_u32_e32 v8, vcc, v30, v88
	v_addc_co_u32_e32 v9, vcc, v31, v89, vcc
	v_add_co_u32_e32 v10, vcc, v46, v88
	v_addc_co_u32_e32 v11, vcc, v47, v89, vcc
	;; [unrolled: 2-line block ×3, first 2 shown]
	global_load_dword v8, v[8:9], off
	s_waitcnt vmcnt(1)
	v_pk_mul_f32 v[4:5], v[4:5], v[6:7]
	global_load_dword v9, v[12:13], off
	v_add_co_u32_e32 v12, vcc, v48, v88
	v_addc_co_u32_e32 v13, vcc, v49, v89, vcc
	global_load_dword v10, v[10:11], off
	ds_bpermute_b32 v6, v90, v2 offset:8
	global_load_dword v11, v[12:13], off
	v_add_co_u32_e32 v12, vcc, v34, v88
	v_addc_co_u32_e32 v13, vcc, v35, v89, vcc
	v_add_co_u32_e32 v14, vcc, v50, v88
	v_addc_co_u32_e32 v15, vcc, v51, v89, vcc
	;; [unrolled: 2-line block ×3, first 2 shown]
	global_load_dword v12, v[12:13], off
	ds_bpermute_b32 v7, v90, v2 offset:12
	global_load_dword v13, v[16:17], off
	v_add_co_u32_e32 v16, vcc, v52, v88
	v_addc_co_u32_e32 v17, vcc, v53, v89, vcc
	global_load_dword v14, v[14:15], off
	s_nop 0
	global_load_dword v15, v[16:17], off
	v_add_co_u32_e32 v16, vcc, v38, v88
	v_addc_co_u32_e32 v17, vcc, v39, v89, vcc
	v_add_co_u32_e32 v18, vcc, v54, v88
	v_addc_co_u32_e32 v19, vcc, v55, v89, vcc
	;; [unrolled: 2-line block ×3, first 2 shown]
	global_load_dword v16, v[16:17], off
	s_nop 0
	global_load_dword v17, v[20:21], off
	v_add_co_u32_e32 v20, vcc, v56, v88
	v_addc_co_u32_e32 v21, vcc, v57, v89, vcc
	global_load_dword v18, v[18:19], off
	s_nop 0
	global_load_dword v19, v[20:21], off
	ds_bpermute_b32 v20, v90, v2
	ds_bpermute_b32 v21, v90, v2 offset:4
	s_waitcnt lgkmcnt(0)
	v_pk_mul_f32 v[4:5], v[4:5], v[20:21]
	v_add_f32_e32 v4, v91, v4
	v_add_f32_e32 v20, v4, v5
	s_waitcnt vmcnt(8)
	v_pk_mul_f32 v[4:5], v[8:9], v[10:11]
	v_pk_mul_f32 v[4:5], v[4:5], v[6:7]
	ds_bpermute_b32 v6, v90, v2 offset:16
	ds_bpermute_b32 v7, v90, v2 offset:20
	v_add_f32_e32 v4, v20, v4
	ds_bpermute_b32 v8, v90, v2 offset:24
	ds_bpermute_b32 v9, v90, v2 offset:28
	v_add_f32_e32 v10, v4, v5
	s_waitcnt vmcnt(4)
	v_pk_mul_f32 v[4:5], v[12:13], v[14:15]
	s_waitcnt lgkmcnt(2)
	v_pk_mul_f32 v[4:5], v[4:5], v[6:7]
	v_add_f32_e32 v2, v10, v4
	v_add_f32_e32 v2, v2, v5
	s_waitcnt vmcnt(0)
	v_pk_mul_f32 v[4:5], v[16:17], v[18:19]
	s_waitcnt lgkmcnt(0)
	v_pk_mul_f32 v[4:5], v[4:5], v[8:9]
	v_add_f32_e32 v2, v2, v4
	v_add_f32_e32 v2, v2, v5
.LBB149_81:                             ;   in Loop: Header=BB149_53 Depth=1
	s_add_u32 s28, s28, s7
	s_addc_u32 s29, s29, 0
	v_pk_mov_b32 v[4:5], s[12:13], s[12:13] op_sel:[0,1]
	v_cmp_ge_i64_e32 vcc, s[28:29], v[4:5]
	v_mov_b32_e32 v4, s25
	v_add_co_u32_e64 v28, s[0:1], s24, v28
	v_addc_co_u32_e64 v29, s[0:1], v29, v4, s[0:1]
	v_add_co_u32_e64 v30, s[0:1], s24, v30
	v_addc_co_u32_e64 v31, s[0:1], v31, v4, s[0:1]
	v_add_co_u32_e64 v32, s[0:1], s24, v32
	v_addc_co_u32_e64 v33, s[0:1], v33, v4, s[0:1]
	v_add_co_u32_e64 v34, s[0:1], s24, v34
	v_addc_co_u32_e64 v35, s[0:1], v35, v4, s[0:1]
	v_add_co_u32_e64 v36, s[0:1], s24, v36
	v_addc_co_u32_e64 v37, s[0:1], v37, v4, s[0:1]
	v_add_co_u32_e64 v38, s[0:1], s24, v38
	v_addc_co_u32_e64 v39, s[0:1], v39, v4, s[0:1]
	v_add_co_u32_e64 v40, s[0:1], s24, v40
	v_addc_co_u32_e64 v41, s[0:1], v41, v4, s[0:1]
	v_add_co_u32_e64 v42, s[0:1], s24, v42
	v_addc_co_u32_e64 v1, s[0:1], v1, v4, s[0:1]
	v_add_co_u32_e64 v44, s[0:1], s24, v44
	v_addc_co_u32_e64 v45, s[0:1], v45, v4, s[0:1]
	v_add_co_u32_e64 v46, s[0:1], s24, v46
	v_addc_co_u32_e64 v47, s[0:1], v47, v4, s[0:1]
	v_add_co_u32_e64 v48, s[0:1], s24, v48
	v_addc_co_u32_e64 v49, s[0:1], v49, v4, s[0:1]
	v_add_co_u32_e64 v50, s[0:1], s24, v50
	v_addc_co_u32_e64 v51, s[0:1], v51, v4, s[0:1]
	v_add_co_u32_e64 v52, s[0:1], s24, v52
	v_addc_co_u32_e64 v53, s[0:1], v53, v4, s[0:1]
	v_add_co_u32_e64 v54, s[0:1], s24, v54
	v_addc_co_u32_e64 v55, s[0:1], v55, v4, s[0:1]
	v_add_co_u32_e64 v56, s[0:1], s24, v56
	v_addc_co_u32_e64 v57, s[0:1], v57, v4, s[0:1]
	v_add_co_u32_e64 v58, s[0:1], s24, v58
	v_addc_co_u32_e64 v27, s[0:1], v27, v4, s[0:1]
	v_add_co_u32_e64 v60, s[0:1], s24, v60
	v_addc_co_u32_e64 v43, s[0:1], v43, v4, s[0:1]
	v_add_co_u32_e64 v62, s[0:1], s24, v62
	v_addc_co_u32_e64 v59, s[0:1], v59, v4, s[0:1]
	v_add_co_u32_e64 v64, s[0:1], s24, v64
	v_addc_co_u32_e64 v61, s[0:1], v61, v4, s[0:1]
	v_add_co_u32_e64 v66, s[0:1], s24, v66
	v_addc_co_u32_e64 v63, s[0:1], v63, v4, s[0:1]
	v_add_co_u32_e64 v68, s[0:1], s24, v68
	v_addc_co_u32_e64 v65, s[0:1], v65, v4, s[0:1]
	v_add_co_u32_e64 v70, s[0:1], s24, v70
	v_addc_co_u32_e64 v67, s[0:1], v67, v4, s[0:1]
	v_add_co_u32_e64 v72, s[0:1], s24, v72
	v_addc_co_u32_e64 v69, s[0:1], v69, v4, s[0:1]
	v_add_co_u32_e64 v74, s[0:1], s24, v74
	v_addc_co_u32_e64 v71, s[0:1], v71, v4, s[0:1]
	v_add_co_u32_e64 v76, s[0:1], s24, v76
	v_addc_co_u32_e64 v73, s[0:1], v73, v4, s[0:1]
	v_add_co_u32_e64 v78, s[0:1], s24, v78
	v_addc_co_u32_e64 v75, s[0:1], v75, v4, s[0:1]
	v_add_co_u32_e64 v80, s[0:1], s24, v80
	v_addc_co_u32_e64 v77, s[0:1], v77, v4, s[0:1]
	v_add_co_u32_e64 v82, s[0:1], s24, v82
	v_addc_co_u32_e64 v79, s[0:1], v79, v4, s[0:1]
	v_add_co_u32_e64 v84, s[0:1], s24, v84
	v_addc_co_u32_e64 v81, s[0:1], v81, v4, s[0:1]
	v_add_co_u32_e64 v86, s[0:1], s24, v86
	s_add_u32 s8, s8, s7
	v_addc_co_u32_e64 v83, s[0:1], v83, v4, s[0:1]
	s_addc_u32 s9, s9, 0
	s_cbranch_vccnz .LBB149_83
; %bb.82:                               ;   in Loop: Header=BB149_53 Depth=1
	v_mov_b32_e32 v91, v2
	s_branch .LBB149_53
.LBB149_83:
	v_bfe_u32 v1, v0, 10, 10
	v_and_b32_e32 v3, 0x3ff, v0
	s_movk_i32 s0, 0x41
	v_mad_u32_u24 v0, v1, s0, v3
	v_lshl_add_u32 v0, v0, 2, 0
	ds_write_b32 v0, v2
	v_mov_b32_e32 v2, 0
	ds_write_b32 v0, v2 offset:4160
	v_lshrrev_b32_e32 v0, 6, v3
	v_add_u32_e32 v2, v0, v1
	s_mov_b32 s7, 0
	v_cmp_gt_u32_e32 vcc, 64, v2
	s_waitcnt lgkmcnt(0)
	s_barrier
	s_and_saveexec_b64 s[0:1], vcc
	s_cbranch_execz .LBB149_90
; %bb.84:
	v_mbcnt_lo_u32_b32 v5, -1, 0
	v_mbcnt_hi_u32_b32 v7, -1, v5
	v_and_b32_e32 v4, 63, v3
	v_and_b32_e32 v5, 64, v7
	v_cmp_gt_u32_e32 vcc, 16, v4
	v_add_u32_e32 v8, 64, v5
	v_cmp_ne_u32_e64 s[0:1], 0, v3
	v_mul_u32_u24_e32 v3, 0x104, v4
	v_xor_b32_e32 v4, 8, v7
	v_cmp_lt_i32_e64 s[2:3], v4, v8
	v_xor_b32_e32 v5, 4, v7
	v_cndmask_b32_e64 v4, v7, v4, s[2:3]
	v_cmp_lt_i32_e64 s[2:3], v5, v8
	v_xor_b32_e32 v6, 2, v7
	v_cndmask_b32_e64 v5, v7, v5, s[2:3]
	;; [unrolled: 3-line block ×3, first 2 shown]
	v_cmp_lt_i32_e64 s[2:3], v9, v8
	s_load_dwordx2 s[10:11], s[4:5], 0x30
	v_cndmask_b32_e64 v7, v7, v9, s[2:3]
	v_add_co_u32_e64 v0, s[2:3], v0, v1
	s_lshl_b64 s[4:5], s[6:7], 6
	v_lshlrev_b32_e32 v2, 2, v2
	v_addc_co_u32_e64 v1, s[2:3], 0, 0, s[2:3]
	v_add3_u32 v8, v3, v2, 0
	v_mov_b32_e32 v3, s5
	v_add_co_u32_e64 v2, s[2:3], s4, v0
	v_addc_co_u32_e64 v3, s[2:3], v1, v3, s[2:3]
	v_lshlrev_b64 v[2:3], 2, v[2:3]
	s_waitcnt lgkmcnt(0)
	s_cmp_eq_u64 s[10:11], 0
	v_mov_b32_e32 v9, s11
	v_add_co_u32_e64 v2, s[2:3], s10, v2
	s_mov_b64 s[6:7], 0
	s_cselect_b64 s[8:9], -1, 0
	v_lshlrev_b32_e32 v4, 2, v4
	v_lshlrev_b32_e32 v5, 2, v5
	;; [unrolled: 1-line block ×4, first 2 shown]
	v_addc_co_u32_e64 v3, s[2:3], v9, v3, s[2:3]
	v_mov_b32_e32 v9, s5
                                        ; implicit-def: $vgpr10
	s_branch .LBB149_86
.LBB149_85:                             ;   in Loop: Header=BB149_86 Depth=1
	s_or_b64 exec, exec, s[2:3]
	v_add_co_u32_e64 v0, s[2:3], 16, v0
	v_addc_co_u32_e64 v1, s[2:3], 0, v1, s[2:3]
	v_add_u32_e32 v11, -16, v0
	v_cmp_lt_u32_e64 s[2:3], 47, v11
	s_or_b64 s[6:7], s[2:3], s[6:7]
	v_add_co_u32_e64 v2, s[2:3], 64, v2
	v_add_u32_e32 v8, 64, v8
	v_addc_co_u32_e64 v3, s[2:3], 0, v3, s[2:3]
	s_andn2_b64 exec, exec, s[6:7]
	s_cbranch_execz .LBB149_90
.LBB149_86:                             ; =>This Inner Loop Header: Depth=1
	s_and_saveexec_b64 s[2:3], vcc
	s_cbranch_execz .LBB149_88
; %bb.87:                               ;   in Loop: Header=BB149_86 Depth=1
	ds_read_b32 v10, v8
.LBB149_88:                             ;   in Loop: Header=BB149_86 Depth=1
	s_or_b64 exec, exec, s[2:3]
	s_waitcnt lgkmcnt(0)
	ds_bpermute_b32 v11, v4, v10
	s_waitcnt lgkmcnt(0)
	v_add_f32_e32 v10, v10, v11
	ds_bpermute_b32 v11, v5, v10
	s_waitcnt lgkmcnt(0)
	v_add_f32_e32 v10, v10, v11
	;; [unrolled: 3-line block ×3, first 2 shown]
	ds_bpermute_b32 v13, v7, v12
	v_add_co_u32_e64 v10, s[2:3], s4, v0
	v_addc_co_u32_e64 v11, s[2:3], v9, v1, s[2:3]
	v_cmp_le_i64_e64 s[2:3], s[14:15], v[10:11]
	s_or_b64 s[2:3], s[0:1], s[2:3]
	s_or_b64 s[2:3], s[8:9], s[2:3]
	s_waitcnt lgkmcnt(0)
	v_add_f32_e32 v10, v12, v13
	s_xor_b64 s[10:11], s[2:3], -1
	s_and_saveexec_b64 s[2:3], s[10:11]
	s_cbranch_execz .LBB149_85
; %bb.89:                               ;   in Loop: Header=BB149_86 Depth=1
	global_store_dword v[2:3], v10, off
	s_branch .LBB149_85
.LBB149_90:
	s_endpgm
	.section	.rodata,"a",@progbits
	.p2align	6, 0x0
	.amdhsa_kernel _ZN2at6native12_GLOBAL__N_135GammaBetaBackwardCUDAKernelTemplateIffLj64ELj16ELj128ELb0ELb0ELb1EEEvllPKT_S5_PKT0_S8_PS3_S9_
		.amdhsa_group_segment_fixed_size 0
		.amdhsa_private_segment_fixed_size 0
		.amdhsa_kernarg_size 320
		.amdhsa_user_sgpr_count 6
		.amdhsa_user_sgpr_private_segment_buffer 1
		.amdhsa_user_sgpr_dispatch_ptr 0
		.amdhsa_user_sgpr_queue_ptr 0
		.amdhsa_user_sgpr_kernarg_segment_ptr 1
		.amdhsa_user_sgpr_dispatch_id 0
		.amdhsa_user_sgpr_flat_scratch_init 0
		.amdhsa_user_sgpr_kernarg_preload_length 0
		.amdhsa_user_sgpr_kernarg_preload_offset 0
		.amdhsa_user_sgpr_private_segment_size 0
		.amdhsa_uses_dynamic_stack 0
		.amdhsa_system_sgpr_private_segment_wavefront_offset 0
		.amdhsa_system_sgpr_workgroup_id_x 1
		.amdhsa_system_sgpr_workgroup_id_y 1
		.amdhsa_system_sgpr_workgroup_id_z 0
		.amdhsa_system_sgpr_workgroup_info 0
		.amdhsa_system_vgpr_workitem_id 1
		.amdhsa_next_free_vgpr 95
		.amdhsa_next_free_sgpr 42
		.amdhsa_accum_offset 96
		.amdhsa_reserve_vcc 1
		.amdhsa_reserve_flat_scratch 0
		.amdhsa_float_round_mode_32 0
		.amdhsa_float_round_mode_16_64 0
		.amdhsa_float_denorm_mode_32 3
		.amdhsa_float_denorm_mode_16_64 3
		.amdhsa_dx10_clamp 1
		.amdhsa_ieee_mode 1
		.amdhsa_fp16_overflow 0
		.amdhsa_tg_split 0
		.amdhsa_exception_fp_ieee_invalid_op 0
		.amdhsa_exception_fp_denorm_src 0
		.amdhsa_exception_fp_ieee_div_zero 0
		.amdhsa_exception_fp_ieee_overflow 0
		.amdhsa_exception_fp_ieee_underflow 0
		.amdhsa_exception_fp_ieee_inexact 0
		.amdhsa_exception_int_div_zero 0
	.end_amdhsa_kernel
	.section	.text._ZN2at6native12_GLOBAL__N_135GammaBetaBackwardCUDAKernelTemplateIffLj64ELj16ELj128ELb0ELb0ELb1EEEvllPKT_S5_PKT0_S8_PS3_S9_,"axG",@progbits,_ZN2at6native12_GLOBAL__N_135GammaBetaBackwardCUDAKernelTemplateIffLj64ELj16ELj128ELb0ELb0ELb1EEEvllPKT_S5_PKT0_S8_PS3_S9_,comdat
.Lfunc_end149:
	.size	_ZN2at6native12_GLOBAL__N_135GammaBetaBackwardCUDAKernelTemplateIffLj64ELj16ELj128ELb0ELb0ELb1EEEvllPKT_S5_PKT0_S8_PS3_S9_, .Lfunc_end149-_ZN2at6native12_GLOBAL__N_135GammaBetaBackwardCUDAKernelTemplateIffLj64ELj16ELj128ELb0ELb0ELb1EEEvllPKT_S5_PKT0_S8_PS3_S9_
                                        ; -- End function
	.section	.AMDGPU.csdata,"",@progbits
; Kernel info:
; codeLenInByte = 6712
; NumSgprs: 46
; NumVgprs: 95
; NumAgprs: 0
; TotalNumVgprs: 95
; ScratchSize: 0
; MemoryBound: 0
; FloatMode: 240
; IeeeMode: 1
; LDSByteSize: 0 bytes/workgroup (compile time only)
; SGPRBlocks: 5
; VGPRBlocks: 11
; NumSGPRsForWavesPerEU: 46
; NumVGPRsForWavesPerEU: 95
; AccumOffset: 96
; Occupancy: 5
; WaveLimiterHint : 0
; COMPUTE_PGM_RSRC2:SCRATCH_EN: 0
; COMPUTE_PGM_RSRC2:USER_SGPR: 6
; COMPUTE_PGM_RSRC2:TRAP_HANDLER: 0
; COMPUTE_PGM_RSRC2:TGID_X_EN: 1
; COMPUTE_PGM_RSRC2:TGID_Y_EN: 1
; COMPUTE_PGM_RSRC2:TGID_Z_EN: 0
; COMPUTE_PGM_RSRC2:TIDIG_COMP_CNT: 1
; COMPUTE_PGM_RSRC3_GFX90A:ACCUM_OFFSET: 23
; COMPUTE_PGM_RSRC3_GFX90A:TG_SPLIT: 0
	.section	.text._ZN2at6native12_GLOBAL__N_135GammaBetaBackwardCUDAKernelTemplateIffLj64ELj16ELj256ELb0ELb1ELb1EEEvllPKT_S5_PKT0_S8_PS3_S9_,"axG",@progbits,_ZN2at6native12_GLOBAL__N_135GammaBetaBackwardCUDAKernelTemplateIffLj64ELj16ELj256ELb0ELb1ELb1EEEvllPKT_S5_PKT0_S8_PS3_S9_,comdat
	.globl	_ZN2at6native12_GLOBAL__N_135GammaBetaBackwardCUDAKernelTemplateIffLj64ELj16ELj256ELb0ELb1ELb1EEEvllPKT_S5_PKT0_S8_PS3_S9_ ; -- Begin function _ZN2at6native12_GLOBAL__N_135GammaBetaBackwardCUDAKernelTemplateIffLj64ELj16ELj256ELb0ELb1ELb1EEEvllPKT_S5_PKT0_S8_PS3_S9_
	.p2align	8
	.type	_ZN2at6native12_GLOBAL__N_135GammaBetaBackwardCUDAKernelTemplateIffLj64ELj16ELj256ELb0ELb1ELb1EEEvllPKT_S5_PKT0_S8_PS3_S9_,@function
_ZN2at6native12_GLOBAL__N_135GammaBetaBackwardCUDAKernelTemplateIffLj64ELj16ELj256ELb0ELb1ELb1EEEvllPKT_S5_PKT0_S8_PS3_S9_: ; @_ZN2at6native12_GLOBAL__N_135GammaBetaBackwardCUDAKernelTemplateIffLj64ELj16ELj256ELb0ELb1ELb1EEEvllPKT_S5_PKT0_S8_PS3_S9_
; %bb.0:
	s_load_dwordx4 s[8:11], s[4:5], 0x0
	s_lshl_b32 s16, s7, 8
	s_mov_b32 s17, 0
	v_bfe_u32 v36, v0, 10, 10
	s_waitcnt lgkmcnt(0)
	v_pk_mov_b32 v[2:3], s[8:9], s[8:9] op_sel:[0,1]
	v_cmp_lt_i64_e32 vcc, s[16:17], v[2:3]
	s_cbranch_vccnz .LBB150_2
; %bb.1:
	s_mov_b64 s[0:1], 0
	v_bfe_u32 v1, v0, 10, 10
	s_branch .LBB150_3
.LBB150_2:
	s_mov_b64 s[0:1], -1
                                        ; implicit-def: $vgpr1
.LBB150_3:
	s_load_dwordx2 s[2:3], s[4:5], 0x30
	v_and_b32_e32 v34, 0x3ff, v0
	s_andn2_b64 vcc, exec, s[0:1]
	v_mov_b32_e32 v9, s17
	v_mbcnt_lo_u32_b32 v35, -1, 0
	s_cbranch_vccnz .LBB150_11
; %bb.4:
	s_load_dword s0, s[4:5], 0x4c
	s_load_dword s7, s[4:5], 0x44
	s_load_dwordx4 s[12:15], s[4:5], 0x10
	s_load_dwordx2 s[18:19], s[4:5], 0x28
	v_mbcnt_hi_u32_b32 v2, -1, v35
	v_lshlrev_b32_e32 v0, 4, v36
	s_waitcnt lgkmcnt(0)
	s_and_b32 s0, s0, 0xffff
	v_lshlrev_b32_e32 v2, 2, v2
	v_mad_u32_u24 v1, v36, s0, v34
	v_and_b32_e32 v37, 0x100, v2
	v_mov_b32_e32 v2, s17
	v_add_co_u32_e32 v4, vcc, s16, v0
	v_and_b32_e32 v1, 63, v1
	v_addc_co_u32_e32 v5, vcc, 0, v2, vcc
	v_add_co_u32_e32 v0, vcc, v4, v1
	v_cmp_gt_u32_e64 s[0:1], 16, v1
	v_addc_co_u32_e32 v1, vcc, 0, v5, vcc
	v_lshlrev_b64 v[2:3], 2, v[0:1]
	v_mov_b32_e32 v6, s19
	v_add_co_u32_e32 v2, vcc, s18, v2
	s_lshl_b32 s4, s7, 8
	v_addc_co_u32_e32 v3, vcc, v6, v3, vcc
	v_mul_lo_u32 v6, s11, v4
	v_mul_lo_u32 v7, s10, v5
	v_mad_u64_u32 v[4:5], s[20:21], s10, v4, 0
	v_mov_b32_e32 v9, 0
	v_lshl_add_u32 v8, s6, 6, v34
	v_add3_u32 v5, v5, v7, v6
	s_mul_i32 s7, s11, s4
	s_mul_hi_u32 s20, s10, s4
	s_mov_b32 s5, 0
	v_lshlrev_b64 v[4:5], 2, v[4:5]
	v_lshlrev_b64 v[6:7], 2, v[8:9]
	s_add_i32 s21, s20, s7
	s_mul_i32 s20, s10, s4
	s_lshl_b64 s[18:19], s[4:5], 2
	v_add_co_u32_e32 v4, vcc, v4, v6
	s_lshl_b64 s[20:21], s[20:21], 2
	s_lshl_b64 s[10:11], s[10:11], 2
	v_or_b32_e32 v38, 4, v37
	v_or_b32_e32 v39, 8, v37
	;; [unrolled: 1-line block ×15, first 2 shown]
	v_addc_co_u32_e32 v5, vcc, v5, v7, vcc
	v_mov_b32_e32 v8, s13
	v_mov_b32_e32 v53, s15
	;; [unrolled: 1-line block ×6, first 2 shown]
	v_pk_mov_b32 v[6:7], s[8:9], s[8:9] op_sel:[0,1]
	s_branch .LBB150_7
.LBB150_5:                              ;   in Loop: Header=BB150_7 Depth=1
	s_or_b64 exec, exec, s[24:25]
.LBB150_6:                              ;   in Loop: Header=BB150_7 Depth=1
	s_or_b64 exec, exec, s[22:23]
	v_add_co_u32_e32 v10, vcc, s12, v4
	v_addc_co_u32_e32 v11, vcc, v8, v5, vcc
	v_add_co_u32_e32 v12, vcc, s14, v4
	v_addc_co_u32_e32 v13, vcc, v53, v5, vcc
	global_load_dword v59, v[10:11], off
	v_add_co_u32_e32 v10, vcc, s10, v10
	v_addc_co_u32_e32 v11, vcc, v11, v54, vcc
	global_load_dword v63, v[12:13], off
	;; [unrolled: 3-line block ×5, first 2 shown]
	v_add_co_u32_e32 v10, vcc, s10, v10
	v_addc_co_u32_e32 v11, vcc, v11, v54, vcc
	v_add_co_u32_e32 v14, vcc, s10, v12
	v_addc_co_u32_e32 v15, vcc, v13, v54, vcc
	global_load_dword v62, v[10:11], off
	v_add_co_u32_e32 v10, vcc, s10, v10
	v_addc_co_u32_e32 v11, vcc, v11, v54, vcc
	v_add_co_u32_e32 v16, vcc, s10, v14
	global_load_dword v61, v[12:13], off
	global_load_dword v65, v[14:15], off
	v_addc_co_u32_e32 v17, vcc, v15, v54, vcc
	global_load_dword v12, v[10:11], off
	v_add_co_u32_e32 v10, vcc, s10, v10
	v_addc_co_u32_e32 v11, vcc, v11, v54, vcc
	global_load_dword v14, v[16:17], off
	v_add_co_u32_e32 v16, vcc, s10, v16
	v_addc_co_u32_e32 v17, vcc, v17, v54, vcc
	v_add_co_u32_e32 v18, vcc, s10, v10
	v_addc_co_u32_e32 v19, vcc, v11, v54, vcc
	;; [unrolled: 2-line block ×3, first 2 shown]
	global_load_dword v13, v[10:11], off
	global_load_dword v15, v[16:17], off
	s_waitcnt vmcnt(12)
	ds_bpermute_b32 v67, v37, v58
	global_load_dword v10, v[18:19], off
	v_add_co_u32_e32 v18, vcc, s10, v18
	v_addc_co_u32_e32 v19, vcc, v19, v54, vcc
	global_load_dword v16, v[20:21], off
	v_add_co_u32_e32 v20, vcc, s10, v20
	v_addc_co_u32_e32 v21, vcc, v21, v54, vcc
	v_add_co_u32_e32 v24, vcc, s10, v18
	v_addc_co_u32_e32 v25, vcc, v19, v54, vcc
	global_load_dword v17, v[20:21], off
	v_add_co_u32_e32 v20, vcc, s10, v20
	v_addc_co_u32_e32 v21, vcc, v21, v54, vcc
	global_load_dword v11, v[18:19], off
	global_load_dword v22, v[20:21], off
	s_add_u32 s16, s16, s4
	global_load_dword v18, v[24:25], off
	v_add_co_u32_e32 v24, vcc, s10, v24
	v_addc_co_u32_e32 v25, vcc, v25, v54, vcc
	v_add_co_u32_e32 v26, vcc, s10, v20
	v_addc_co_u32_e32 v27, vcc, v21, v54, vcc
	;; [unrolled: 2-line block ×3, first 2 shown]
	global_load_dword v23, v[26:27], off
	v_add_co_u32_e32 v26, vcc, s10, v26
	global_load_dword v19, v[24:25], off
	v_addc_co_u32_e32 v27, vcc, v27, v54, vcc
	global_load_dword v20, v[28:29], off
	v_add_co_u32_e32 v28, vcc, s10, v28
	v_addc_co_u32_e32 v29, vcc, v29, v54, vcc
	v_add_co_u32_e32 v30, vcc, s10, v26
	v_addc_co_u32_e32 v31, vcc, v27, v54, vcc
	global_load_dword v21, v[28:29], off
	v_add_co_u32_e32 v28, vcc, s10, v28
	v_addc_co_u32_e32 v29, vcc, v29, v54, vcc
	global_load_dword v24, v[26:27], off
	global_load_dword v25, v[30:31], off
	v_add_co_u32_e32 v32, vcc, s10, v30
	v_addc_co_u32_e32 v33, vcc, v31, v54, vcc
	global_load_dword v26, v[28:29], off
	v_add_co_u32_e32 v28, vcc, s10, v28
	v_addc_co_u32_e32 v29, vcc, v29, v54, vcc
	;; [unrolled: 3-line block ×3, first 2 shown]
	v_add_co_u32_e32 v68, vcc, s10, v28
	global_load_dword v27, v[28:29], off
	global_load_dword v31, v[32:33], off
	v_addc_co_u32_e32 v69, vcc, v29, v54, vcc
	v_add_co_u32_e32 v70, vcc, s10, v32
	v_addc_co_u32_e32 v71, vcc, v33, v54, vcc
	global_load_dword v28, v[68:69], off
	v_add_co_u32_e32 v68, vcc, s10, v68
	v_addc_co_u32_e32 v69, vcc, v69, v54, vcc
	global_load_dword v29, v[68:69], off
	v_add_co_u32_e32 v68, vcc, s10, v70
	v_addc_co_u32_e32 v69, vcc, v71, v54, vcc
	global_load_dword v32, v[70:71], off
	global_load_dword v33, v[68:69], off
	s_waitcnt vmcnt(30)
	v_mul_f32_e32 v59, v59, v63
	s_waitcnt lgkmcnt(0)
	v_fmac_f32_e32 v9, v59, v67
	ds_bpermute_b32 v59, v38, v58
	s_waitcnt vmcnt(28)
	v_mul_f32_e32 v63, v64, v66
	s_waitcnt vmcnt(25)
	v_mul_f32_e32 v60, v60, v61
	ds_bpermute_b32 v61, v42, v58
	s_waitcnt vmcnt(20)
	v_pk_mul_f32 v[12:13], v[12:13], v[14:15]
	s_waitcnt lgkmcnt(1)
	v_fmac_f32_e32 v9, v63, v59
	ds_bpermute_b32 v59, v39, v58
	s_waitcnt vmcnt(16)
	v_pk_mul_f32 v[10:11], v[10:11], v[16:17]
	v_add_co_u32_e32 v2, vcc, s18, v2
	v_addc_co_u32_e32 v3, vcc, v3, v55, vcc
	s_waitcnt lgkmcnt(0)
	v_fmac_f32_e32 v9, v60, v59
	ds_bpermute_b32 v59, v40, v58
	v_mul_f32_e32 v60, v62, v65
	v_add_co_u32_e32 v0, vcc, s4, v0
	v_addc_co_u32_e32 v1, vcc, v1, v56, vcc
	s_waitcnt lgkmcnt(0)
	v_fmac_f32_e32 v9, v60, v59
	ds_bpermute_b32 v60, v41, v58
	v_add_co_u32_e32 v4, vcc, s20, v4
	s_addc_u32 s17, s17, 0
	v_addc_co_u32_e32 v5, vcc, v5, v57, vcc
	s_waitcnt lgkmcnt(0)
	v_pk_mul_f32 v[12:13], v[12:13], v[60:61]
	v_add_f32_e32 v9, v9, v12
	v_add_f32_e32 v9, v9, v13
	ds_bpermute_b32 v12, v43, v58
	ds_bpermute_b32 v13, v44, v58
	v_cmp_lt_i64_e32 vcc, s[16:17], v[6:7]
	s_and_b64 vcc, exec, vcc
	s_waitcnt lgkmcnt(0)
	v_pk_mul_f32 v[10:11], v[10:11], v[12:13]
	v_add_f32_e32 v9, v9, v10
	v_add_f32_e32 v9, v9, v11
	ds_bpermute_b32 v10, v45, v58
	ds_bpermute_b32 v11, v46, v58
	s_waitcnt vmcnt(12)
	v_pk_mul_f32 v[12:13], v[18:19], v[22:23]
	s_waitcnt lgkmcnt(0)
	v_pk_mul_f32 v[10:11], v[12:13], v[10:11]
	v_add_f32_e32 v9, v9, v10
	v_add_f32_e32 v9, v9, v11
	ds_bpermute_b32 v10, v47, v58
	ds_bpermute_b32 v11, v48, v58
	s_waitcnt vmcnt(8)
	v_pk_mul_f32 v[12:13], v[20:21], v[24:25]
	;; [unrolled: 8-line block ×4, first 2 shown]
	s_waitcnt lgkmcnt(0)
	v_pk_mul_f32 v[10:11], v[12:13], v[10:11]
	v_add_f32_e32 v9, v9, v10
	v_add_f32_e32 v9, v9, v11
	s_cbranch_vccz .LBB150_10
.LBB150_7:                              ; =>This Inner Loop Header: Depth=1
	v_mov_b32_e32 v58, 0
	s_and_saveexec_b64 s[22:23], s[0:1]
	s_cbranch_execz .LBB150_6
; %bb.8:                                ;   in Loop: Header=BB150_7 Depth=1
	v_cmp_gt_i64_e32 vcc, s[8:9], v[0:1]
	v_mov_b32_e32 v58, 0
	s_and_saveexec_b64 s[24:25], vcc
	s_cbranch_execz .LBB150_5
; %bb.9:                                ;   in Loop: Header=BB150_7 Depth=1
	global_load_dword v58, v[2:3], off
	s_branch .LBB150_5
.LBB150_10:
	v_mov_b32_e32 v1, v36
.LBB150_11:
	s_movk_i32 s0, 0x41
	v_mad_u32_u24 v0, v1, s0, v34
	v_lshl_add_u32 v0, v0, 2, 0
	v_mov_b32_e32 v2, 0
	ds_write_b32 v0, v9
	ds_write_b32 v0, v2 offset:4160
	v_lshrrev_b32_e32 v0, 6, v34
	v_add_u32_e32 v7, v0, v1
	s_mov_b32 s7, 0
	v_cmp_gt_u32_e32 vcc, 64, v7
	s_waitcnt lgkmcnt(0)
	s_barrier
	s_and_saveexec_b64 s[0:1], vcc
	s_cbranch_execz .LBB150_18
; %bb.12:
	v_mbcnt_hi_u32_b32 v5, -1, v35
	v_and_b32_e32 v2, 63, v34
	v_and_b32_e32 v3, 64, v5
	s_cmp_lg_u64 s[2:3], 0
	v_cmp_gt_u32_e32 vcc, 16, v2
	v_add_u32_e32 v6, 64, v3
	v_cmp_eq_u32_e64 s[0:1], 0, v34
	s_cselect_b64 s[8:9], -1, 0
	v_mul_u32_u24_e32 v8, 0x104, v2
	v_xor_b32_e32 v2, 8, v5
	s_and_b64 s[8:9], s[0:1], s[8:9]
	v_cmp_lt_i32_e64 s[0:1], v2, v6
	v_xor_b32_e32 v3, 4, v5
	v_cndmask_b32_e64 v2, v5, v2, s[0:1]
	v_cmp_lt_i32_e64 s[0:1], v3, v6
	v_xor_b32_e32 v4, 2, v5
	v_cndmask_b32_e64 v3, v5, v3, s[0:1]
	;; [unrolled: 3-line block ×3, first 2 shown]
	v_cmp_lt_i32_e64 s[0:1], v9, v6
	v_cndmask_b32_e64 v5, v5, v9, s[0:1]
	v_add_co_u32_e64 v0, s[0:1], v0, v1
	s_lshl_b64 s[6:7], s[6:7], 8
	v_addc_co_u32_e64 v1, s[0:1], 0, 0, s[0:1]
	s_add_u32 s0, s2, s6
	v_lshlrev_b32_e32 v6, 2, v7
	v_lshlrev_b64 v[0:1], 2, v[0:1]
	s_addc_u32 s1, s3, s7
	v_add3_u32 v6, v8, v6, 0
	v_mov_b32_e32 v8, s1
	v_add_co_u32_e64 v0, s[0:1], s0, v0
	s_mov_b64 s[4:5], 0
	v_lshlrev_b32_e32 v2, 2, v2
	v_lshlrev_b32_e32 v3, 2, v3
	;; [unrolled: 1-line block ×4, first 2 shown]
	v_add_u32_e32 v7, -16, v7
	v_addc_co_u32_e64 v1, s[0:1], v8, v1, s[0:1]
                                        ; implicit-def: $vgpr8
	s_branch .LBB150_14
.LBB150_13:                             ;   in Loop: Header=BB150_14 Depth=1
	s_or_b64 exec, exec, s[0:1]
	v_add_u32_e32 v7, 16, v7
	v_cmp_lt_u32_e64 s[0:1], 47, v7
	s_or_b64 s[4:5], s[0:1], s[4:5]
	v_add_co_u32_e64 v0, s[0:1], 64, v0
	v_add_u32_e32 v6, 64, v6
	v_addc_co_u32_e64 v1, s[0:1], 0, v1, s[0:1]
	s_andn2_b64 exec, exec, s[4:5]
	s_cbranch_execz .LBB150_18
.LBB150_14:                             ; =>This Inner Loop Header: Depth=1
	s_and_saveexec_b64 s[0:1], vcc
	s_cbranch_execz .LBB150_16
; %bb.15:                               ;   in Loop: Header=BB150_14 Depth=1
	ds_read_b32 v8, v6
.LBB150_16:                             ;   in Loop: Header=BB150_14 Depth=1
	s_or_b64 exec, exec, s[0:1]
	s_waitcnt lgkmcnt(0)
	ds_bpermute_b32 v9, v2, v8
	s_waitcnt lgkmcnt(0)
	v_add_f32_e32 v8, v8, v9
	ds_bpermute_b32 v9, v3, v8
	s_waitcnt lgkmcnt(0)
	v_add_f32_e32 v8, v8, v9
	;; [unrolled: 3-line block ×4, first 2 shown]
	s_and_saveexec_b64 s[0:1], s[8:9]
	s_cbranch_execz .LBB150_13
; %bb.17:                               ;   in Loop: Header=BB150_14 Depth=1
	global_store_dword v[0:1], v8, off
	s_branch .LBB150_13
.LBB150_18:
	s_endpgm
	.section	.rodata,"a",@progbits
	.p2align	6, 0x0
	.amdhsa_kernel _ZN2at6native12_GLOBAL__N_135GammaBetaBackwardCUDAKernelTemplateIffLj64ELj16ELj256ELb0ELb1ELb1EEEvllPKT_S5_PKT0_S8_PS3_S9_
		.amdhsa_group_segment_fixed_size 0
		.amdhsa_private_segment_fixed_size 0
		.amdhsa_kernarg_size 320
		.amdhsa_user_sgpr_count 6
		.amdhsa_user_sgpr_private_segment_buffer 1
		.amdhsa_user_sgpr_dispatch_ptr 0
		.amdhsa_user_sgpr_queue_ptr 0
		.amdhsa_user_sgpr_kernarg_segment_ptr 1
		.amdhsa_user_sgpr_dispatch_id 0
		.amdhsa_user_sgpr_flat_scratch_init 0
		.amdhsa_user_sgpr_kernarg_preload_length 0
		.amdhsa_user_sgpr_kernarg_preload_offset 0
		.amdhsa_user_sgpr_private_segment_size 0
		.amdhsa_uses_dynamic_stack 0
		.amdhsa_system_sgpr_private_segment_wavefront_offset 0
		.amdhsa_system_sgpr_workgroup_id_x 1
		.amdhsa_system_sgpr_workgroup_id_y 1
		.amdhsa_system_sgpr_workgroup_id_z 0
		.amdhsa_system_sgpr_workgroup_info 0
		.amdhsa_system_vgpr_workitem_id 1
		.amdhsa_next_free_vgpr 72
		.amdhsa_next_free_sgpr 26
		.amdhsa_accum_offset 72
		.amdhsa_reserve_vcc 1
		.amdhsa_reserve_flat_scratch 0
		.amdhsa_float_round_mode_32 0
		.amdhsa_float_round_mode_16_64 0
		.amdhsa_float_denorm_mode_32 3
		.amdhsa_float_denorm_mode_16_64 3
		.amdhsa_dx10_clamp 1
		.amdhsa_ieee_mode 1
		.amdhsa_fp16_overflow 0
		.amdhsa_tg_split 0
		.amdhsa_exception_fp_ieee_invalid_op 0
		.amdhsa_exception_fp_denorm_src 0
		.amdhsa_exception_fp_ieee_div_zero 0
		.amdhsa_exception_fp_ieee_overflow 0
		.amdhsa_exception_fp_ieee_underflow 0
		.amdhsa_exception_fp_ieee_inexact 0
		.amdhsa_exception_int_div_zero 0
	.end_amdhsa_kernel
	.section	.text._ZN2at6native12_GLOBAL__N_135GammaBetaBackwardCUDAKernelTemplateIffLj64ELj16ELj256ELb0ELb1ELb1EEEvllPKT_S5_PKT0_S8_PS3_S9_,"axG",@progbits,_ZN2at6native12_GLOBAL__N_135GammaBetaBackwardCUDAKernelTemplateIffLj64ELj16ELj256ELb0ELb1ELb1EEEvllPKT_S5_PKT0_S8_PS3_S9_,comdat
.Lfunc_end150:
	.size	_ZN2at6native12_GLOBAL__N_135GammaBetaBackwardCUDAKernelTemplateIffLj64ELj16ELj256ELb0ELb1ELb1EEEvllPKT_S5_PKT0_S8_PS3_S9_, .Lfunc_end150-_ZN2at6native12_GLOBAL__N_135GammaBetaBackwardCUDAKernelTemplateIffLj64ELj16ELj256ELb0ELb1ELb1EEEvllPKT_S5_PKT0_S8_PS3_S9_
                                        ; -- End function
	.section	.AMDGPU.csdata,"",@progbits
; Kernel info:
; codeLenInByte = 1880
; NumSgprs: 30
; NumVgprs: 72
; NumAgprs: 0
; TotalNumVgprs: 72
; ScratchSize: 0
; MemoryBound: 0
; FloatMode: 240
; IeeeMode: 1
; LDSByteSize: 0 bytes/workgroup (compile time only)
; SGPRBlocks: 3
; VGPRBlocks: 8
; NumSGPRsForWavesPerEU: 30
; NumVGPRsForWavesPerEU: 72
; AccumOffset: 72
; Occupancy: 7
; WaveLimiterHint : 0
; COMPUTE_PGM_RSRC2:SCRATCH_EN: 0
; COMPUTE_PGM_RSRC2:USER_SGPR: 6
; COMPUTE_PGM_RSRC2:TRAP_HANDLER: 0
; COMPUTE_PGM_RSRC2:TGID_X_EN: 1
; COMPUTE_PGM_RSRC2:TGID_Y_EN: 1
; COMPUTE_PGM_RSRC2:TGID_Z_EN: 0
; COMPUTE_PGM_RSRC2:TIDIG_COMP_CNT: 1
; COMPUTE_PGM_RSRC3_GFX90A:ACCUM_OFFSET: 17
; COMPUTE_PGM_RSRC3_GFX90A:TG_SPLIT: 0
	.section	.text._ZN2at6native12_GLOBAL__N_135GammaBetaBackwardCUDAKernelTemplateIffLj64ELj16ELj256ELb0ELb0ELb1EEEvllPKT_S5_PKT0_S8_PS3_S9_,"axG",@progbits,_ZN2at6native12_GLOBAL__N_135GammaBetaBackwardCUDAKernelTemplateIffLj64ELj16ELj256ELb0ELb0ELb1EEEvllPKT_S5_PKT0_S8_PS3_S9_,comdat
	.globl	_ZN2at6native12_GLOBAL__N_135GammaBetaBackwardCUDAKernelTemplateIffLj64ELj16ELj256ELb0ELb0ELb1EEEvllPKT_S5_PKT0_S8_PS3_S9_ ; -- Begin function _ZN2at6native12_GLOBAL__N_135GammaBetaBackwardCUDAKernelTemplateIffLj64ELj16ELj256ELb0ELb0ELb1EEEvllPKT_S5_PKT0_S8_PS3_S9_
	.p2align	8
	.type	_ZN2at6native12_GLOBAL__N_135GammaBetaBackwardCUDAKernelTemplateIffLj64ELj16ELj256ELb0ELb0ELb1EEEvllPKT_S5_PKT0_S8_PS3_S9_,@function
_ZN2at6native12_GLOBAL__N_135GammaBetaBackwardCUDAKernelTemplateIffLj64ELj16ELj256ELb0ELb0ELb1EEEvllPKT_S5_PKT0_S8_PS3_S9_: ; @_ZN2at6native12_GLOBAL__N_135GammaBetaBackwardCUDAKernelTemplateIffLj64ELj16ELj256ELb0ELb0ELb1EEEvllPKT_S5_PKT0_S8_PS3_S9_
; %bb.0:
	s_mov_b64 s[54:55], s[2:3]
	s_load_dwordx8 s[36:43], s[4:5], 0x0
	s_load_dwordx2 s[28:29], s[4:5], 0x28
	s_mov_b64 s[52:53], s[0:1]
	s_add_u32 s52, s52, s8
	s_addc_u32 s53, s53, 0
	s_lshl_b32 s33, s6, 6
	v_mov_b32_e32 v122, v0
	s_or_b32 s30, s33, 63
	s_mov_b32 s31, 0
	s_waitcnt lgkmcnt(0)
	v_pk_mov_b32 v[0:1], s[38:39], s[38:39] op_sel:[0,1]
	v_cmp_ge_i64_e32 vcc, s[30:31], v[0:1]
	s_lshl_b32 s30, s7, 8
	v_pk_mov_b32 v[0:1], s[36:37], s[36:37] op_sel:[0,1]
	v_cmp_lt_i64_e64 s[0:1], s[30:31], v[0:1]
	v_cndmask_b32_e64 v0, 0, 1, s[0:1]
	v_cmp_ne_u32_e64 s[0:1], 1, v0
	s_cbranch_vccz .LBB151_81
; %bb.1:
	s_and_b64 vcc, exec, s[0:1]
	v_mov_b32_e32 v2, 0
	s_cbranch_vccnz .LBB151_82
; %bb.2:
	v_bfe_u32 v0, v122, 10, 10
	v_lshlrev_b32_e32 v50, 4, v0
	v_mov_b32_e32 v1, s31
	v_add_co_u32_e32 v2, vcc, s30, v50
	v_addc_co_u32_e32 v8, vcc, 0, v1, vcc
	v_add_co_u32_e32 v1, vcc, 15, v2
	v_addc_co_u32_e32 v3, vcc, 0, v8, vcc
	v_mul_lo_u32 v6, s39, v1
	v_mul_lo_u32 v3, s38, v3
	v_mad_u64_u32 v[4:5], s[2:3], s38, v1, 0
	v_add3_u32 v5, v5, v3, v6
	v_lshlrev_b64 v[6:7], 2, v[4:5]
	v_mov_b32_e32 v3, s41
	v_add_co_u32_e32 v52, vcc, s40, v6
	v_addc_co_u32_e32 v1, vcc, v3, v7, vcc
	v_mov_b32_e32 v4, s43
	v_add_co_u32_e32 v54, vcc, s42, v6
	v_addc_co_u32_e32 v51, vcc, v4, v7, vcc
	v_add_co_u32_e32 v5, vcc, 14, v2
	v_addc_co_u32_e32 v6, vcc, 0, v8, vcc
	v_mul_lo_u32 v9, s39, v5
	v_mul_lo_u32 v10, s38, v6
	v_mad_u64_u32 v[6:7], s[2:3], s38, v5, 0
	v_add3_u32 v7, v7, v10, v9
	v_lshlrev_b64 v[6:7], 2, v[6:7]
	v_add_co_u32_e32 v56, vcc, s40, v6
	v_addc_co_u32_e32 v53, vcc, v3, v7, vcc
	v_add_co_u32_e32 v58, vcc, s42, v6
	v_addc_co_u32_e32 v55, vcc, v4, v7, vcc
	v_add_co_u32_e32 v5, vcc, 13, v2
	v_addc_co_u32_e32 v6, vcc, 0, v8, vcc
	v_mul_lo_u32 v9, s39, v5
	v_mul_lo_u32 v10, s38, v6
	v_mad_u64_u32 v[6:7], s[2:3], s38, v5, 0
	v_add3_u32 v7, v7, v10, v9
	v_lshlrev_b64 v[6:7], 2, v[6:7]
	v_add_co_u32_e32 v60, vcc, s40, v6
	v_addc_co_u32_e32 v57, vcc, v3, v7, vcc
	;; [unrolled: 11-line block ×13, first 2 shown]
	v_add_co_u32_e32 v106, vcc, s42, v6
	v_addc_co_u32_e32 v103, vcc, v4, v7, vcc
	v_pk_mov_b32 v[6:7], s[38:39], s[38:39] op_sel:[0,1]
	v_mad_u64_u32 v[6:7], s[2:3], s38, v2, v[6:7]
	v_mul_lo_u32 v5, s38, v8
	v_mul_lo_u32 v10, s39, v2
	v_add3_u32 v7, v10, v7, v5
	v_lshlrev_b64 v[6:7], 2, v[6:7]
	v_add_co_u32_e32 v108, vcc, s40, v6
	s_load_dword s7, s[4:5], 0x44
	v_mad_u64_u32 v[8:9], s[2:3], s38, v2, 0
	v_addc_co_u32_e32 v105, vcc, v3, v7, vcc
	v_add3_u32 v9, v9, v5, v10
	v_add_co_u32_e32 v110, vcc, s42, v6
	v_addc_co_u32_e32 v107, vcc, v4, v7, vcc
	v_lshlrev_b64 v[6:7], 2, v[8:9]
	v_add_co_u32_e32 v112, vcc, s40, v6
	s_add_u32 s10, s4, 64
	v_addc_co_u32_e32 v109, vcc, v3, v7, vcc
	s_addc_u32 s11, s5, 0
	s_waitcnt lgkmcnt(0)
	s_lshl_b32 s7, s7, 8
	v_add_co_u32_e32 v114, vcc, s42, v6
	s_mul_i32 s8, s39, s7
	s_mul_hi_u32 s9, s38, s7
	v_addc_co_u32_e32 v111, vcc, v4, v7, vcc
	s_add_i32 s9, s9, s8
	s_mul_i32 s8, s38, s7
	v_mbcnt_lo_u32_b32 v4, -1, 0
	v_and_b32_e32 v113, 0x3ff, v122
	s_lshl_b64 s[34:35], s[8:9], 2
	v_mbcnt_hi_u32_b32 v4, -1, v4
	v_add_u32_e32 v2, s33, v113
	v_mov_b32_e32 v3, 0
	s_add_u32 s44, s30, 0xff
	v_lshlrev_b32_e32 v4, 2, v4
	s_mov_b32 s12, 0
	v_cmp_gt_i64_e64 s[2:3], s[38:39], v[2:3]
	s_addc_u32 s45, 0, 0
	v_and_b32_e32 v115, 0x100, v4
	s_mov_b64 s[46:47], s[30:31]
	v_mov_b32_e32 v118, 0
	v_lshlrev_b64 v[116:117], 2, v[2:3]
.LBB151_3:                              ; =>This Inner Loop Header: Depth=1
	v_pk_mov_b32 v[4:5], s[36:37], s[36:37] op_sel:[0,1]
	v_cmp_ge_i64_e32 vcc, s[44:45], v[4:5]
	v_mov_b32_e32 v2, s45
	v_add_co_u32_e64 v119, s[8:9], s44, v50
	v_addc_co_u32_e64 v120, s[8:9], 0, v2, s[8:9]
	s_cbranch_vccz .LBB151_41
; %bb.4:                                ;   in Loop: Header=BB151_3 Depth=1
	s_load_dword s8, s[10:11], 0xc
	v_mov_b32_e32 v121, 0
	s_waitcnt lgkmcnt(0)
	s_and_b32 s8, s8, 0xffff
	v_mad_u32_u24 v2, v0, s8, v113
	v_and_b32_e32 v2, 63, v2
	v_cmp_gt_u32_e32 vcc, 16, v2
	s_and_saveexec_b64 s[8:9], vcc
	s_cbranch_execz .LBB151_8
; %bb.5:                                ;   in Loop: Header=BB151_3 Depth=1
	v_add_co_u32_e32 v2, vcc, v119, v2
	v_addc_co_u32_e32 v5, vcc, 0, v120, vcc
	v_add_co_u32_e32 v4, vcc, 0xffffff01, v2
	v_addc_co_u32_e32 v5, vcc, -1, v5, vcc
	v_cmp_gt_i64_e32 vcc, s[36:37], v[4:5]
	v_mov_b32_e32 v121, 0
	s_and_saveexec_b64 s[14:15], vcc
	s_cbranch_execz .LBB151_7
; %bb.6:                                ;   in Loop: Header=BB151_3 Depth=1
	v_lshlrev_b64 v[4:5], 2, v[4:5]
	v_mov_b32_e32 v2, s29
	v_add_co_u32_e32 v4, vcc, s28, v4
	v_addc_co_u32_e32 v5, vcc, v2, v5, vcc
	global_load_dword v121, v[4:5], off
.LBB151_7:                              ;   in Loop: Header=BB151_3 Depth=1
	s_or_b64 exec, exec, s[14:15]
.LBB151_8:                              ;   in Loop: Header=BB151_3 Depth=1
	s_or_b64 exec, exec, s[8:9]
	v_add_co_u32_e32 v4, vcc, 0xffffff01, v119
	s_mov_b32 s26, s12
	s_mov_b32 s27, s12
	v_addc_co_u32_e32 v5, vcc, -1, v120, vcc
	s_mov_b32 s13, s12
	s_mov_b32 s14, s12
	s_mov_b32 s15, s12
	s_mov_b32 s16, s12
	s_mov_b32 s17, s12
	s_mov_b32 s18, s12
	s_mov_b32 s19, s12
	s_mov_b32 s20, s12
	s_mov_b32 s21, s12
	s_mov_b32 s22, s12
	s_mov_b32 s23, s12
	s_mov_b32 s24, s12
	s_mov_b32 s25, s12
	v_pk_mov_b32 v[32:33], s[26:27], s[26:27] op_sel:[0,1]
	v_cmp_gt_i64_e32 vcc, s[36:37], v[4:5]
	v_pk_mov_b32 v[30:31], s[24:25], s[24:25] op_sel:[0,1]
	v_pk_mov_b32 v[28:29], s[22:23], s[22:23] op_sel:[0,1]
	;; [unrolled: 1-line block ×8, first 2 shown]
	s_and_b64 s[48:49], s[2:3], vcc
	v_pk_mov_b32 v[46:47], v[30:31], v[30:31] op_sel:[0,1]
	v_pk_mov_b32 v[44:45], v[28:29], v[28:29] op_sel:[0,1]
	;; [unrolled: 1-line block ×7, first 2 shown]
	s_and_saveexec_b64 s[8:9], s[48:49]
	s_cbranch_execz .LBB151_10
; %bb.9:                                ;   in Loop: Header=BB151_3 Depth=1
	v_add_co_u32_e32 v4, vcc, v112, v116
	v_addc_co_u32_e32 v5, vcc, v109, v117, vcc
	global_load_dword v2, v[4:5], off
	v_add_co_u32_e32 v4, vcc, v114, v116
	v_addc_co_u32_e32 v5, vcc, v111, v117, vcc
	global_load_dword v18, v[4:5], off
	v_mov_b32_e32 v16, v3
	v_mov_b32_e32 v17, v3
	v_mov_b32_e32 v4, v3
	v_mov_b32_e32 v5, v3
	v_mov_b32_e32 v6, v3
	v_mov_b32_e32 v7, v3
	v_mov_b32_e32 v8, v3
	v_mov_b32_e32 v9, v3
	v_mov_b32_e32 v10, v3
	v_mov_b32_e32 v11, v3
	v_mov_b32_e32 v12, v3
	v_mov_b32_e32 v13, v3
	v_mov_b32_e32 v14, v3
	v_mov_b32_e32 v15, v3
	s_waitcnt vmcnt(1)
	v_pk_mov_b32 v[48:49], v[16:17], v[16:17] op_sel:[0,1]
	v_mov_b32_e32 v19, v3
	v_mov_b32_e32 v20, v3
	;; [unrolled: 1-line block ×15, first 2 shown]
	v_pk_mov_b32 v[46:47], v[14:15], v[14:15] op_sel:[0,1]
	v_pk_mov_b32 v[44:45], v[12:13], v[12:13] op_sel:[0,1]
	;; [unrolled: 1-line block ×7, first 2 shown]
.LBB151_10:                             ;   in Loop: Header=BB151_3 Depth=1
	s_or_b64 exec, exec, s[8:9]
	v_add_co_u32_e32 v4, vcc, 0xffffff02, v119
	v_addc_co_u32_e32 v5, vcc, -1, v120, vcc
	v_cmp_gt_i64_e32 vcc, s[36:37], v[4:5]
	s_and_b64 s[14:15], s[2:3], vcc
	s_and_saveexec_b64 s[8:9], s[14:15]
	s_cbranch_execz .LBB151_12
; %bb.11:                               ;   in Loop: Header=BB151_3 Depth=1
	v_add_co_u32_e32 v4, vcc, v108, v116
	v_addc_co_u32_e32 v5, vcc, v105, v117, vcc
	global_load_dword v35, v[4:5], off
	v_add_co_u32_e32 v4, vcc, v110, v116
	v_addc_co_u32_e32 v5, vcc, v107, v117, vcc
	global_load_dword v19, v[4:5], off
.LBB151_12:                             ;   in Loop: Header=BB151_3 Depth=1
	s_or_b64 exec, exec, s[8:9]
	v_add_co_u32_e32 v4, vcc, 0xffffff03, v119
	v_addc_co_u32_e32 v5, vcc, -1, v120, vcc
	v_cmp_gt_i64_e32 vcc, s[36:37], v[4:5]
	s_and_b64 s[14:15], s[2:3], vcc
	s_and_saveexec_b64 s[8:9], s[14:15]
	s_cbranch_execz .LBB151_14
; %bb.13:                               ;   in Loop: Header=BB151_3 Depth=1
	v_add_co_u32_e32 v4, vcc, v104, v116
	v_addc_co_u32_e32 v5, vcc, v101, v117, vcc
	global_load_dword v36, v[4:5], off
	v_add_co_u32_e32 v4, vcc, v106, v116
	v_addc_co_u32_e32 v5, vcc, v103, v117, vcc
	global_load_dword v20, v[4:5], off
.LBB151_14:                             ;   in Loop: Header=BB151_3 Depth=1
	;; [unrolled: 15-line block ×15, first 2 shown]
	s_or_b64 exec, exec, s[8:9]
	s_waitcnt vmcnt(0)
	ds_bpermute_b32 v2, v115, v121
	ds_bpermute_b32 v4, v115, v121 offset:4
	ds_bpermute_b32 v6, v115, v121 offset:8
	v_mul_f32_e32 v5, v18, v34
	v_mul_f32_e32 v7, v19, v35
	s_waitcnt lgkmcnt(2)
	v_fma_f32 v2, v5, v2, v118
	s_waitcnt lgkmcnt(1)
	v_fmac_f32_e32 v2, v7, v4
	v_mul_f32_e32 v4, v20, v36
	s_waitcnt lgkmcnt(0)
	v_fmac_f32_e32 v2, v4, v6
	ds_bpermute_b32 v4, v115, v121 offset:12
	ds_bpermute_b32 v5, v115, v121 offset:16
	v_pk_mul_f32 v[16:17], v[20:21], v[36:37]
	v_pk_mul_f32 v[18:19], v[22:23], v[38:39]
	v_mov_b32_e32 v16, v17
	v_mov_b32_e32 v17, v18
	s_waitcnt lgkmcnt(0)
	v_pk_mul_f32 v[4:5], v[16:17], v[4:5]
	ds_bpermute_b32 v16, v115, v121 offset:20
	ds_bpermute_b32 v17, v115, v121 offset:24
	v_pk_mul_f32 v[14:15], v[24:25], v[40:41]
	v_add_f32_e32 v2, v2, v4
	v_add_f32_e32 v2, v2, v5
	v_mov_b32_e32 v4, v19
	v_mov_b32_e32 v5, v14
	s_waitcnt lgkmcnt(0)
	v_pk_mul_f32 v[4:5], v[4:5], v[16:17]
	ds_bpermute_b32 v16, v115, v121 offset:28
	ds_bpermute_b32 v17, v115, v121 offset:32
	v_pk_mul_f32 v[12:13], v[26:27], v[42:43]
	v_add_f32_e32 v2, v2, v4
	v_mov_b32_e32 v4, v15
	ds_bpermute_b32 v14, v115, v121 offset:36
	ds_bpermute_b32 v15, v115, v121 offset:40
	v_add_f32_e32 v2, v2, v5
	v_mov_b32_e32 v5, v12
	s_waitcnt lgkmcnt(2)
	v_pk_mul_f32 v[4:5], v[4:5], v[16:17]
	v_pk_mul_f32 v[10:11], v[28:29], v[44:45]
	v_add_f32_e32 v2, v2, v4
	v_mov_b32_e32 v4, v13
	ds_bpermute_b32 v12, v115, v121 offset:44
	ds_bpermute_b32 v13, v115, v121 offset:48
	v_add_f32_e32 v2, v2, v5
	v_mov_b32_e32 v5, v10
	s_waitcnt lgkmcnt(2)
	v_pk_mul_f32 v[4:5], v[4:5], v[14:15]
	;; [unrolled: 9-line block ×3, first 2 shown]
	v_pk_mul_f32 v[6:7], v[32:33], v[48:49]
	v_add_f32_e32 v2, v2, v4
	ds_bpermute_b32 v4, v115, v121 offset:60
	v_mov_b32_e32 v8, v9
	v_mov_b32_e32 v9, v6
	v_add_f32_e32 v2, v2, v5
	s_waitcnt lgkmcnt(1)
	v_pk_mul_f32 v[6:7], v[8:9], v[10:11]
	v_add_f32_e32 v2, v2, v6
	v_add_f32_e32 v2, v2, v7
	s_branch .LBB151_64
.LBB151_41:                             ;   in Loop: Header=BB151_3 Depth=1
                                        ; implicit-def: $vgpr2
                                        ; implicit-def: $vgpr18_vgpr19_vgpr20_vgpr21_vgpr22_vgpr23_vgpr24_vgpr25_vgpr26_vgpr27_vgpr28_vgpr29_vgpr30_vgpr31_vgpr32_vgpr33
                                        ; implicit-def: $vgpr34_vgpr35_vgpr36_vgpr37_vgpr38_vgpr39_vgpr40_vgpr41_vgpr42_vgpr43_vgpr44_vgpr45_vgpr46_vgpr47_vgpr48_vgpr49
                                        ; implicit-def: $vgpr4
	s_cbranch_execz .LBB151_64
; %bb.42:                               ;   in Loop: Header=BB151_3 Depth=1
	s_load_dword s8, s[10:11], 0x0
	v_mov_b32_e32 v121, 0
	s_waitcnt lgkmcnt(0)
	s_cmp_lt_u32 s6, s8
	s_cselect_b32 s8, 12, 18
	s_add_u32 s8, s10, s8
	s_addc_u32 s9, s11, 0
	global_load_ushort v2, v3, s[8:9]
	s_waitcnt vmcnt(0)
	v_mad_u32_u24 v2, v0, v2, v113
	v_and_b32_e32 v2, 63, v2
	v_cmp_gt_u32_e32 vcc, 16, v2
	s_and_saveexec_b64 s[8:9], vcc
	s_cbranch_execz .LBB151_46
; %bb.43:                               ;   in Loop: Header=BB151_3 Depth=1
	v_add_co_u32_e32 v2, vcc, v119, v2
	v_addc_co_u32_e32 v5, vcc, 0, v120, vcc
	v_add_co_u32_e32 v4, vcc, 0xffffff01, v2
	v_addc_co_u32_e32 v5, vcc, -1, v5, vcc
	v_cmp_gt_i64_e32 vcc, s[36:37], v[4:5]
	v_mov_b32_e32 v121, 0
	s_and_saveexec_b64 s[14:15], vcc
	s_cbranch_execz .LBB151_45
; %bb.44:                               ;   in Loop: Header=BB151_3 Depth=1
	v_lshlrev_b64 v[4:5], 2, v[4:5]
	v_mov_b32_e32 v2, s29
	v_add_co_u32_e32 v4, vcc, s28, v4
	v_addc_co_u32_e32 v5, vcc, v2, v5, vcc
	global_load_dword v121, v[4:5], off
.LBB151_45:                             ;   in Loop: Header=BB151_3 Depth=1
	s_or_b64 exec, exec, s[14:15]
.LBB151_46:                             ;   in Loop: Header=BB151_3 Depth=1
	s_or_b64 exec, exec, s[8:9]
	s_mov_b32 s26, s12
	s_mov_b32 s27, s12
	;; [unrolled: 1-line block ×15, first 2 shown]
	v_pk_mov_b32 v[32:33], s[26:27], s[26:27] op_sel:[0,1]
	v_pk_mov_b32 v[30:31], s[24:25], s[24:25] op_sel:[0,1]
	;; [unrolled: 1-line block ×16, first 2 shown]
	s_and_saveexec_b64 s[8:9], s[2:3]
	s_cbranch_execnz .LBB151_66
; %bb.47:                               ;   in Loop: Header=BB151_3 Depth=1
	s_or_b64 exec, exec, s[8:9]
	s_and_saveexec_b64 s[8:9], s[2:3]
	s_cbranch_execnz .LBB151_67
.LBB151_48:                             ;   in Loop: Header=BB151_3 Depth=1
	s_or_b64 exec, exec, s[8:9]
	s_and_saveexec_b64 s[8:9], s[2:3]
	s_cbranch_execnz .LBB151_68
.LBB151_49:                             ;   in Loop: Header=BB151_3 Depth=1
	s_or_b64 exec, exec, s[8:9]
	s_and_saveexec_b64 s[8:9], s[2:3]
	s_cbranch_execnz .LBB151_69
.LBB151_50:                             ;   in Loop: Header=BB151_3 Depth=1
	s_or_b64 exec, exec, s[8:9]
	s_and_saveexec_b64 s[8:9], s[2:3]
	s_cbranch_execnz .LBB151_70
.LBB151_51:                             ;   in Loop: Header=BB151_3 Depth=1
	s_or_b64 exec, exec, s[8:9]
	s_and_saveexec_b64 s[8:9], s[2:3]
	s_cbranch_execnz .LBB151_71
.LBB151_52:                             ;   in Loop: Header=BB151_3 Depth=1
	s_or_b64 exec, exec, s[8:9]
	s_and_saveexec_b64 s[8:9], s[2:3]
	s_cbranch_execnz .LBB151_72
.LBB151_53:                             ;   in Loop: Header=BB151_3 Depth=1
	s_or_b64 exec, exec, s[8:9]
	s_and_saveexec_b64 s[8:9], s[2:3]
	s_cbranch_execnz .LBB151_73
.LBB151_54:                             ;   in Loop: Header=BB151_3 Depth=1
	s_or_b64 exec, exec, s[8:9]
	s_and_saveexec_b64 s[8:9], s[2:3]
	s_cbranch_execnz .LBB151_74
.LBB151_55:                             ;   in Loop: Header=BB151_3 Depth=1
	s_or_b64 exec, exec, s[8:9]
	s_and_saveexec_b64 s[8:9], s[2:3]
	s_cbranch_execnz .LBB151_75
.LBB151_56:                             ;   in Loop: Header=BB151_3 Depth=1
	s_or_b64 exec, exec, s[8:9]
	s_and_saveexec_b64 s[8:9], s[2:3]
	s_cbranch_execnz .LBB151_76
.LBB151_57:                             ;   in Loop: Header=BB151_3 Depth=1
	s_or_b64 exec, exec, s[8:9]
	s_and_saveexec_b64 s[8:9], s[2:3]
	s_cbranch_execnz .LBB151_77
.LBB151_58:                             ;   in Loop: Header=BB151_3 Depth=1
	s_or_b64 exec, exec, s[8:9]
	s_and_saveexec_b64 s[8:9], s[2:3]
	s_cbranch_execnz .LBB151_78
.LBB151_59:                             ;   in Loop: Header=BB151_3 Depth=1
	s_or_b64 exec, exec, s[8:9]
	s_and_saveexec_b64 s[8:9], s[2:3]
	s_cbranch_execnz .LBB151_79
.LBB151_60:                             ;   in Loop: Header=BB151_3 Depth=1
	s_or_b64 exec, exec, s[8:9]
	s_and_saveexec_b64 s[8:9], s[2:3]
	s_cbranch_execnz .LBB151_80
.LBB151_61:                             ;   in Loop: Header=BB151_3 Depth=1
	s_or_b64 exec, exec, s[8:9]
	s_and_saveexec_b64 s[8:9], s[2:3]
	s_cbranch_execz .LBB151_63
.LBB151_62:                             ;   in Loop: Header=BB151_3 Depth=1
	v_add_co_u32_e32 v4, vcc, v52, v116
	v_addc_co_u32_e32 v5, vcc, v1, v117, vcc
	global_load_dword v49, v[4:5], off
	v_add_co_u32_e32 v4, vcc, v54, v116
	v_addc_co_u32_e32 v5, vcc, v51, v117, vcc
	global_load_dword v33, v[4:5], off
.LBB151_63:                             ;   in Loop: Header=BB151_3 Depth=1
	s_or_b64 exec, exec, s[8:9]
	s_waitcnt vmcnt(0)
	ds_bpermute_b32 v2, v115, v121
	ds_bpermute_b32 v4, v115, v121 offset:4
	v_mul_f32_e32 v5, v18, v34
	v_mul_f32_e32 v7, v19, v35
	ds_bpermute_b32 v6, v115, v121 offset:8
	s_waitcnt lgkmcnt(2)
	v_fmac_f32_e32 v118, v5, v2
	s_waitcnt lgkmcnt(1)
	v_fmac_f32_e32 v118, v7, v4
	ds_bpermute_b32 v4, v115, v121 offset:12
	ds_bpermute_b32 v5, v115, v121 offset:16
	v_pk_mul_f32 v[16:17], v[20:21], v[36:37]
	v_pk_mul_f32 v[18:19], v[22:23], v[38:39]
	v_mov_b32_e32 v16, v17
	v_mov_b32_e32 v17, v18
	s_waitcnt lgkmcnt(0)
	v_pk_mul_f32 v[4:5], v[16:17], v[4:5]
	ds_bpermute_b32 v16, v115, v121 offset:20
	ds_bpermute_b32 v17, v115, v121 offset:24
	v_mul_f32_e32 v2, v20, v36
	v_fmac_f32_e32 v118, v2, v6
	v_pk_mul_f32 v[14:15], v[24:25], v[40:41]
	v_add_f32_e32 v2, v118, v4
	v_add_f32_e32 v2, v2, v5
	v_mov_b32_e32 v4, v19
	v_mov_b32_e32 v5, v14
	s_waitcnt lgkmcnt(0)
	v_pk_mul_f32 v[4:5], v[4:5], v[16:17]
	ds_bpermute_b32 v16, v115, v121 offset:28
	ds_bpermute_b32 v17, v115, v121 offset:32
	v_pk_mul_f32 v[12:13], v[26:27], v[42:43]
	v_add_f32_e32 v2, v2, v4
	v_mov_b32_e32 v4, v15
	ds_bpermute_b32 v14, v115, v121 offset:36
	ds_bpermute_b32 v15, v115, v121 offset:40
	v_add_f32_e32 v2, v2, v5
	v_mov_b32_e32 v5, v12
	s_waitcnt lgkmcnt(2)
	v_pk_mul_f32 v[4:5], v[4:5], v[16:17]
	v_pk_mul_f32 v[10:11], v[28:29], v[44:45]
	v_add_f32_e32 v2, v2, v4
	v_add_f32_e32 v2, v2, v5
	v_mov_b32_e32 v4, v13
	v_mov_b32_e32 v5, v10
	ds_bpermute_b32 v12, v115, v121 offset:44
	ds_bpermute_b32 v13, v115, v121 offset:48
	s_waitcnt lgkmcnt(2)
	v_pk_mul_f32 v[4:5], v[4:5], v[14:15]
	v_add_f32_e32 v2, v2, v4
	v_mov_b32_e32 v4, v11
	ds_bpermute_b32 v10, v115, v121 offset:52
	ds_bpermute_b32 v11, v115, v121 offset:56
	v_pk_mul_f32 v[8:9], v[30:31], v[46:47]
	v_add_f32_e32 v2, v2, v5
	v_mov_b32_e32 v5, v8
	v_pk_mul_f32 v[6:7], v[32:33], v[48:49]
	s_waitcnt lgkmcnt(2)
	v_pk_mul_f32 v[4:5], v[4:5], v[12:13]
	v_add_f32_e32 v2, v2, v4
	v_mov_b32_e32 v8, v9
	v_mov_b32_e32 v9, v6
	v_add_f32_e32 v2, v2, v5
	s_waitcnt lgkmcnt(0)
	v_pk_mul_f32 v[6:7], v[8:9], v[10:11]
	v_add_f32_e32 v2, v2, v6
	ds_bpermute_b32 v4, v115, v121 offset:60
	v_add_f32_e32 v2, v2, v7
.LBB151_64:                             ;   in Loop: Header=BB151_3 Depth=1
	v_mul_f32_e32 v5, v49, v33
	s_add_u32 s46, s46, s7
	s_waitcnt lgkmcnt(0)
	v_fmac_f32_e32 v2, v5, v4
	s_addc_u32 s47, s47, 0
	v_pk_mov_b32 v[4:5], s[36:37], s[36:37] op_sel:[0,1]
	v_cmp_lt_i64_e32 vcc, s[46:47], v[4:5]
	v_mov_b32_e32 v4, s35
	v_add_co_u32_e64 v52, s[8:9], s34, v52
	v_addc_co_u32_e64 v1, s[8:9], v1, v4, s[8:9]
	v_add_co_u32_e64 v54, s[8:9], s34, v54
	v_addc_co_u32_e64 v51, s[8:9], v51, v4, s[8:9]
	;; [unrolled: 2-line block ×31, first 2 shown]
	v_add_co_u32_e64 v114, s[8:9], s34, v114
	s_add_u32 s44, s44, s7
	v_addc_co_u32_e64 v111, s[8:9], v111, v4, s[8:9]
	s_addc_u32 s45, s45, 0
	s_cbranch_vccz .LBB151_82
; %bb.65:                               ;   in Loop: Header=BB151_3 Depth=1
	v_mov_b32_e32 v118, v2
	s_branch .LBB151_3
.LBB151_66:                             ;   in Loop: Header=BB151_3 Depth=1
	v_add_co_u32_e32 v4, vcc, v112, v116
	v_addc_co_u32_e32 v5, vcc, v109, v117, vcc
	global_load_dword v2, v[4:5], off
	v_add_co_u32_e32 v4, vcc, v114, v116
	v_addc_co_u32_e32 v5, vcc, v111, v117, vcc
	global_load_dword v18, v[4:5], off
	v_mov_b32_e32 v16, v3
	v_mov_b32_e32 v17, v3
	;; [unrolled: 1-line block ×14, first 2 shown]
	s_waitcnt vmcnt(1)
	v_pk_mov_b32 v[48:49], v[16:17], v[16:17] op_sel:[0,1]
	v_mov_b32_e32 v19, v3
	v_mov_b32_e32 v20, v3
	;; [unrolled: 1-line block ×15, first 2 shown]
	v_pk_mov_b32 v[46:47], v[14:15], v[14:15] op_sel:[0,1]
	v_pk_mov_b32 v[44:45], v[12:13], v[12:13] op_sel:[0,1]
	;; [unrolled: 1-line block ×7, first 2 shown]
	s_or_b64 exec, exec, s[8:9]
	s_and_saveexec_b64 s[8:9], s[2:3]
	s_cbranch_execz .LBB151_48
.LBB151_67:                             ;   in Loop: Header=BB151_3 Depth=1
	v_add_co_u32_e32 v4, vcc, v108, v116
	v_addc_co_u32_e32 v5, vcc, v105, v117, vcc
	global_load_dword v35, v[4:5], off
	v_add_co_u32_e32 v4, vcc, v110, v116
	v_addc_co_u32_e32 v5, vcc, v107, v117, vcc
	global_load_dword v19, v[4:5], off
	s_or_b64 exec, exec, s[8:9]
	s_and_saveexec_b64 s[8:9], s[2:3]
	s_cbranch_execz .LBB151_49
.LBB151_68:                             ;   in Loop: Header=BB151_3 Depth=1
	v_add_co_u32_e32 v4, vcc, v104, v116
	v_addc_co_u32_e32 v5, vcc, v101, v117, vcc
	global_load_dword v36, v[4:5], off
	v_add_co_u32_e32 v4, vcc, v106, v116
	v_addc_co_u32_e32 v5, vcc, v103, v117, vcc
	global_load_dword v20, v[4:5], off
	s_or_b64 exec, exec, s[8:9]
	s_and_saveexec_b64 s[8:9], s[2:3]
	s_cbranch_execz .LBB151_50
.LBB151_69:                             ;   in Loop: Header=BB151_3 Depth=1
	v_add_co_u32_e32 v4, vcc, v100, v116
	v_addc_co_u32_e32 v5, vcc, v97, v117, vcc
	global_load_dword v37, v[4:5], off
	v_add_co_u32_e32 v4, vcc, v102, v116
	v_addc_co_u32_e32 v5, vcc, v99, v117, vcc
	global_load_dword v21, v[4:5], off
	s_or_b64 exec, exec, s[8:9]
	s_and_saveexec_b64 s[8:9], s[2:3]
	s_cbranch_execz .LBB151_51
.LBB151_70:                             ;   in Loop: Header=BB151_3 Depth=1
	v_add_co_u32_e32 v4, vcc, v96, v116
	v_addc_co_u32_e32 v5, vcc, v93, v117, vcc
	global_load_dword v38, v[4:5], off
	v_add_co_u32_e32 v4, vcc, v98, v116
	v_addc_co_u32_e32 v5, vcc, v95, v117, vcc
	global_load_dword v22, v[4:5], off
	s_or_b64 exec, exec, s[8:9]
	s_and_saveexec_b64 s[8:9], s[2:3]
	s_cbranch_execz .LBB151_52
.LBB151_71:                             ;   in Loop: Header=BB151_3 Depth=1
	v_add_co_u32_e32 v4, vcc, v92, v116
	v_addc_co_u32_e32 v5, vcc, v89, v117, vcc
	global_load_dword v39, v[4:5], off
	v_add_co_u32_e32 v4, vcc, v94, v116
	v_addc_co_u32_e32 v5, vcc, v91, v117, vcc
	global_load_dword v23, v[4:5], off
	s_or_b64 exec, exec, s[8:9]
	s_and_saveexec_b64 s[8:9], s[2:3]
	s_cbranch_execz .LBB151_53
.LBB151_72:                             ;   in Loop: Header=BB151_3 Depth=1
	v_add_co_u32_e32 v4, vcc, v88, v116
	v_addc_co_u32_e32 v5, vcc, v85, v117, vcc
	global_load_dword v40, v[4:5], off
	v_add_co_u32_e32 v4, vcc, v90, v116
	v_addc_co_u32_e32 v5, vcc, v87, v117, vcc
	global_load_dword v24, v[4:5], off
	s_or_b64 exec, exec, s[8:9]
	s_and_saveexec_b64 s[8:9], s[2:3]
	s_cbranch_execz .LBB151_54
.LBB151_73:                             ;   in Loop: Header=BB151_3 Depth=1
	v_add_co_u32_e32 v4, vcc, v84, v116
	v_addc_co_u32_e32 v5, vcc, v81, v117, vcc
	global_load_dword v41, v[4:5], off
	v_add_co_u32_e32 v4, vcc, v86, v116
	v_addc_co_u32_e32 v5, vcc, v83, v117, vcc
	global_load_dword v25, v[4:5], off
	s_or_b64 exec, exec, s[8:9]
	s_and_saveexec_b64 s[8:9], s[2:3]
	s_cbranch_execz .LBB151_55
.LBB151_74:                             ;   in Loop: Header=BB151_3 Depth=1
	v_add_co_u32_e32 v4, vcc, v80, v116
	v_addc_co_u32_e32 v5, vcc, v77, v117, vcc
	global_load_dword v42, v[4:5], off
	v_add_co_u32_e32 v4, vcc, v82, v116
	v_addc_co_u32_e32 v5, vcc, v79, v117, vcc
	global_load_dword v26, v[4:5], off
	s_or_b64 exec, exec, s[8:9]
	s_and_saveexec_b64 s[8:9], s[2:3]
	s_cbranch_execz .LBB151_56
.LBB151_75:                             ;   in Loop: Header=BB151_3 Depth=1
	v_add_co_u32_e32 v4, vcc, v76, v116
	v_addc_co_u32_e32 v5, vcc, v73, v117, vcc
	global_load_dword v43, v[4:5], off
	v_add_co_u32_e32 v4, vcc, v78, v116
	v_addc_co_u32_e32 v5, vcc, v75, v117, vcc
	global_load_dword v27, v[4:5], off
	s_or_b64 exec, exec, s[8:9]
	s_and_saveexec_b64 s[8:9], s[2:3]
	s_cbranch_execz .LBB151_57
.LBB151_76:                             ;   in Loop: Header=BB151_3 Depth=1
	v_add_co_u32_e32 v4, vcc, v72, v116
	v_addc_co_u32_e32 v5, vcc, v69, v117, vcc
	global_load_dword v44, v[4:5], off
	v_add_co_u32_e32 v4, vcc, v74, v116
	v_addc_co_u32_e32 v5, vcc, v71, v117, vcc
	global_load_dword v28, v[4:5], off
	s_or_b64 exec, exec, s[8:9]
	s_and_saveexec_b64 s[8:9], s[2:3]
	s_cbranch_execz .LBB151_58
.LBB151_77:                             ;   in Loop: Header=BB151_3 Depth=1
	v_add_co_u32_e32 v4, vcc, v68, v116
	v_addc_co_u32_e32 v5, vcc, v65, v117, vcc
	global_load_dword v45, v[4:5], off
	v_add_co_u32_e32 v4, vcc, v70, v116
	v_addc_co_u32_e32 v5, vcc, v67, v117, vcc
	global_load_dword v29, v[4:5], off
	s_or_b64 exec, exec, s[8:9]
	s_and_saveexec_b64 s[8:9], s[2:3]
	s_cbranch_execz .LBB151_59
.LBB151_78:                             ;   in Loop: Header=BB151_3 Depth=1
	v_add_co_u32_e32 v4, vcc, v64, v116
	v_addc_co_u32_e32 v5, vcc, v61, v117, vcc
	global_load_dword v46, v[4:5], off
	v_add_co_u32_e32 v4, vcc, v66, v116
	v_addc_co_u32_e32 v5, vcc, v63, v117, vcc
	global_load_dword v30, v[4:5], off
	s_or_b64 exec, exec, s[8:9]
	s_and_saveexec_b64 s[8:9], s[2:3]
	s_cbranch_execz .LBB151_60
.LBB151_79:                             ;   in Loop: Header=BB151_3 Depth=1
	v_add_co_u32_e32 v4, vcc, v60, v116
	v_addc_co_u32_e32 v5, vcc, v57, v117, vcc
	global_load_dword v47, v[4:5], off
	v_add_co_u32_e32 v4, vcc, v62, v116
	v_addc_co_u32_e32 v5, vcc, v59, v117, vcc
	global_load_dword v31, v[4:5], off
	s_or_b64 exec, exec, s[8:9]
	s_and_saveexec_b64 s[8:9], s[2:3]
	s_cbranch_execz .LBB151_61
.LBB151_80:                             ;   in Loop: Header=BB151_3 Depth=1
	v_add_co_u32_e32 v4, vcc, v56, v116
	v_addc_co_u32_e32 v5, vcc, v53, v117, vcc
	global_load_dword v48, v[4:5], off
	v_add_co_u32_e32 v4, vcc, v58, v116
	v_addc_co_u32_e32 v5, vcc, v55, v117, vcc
	global_load_dword v32, v[4:5], off
	s_or_b64 exec, exec, s[8:9]
	s_and_saveexec_b64 s[8:9], s[2:3]
	s_cbranch_execnz .LBB151_62
	s_branch .LBB151_63
.LBB151_81:
                                        ; implicit-def: $vgpr2
	s_branch .LBB151_83
.LBB151_82:
	s_cbranch_execnz .LBB151_132
.LBB151_83:
	s_and_b64 vcc, exec, s[0:1]
	v_mov_b32_e32 v2, 0
	s_cbranch_vccnz .LBB151_132
; %bb.84:
	s_load_dword s0, s[4:5], 0x44
	s_add_u32 s2, s4, 64
	s_addc_u32 s3, s5, 0
	v_bfe_u32 v36, v122, 10, 10
	v_lshlrev_b32_e32 v0, 6, v36
	s_waitcnt lgkmcnt(0)
	s_lshl_b32 s7, s0, 8
	s_add_u32 s24, s30, 0xff
	s_addc_u32 s25, 0, 0
	s_lshl_b64 s[0:1], s[30:31], 2
	v_mov_b32_e32 v1, s1
	v_add_co_u32_e32 v4, vcc, s0, v0
	v_addc_co_u32_e32 v5, vcc, 0, v1, vcc
	v_add_co_u32_e32 v6, vcc, 4, v4
	v_addc_co_u32_e32 v0, vcc, 0, v5, vcc
	v_add_co_u32_e32 v9, vcc, 8, v4
	v_mul_lo_u32 v7, s38, v0
	v_addc_co_u32_e32 v0, vcc, 0, v5, vcc
	v_add_co_u32_e32 v12, vcc, 12, v4
	v_mul_lo_u32 v10, s38, v0
	;; [unrolled: 3-line block ×9, first 2 shown]
	v_addc_co_u32_e32 v0, vcc, 0, v5, vcc
	v_pk_mov_b32 v[2:3], s[40:41], s[40:41] op_sel:[0,1]
	v_mul_lo_u32 v34, s38, v0
	v_pk_mov_b32 v[0:1], s[42:43], s[42:43] op_sel:[0,1]
	v_mad_u64_u32 v[50:51], s[0:1], s38, v6, v[2:3]
	v_mul_lo_u32 v8, s39, v6
	v_mad_u64_u32 v[70:71], s[0:1], s38, v6, v[0:1]
	v_add_co_u32_e32 v6, vcc, 44, v4
	v_add3_u32 v51, v8, v51, v7
	v_add3_u32 v71, v8, v71, v7
	v_addc_co_u32_e32 v7, vcc, 0, v5, vcc
	v_mad_u64_u32 v[52:53], s[0:1], s38, v9, v[2:3]
	v_mul_lo_u32 v11, s39, v9
	v_mad_u64_u32 v[72:73], s[0:1], s38, v9, v[0:1]
	v_add_co_u32_e32 v9, vcc, 48, v4
	v_add3_u32 v53, v11, v53, v10
	v_add3_u32 v73, v11, v73, v10
	v_addc_co_u32_e32 v10, vcc, 0, v5, vcc
	v_mad_u64_u32 v[76:77], s[0:1], s38, v6, v[2:3]
	v_mul_lo_u32 v7, s38, v7
	v_mul_lo_u32 v8, s39, v6
	v_mad_u64_u32 v[94:95], s[0:1], s38, v6, v[0:1]
	v_add_co_u32_e32 v6, vcc, 52, v4
	v_add3_u32 v77, v8, v77, v7
	v_add3_u32 v95, v8, v95, v7
	v_addc_co_u32_e32 v7, vcc, 0, v5, vcc
	v_mad_u64_u32 v[98:99], s[0:1], s38, v6, v[2:3]
	v_mul_lo_u32 v7, s38, v7
	v_mul_lo_u32 v8, s39, v6
	v_mad_u64_u32 v[100:101], s[0:1], s38, v6, v[0:1]
	v_add_co_u32_e32 v6, vcc, 56, v4
	v_add3_u32 v99, v8, v99, v7
	v_add3_u32 v101, v8, v101, v7
	v_addc_co_u32_e32 v7, vcc, 0, v5, vcc
	v_add_co_u32_e32 v4, vcc, 60, v4
	v_addc_co_u32_e32 v5, vcc, 0, v5, vcc
	v_mad_u64_u32 v[54:55], s[0:1], s38, v12, v[2:3]
	v_mad_u64_u32 v[56:57], s[0:1], s38, v15, v[2:3]
	;; [unrolled: 1-line block ×21, first 2 shown]
	v_mul_lo_u32 v2, s38, v5
	v_mad_u64_u32 v[108:109], s[0:1], s38, v4, v[0:1]
	v_mul_lo_u32 v0, s39, v4
	v_add3_u32 v107, v0, v107, v2
	v_add3_u32 v109, v0, v109, v2
	v_lshlrev_b32_e32 v2, 4, v36
	v_mov_b32_e32 v1, s31
	v_mov_b32_e32 v0, v2
	buffer_store_dword v36, off, s[52:55], 0 offset:408 ; 4-byte Folded Spill
	buffer_store_dword v0, off, s[52:55], 0 offset:412 ; 4-byte Folded Spill
	s_nop 0
	buffer_store_dword v1, off, s[52:55], 0 offset:416 ; 4-byte Folded Spill
	v_add_co_u32_e32 v0, vcc, s30, v2
	v_mul_lo_u32 v7, s38, v7
	v_mul_lo_u32 v8, s39, v6
	v_add3_u32 v103, v8, v103, v7
	v_add3_u32 v105, v8, v105, v7
	v_mul_lo_u32 v11, s39, v9
	v_mul_lo_u32 v10, s38, v10
	v_add3_u32 v89, v11, v89, v10
	v_add3_u32 v97, v11, v97, v10
	v_mul_lo_u32 v14, s39, v12
	v_add3_u32 v55, v14, v55, v13
	v_add3_u32 v75, v14, v75, v13
	;; [unrolled: 3-line block ×8, first 2 shown]
	v_mul_lo_u32 v35, s39, v33
	v_mul_lo_u32 v33, s39, v0
	v_add3_u32 v69, v35, v69, v34
	v_add3_u32 v93, v35, v93, v34
	v_mov_b32_e32 v34, s43
	s_mov_b32 s8, 0
	v_addc_co_u32_e32 v1, vcc, 0, v1, vcc
	v_add_co_u32_e32 v2, vcc, 15, v0
	v_addc_co_u32_e32 v3, vcc, 0, v1, vcc
	v_mul_lo_u32 v4, s38, v3
	v_mul_lo_u32 v5, s39, v2
	v_mad_u64_u32 v[2:3], s[0:1], s38, v2, 0
	v_add3_u32 v3, v3, v4, v5
	v_add_co_u32_e32 v4, vcc, 14, v0
	v_addc_co_u32_e32 v5, vcc, 0, v1, vcc
	v_mul_lo_u32 v6, s38, v5
	v_mul_lo_u32 v7, s39, v4
	v_mad_u64_u32 v[4:5], s[0:1], s38, v4, 0
	v_add3_u32 v5, v5, v6, v7
	;; [unrolled: 6-line block ×14, first 2 shown]
	v_pk_mov_b32 v[30:31], s[38:39], s[38:39] op_sel:[0,1]
	v_mul_lo_u32 v32, s38, v1
	v_mad_u64_u32 v[30:31], s[0:1], s38, v0, v[30:31]
	v_mad_u64_u32 v[0:1], s[0:1], s38, v0, 0
	v_add3_u32 v1, v1, v32, v33
	v_add3_u32 v31, v33, v31, v32
	v_lshlrev_b64 v[32:33], 2, v[0:1]
	v_mov_b32_e32 v0, s41
	v_add_co_u32_e32 v112, vcc, s40, v32
	v_addc_co_u32_e32 v1, vcc, v0, v33, vcc
	v_add_co_u32_e32 v114, vcc, s42, v32
	v_addc_co_u32_e32 v111, vcc, v34, v33, vcc
	v_lshlrev_b64 v[2:3], 2, v[2:3]
	v_add_co_u32_e32 v32, vcc, s40, v2
	buffer_store_dword v32, off, s[52:55], 0 ; 4-byte Folded Spill
	s_nop 0
	buffer_store_dword v33, off, s[52:55], 0 offset:4 ; 4-byte Folded Spill
	v_addc_co_u32_e32 v33, vcc, v0, v3, vcc
	v_add_co_u32_e32 v2, vcc, s42, v2
	buffer_store_dword v32, off, s[52:55], 0 offset:8 ; 4-byte Folded Spill
	s_nop 0
	buffer_store_dword v33, off, s[52:55], 0 offset:12 ; 4-byte Folded Spill
	buffer_store_dword v2, off, s[52:55], 0 offset:16 ; 4-byte Folded Spill
	s_nop 0
	buffer_store_dword v3, off, s[52:55], 0 offset:20 ; 4-byte Folded Spill
	s_mul_i32 s0, s39, s7
	s_mul_hi_u32 s1, s38, s7
	s_add_i32 s1, s1, s0
	s_mul_i32 s0, s38, s7
	s_lshl_b64 s[26:27], s[0:1], 2
	v_addc_co_u32_e32 v3, vcc, v34, v3, vcc
	buffer_store_dword v2, off, s[52:55], 0 offset:24 ; 4-byte Folded Spill
	s_nop 0
	buffer_store_dword v3, off, s[52:55], 0 offset:28 ; 4-byte Folded Spill
	v_lshlrev_b64 v[2:3], 2, v[4:5]
	v_add_co_u32_e32 v4, vcc, s40, v2
	buffer_store_dword v4, off, s[52:55], 0 offset:32 ; 4-byte Folded Spill
	s_nop 0
	buffer_store_dword v5, off, s[52:55], 0 offset:36 ; 4-byte Folded Spill
	v_addc_co_u32_e32 v5, vcc, v0, v3, vcc
	v_add_co_u32_e32 v2, vcc, s42, v2
	buffer_store_dword v4, off, s[52:55], 0 offset:40 ; 4-byte Folded Spill
	s_nop 0
	buffer_store_dword v5, off, s[52:55], 0 offset:44 ; 4-byte Folded Spill
	buffer_store_dword v2, off, s[52:55], 0 offset:48 ; 4-byte Folded Spill
	s_nop 0
	buffer_store_dword v3, off, s[52:55], 0 offset:52 ; 4-byte Folded Spill
	v_addc_co_u32_e32 v119, vcc, v34, v3, vcc
	v_lshlrev_b64 v[2:3], 2, v[6:7]
	v_add_co_u32_e32 v124, vcc, s40, v2
	v_addc_co_u32_e32 v121, vcc, v0, v3, vcc
	v_add_co_u32_e32 v126, vcc, s42, v2
	v_addc_co_u32_e32 v3, vcc, v34, v3, vcc
	buffer_store_dword v2, off, s[52:55], 0 offset:56 ; 4-byte Folded Spill
	s_nop 0
	buffer_store_dword v3, off, s[52:55], 0 offset:60 ; 4-byte Folded Spill
	v_lshlrev_b64 v[2:3], 2, v[8:9]
	v_add_co_u32_e32 v4, vcc, s40, v2
	buffer_store_dword v4, off, s[52:55], 0 offset:64 ; 4-byte Folded Spill
	s_nop 0
	buffer_store_dword v5, off, s[52:55], 0 offset:68 ; 4-byte Folded Spill
	v_addc_co_u32_e32 v5, vcc, v0, v3, vcc
	v_add_co_u32_e32 v2, vcc, s42, v2
	buffer_store_dword v4, off, s[52:55], 0 offset:72 ; 4-byte Folded Spill
	s_nop 0
	buffer_store_dword v5, off, s[52:55], 0 offset:76 ; 4-byte Folded Spill
	buffer_store_dword v2, off, s[52:55], 0 offset:80 ; 4-byte Folded Spill
	s_nop 0
	buffer_store_dword v3, off, s[52:55], 0 offset:84 ; 4-byte Folded Spill
	v_addc_co_u32_e32 v3, vcc, v34, v3, vcc
	buffer_store_dword v2, off, s[52:55], 0 offset:88 ; 4-byte Folded Spill
	s_nop 0
	buffer_store_dword v3, off, s[52:55], 0 offset:92 ; 4-byte Folded Spill
	v_lshlrev_b64 v[2:3], 2, v[10:11]
	v_add_co_u32_e32 v4, vcc, s40, v2
	buffer_store_dword v4, off, s[52:55], 0 offset:96 ; 4-byte Folded Spill
	s_nop 0
	buffer_store_dword v5, off, s[52:55], 0 offset:100 ; 4-byte Folded Spill
	v_addc_co_u32_e32 v5, vcc, v0, v3, vcc
	v_add_co_u32_e32 v2, vcc, s42, v2
	buffer_store_dword v4, off, s[52:55], 0 offset:104 ; 4-byte Folded Spill
	s_nop 0
	buffer_store_dword v5, off, s[52:55], 0 offset:108 ; 4-byte Folded Spill
	buffer_store_dword v2, off, s[52:55], 0 offset:112 ; 4-byte Folded Spill
	s_nop 0
	buffer_store_dword v3, off, s[52:55], 0 offset:116 ; 4-byte Folded Spill
	;; [unrolled: 17-line block ×11, first 2 shown]
	buffer_store_dword v122, off, s[52:55], 0 offset:424 ; 4-byte Folded Spill
	v_addc_co_u32_e32 v125, vcc, v34, v3, vcc
	v_lshlrev_b64 v[2:3], 2, v[30:31]
	v_add_co_u32_e32 v118, vcc, s40, v2
	v_addc_co_u32_e32 v127, vcc, v0, v3, vcc
	v_and_b32_e32 v0, 0x3ff, v122
	v_add_co_u32_e32 v120, vcc, s42, v2
	buffer_store_dword v0, off, s[52:55], 0 offset:420 ; 4-byte Folded Spill
	v_add_u32_e32 v2, s33, v0
	v_mbcnt_lo_u32_b32 v0, -1, 0
	v_mbcnt_hi_u32_b32 v0, -1, v0
	v_addc_co_u32_e32 v123, vcc, v34, v3, vcc
	v_mov_b32_e32 v3, 0
	v_lshlrev_b32_e32 v0, 2, v0
	v_and_b32_e32 v110, 0x100, v0
	v_mov_b32_e32 v0, 0
	v_lshlrev_b64 v[116:117], 2, v[2:3]
.LBB151_85:                             ; =>This Inner Loop Header: Depth=1
	v_pk_mov_b32 v[4:5], s[36:37], s[36:37] op_sel:[0,1]
	v_cmp_ge_i64_e32 vcc, s[24:25], v[4:5]
	buffer_load_dword v4, off, s[52:55], 0 offset:412 ; 4-byte Folded Reload
	buffer_load_dword v5, off, s[52:55], 0 offset:416 ; 4-byte Folded Reload
	v_mov_b32_e32 v2, s25
	s_waitcnt vmcnt(1)
	v_add_co_u32_e64 v113, s[0:1], s24, v4
	v_addc_co_u32_e64 v115, s[0:1], 0, v2, s[0:1]
	s_cbranch_vccz .LBB151_123
; %bb.86:                               ;   in Loop: Header=BB151_85 Depth=1
	s_load_dword s0, s[2:3], 0xc
	buffer_load_dword v2, off, s[52:55], 0 offset:408 ; 4-byte Folded Reload
	buffer_load_dword v4, off, s[52:55], 0 offset:420 ; 4-byte Folded Reload
	v_mov_b32_e32 v122, 0
	s_waitcnt lgkmcnt(0)
	s_and_b32 s0, s0, 0xffff
	s_waitcnt vmcnt(0)
	v_mad_u32_u24 v2, v2, s0, v4
	v_and_b32_e32 v2, 63, v2
	v_cmp_gt_u32_e32 vcc, 16, v2
	s_and_saveexec_b64 s[0:1], vcc
	s_cbranch_execz .LBB151_90
; %bb.87:                               ;   in Loop: Header=BB151_85 Depth=1
	v_add_co_u32_e32 v2, vcc, v113, v2
	v_addc_co_u32_e32 v5, vcc, 0, v115, vcc
	v_add_co_u32_e32 v4, vcc, 0xffffff01, v2
	v_addc_co_u32_e32 v5, vcc, -1, v5, vcc
	v_cmp_gt_i64_e32 vcc, s[36:37], v[4:5]
	v_mov_b32_e32 v122, 0
	s_and_saveexec_b64 s[10:11], vcc
	s_cbranch_execz .LBB151_89
; %bb.88:                               ;   in Loop: Header=BB151_85 Depth=1
	v_lshlrev_b64 v[4:5], 2, v[4:5]
	v_mov_b32_e32 v2, s29
	v_add_co_u32_e32 v4, vcc, s28, v4
	v_addc_co_u32_e32 v5, vcc, v2, v5, vcc
	global_load_dword v122, v[4:5], off
.LBB151_89:                             ;   in Loop: Header=BB151_85 Depth=1
	s_or_b64 exec, exec, s[10:11]
.LBB151_90:                             ;   in Loop: Header=BB151_85 Depth=1
	s_or_b64 exec, exec, s[0:1]
	s_mov_b32 s22, s8
	s_mov_b32 s23, s8
	v_add_co_u32_e32 v4, vcc, 0xffffff01, v113
	s_mov_b32 s9, s8
	s_mov_b32 s10, s8
	;; [unrolled: 1-line block ×13, first 2 shown]
	v_pk_mov_b32 v[32:33], s[22:23], s[22:23] op_sel:[0,1]
	v_addc_co_u32_e32 v5, vcc, -1, v115, vcc
	v_pk_mov_b32 v[30:31], s[20:21], s[20:21] op_sel:[0,1]
	v_pk_mov_b32 v[28:29], s[18:19], s[18:19] op_sel:[0,1]
	;; [unrolled: 1-line block ×8, first 2 shown]
	v_cmp_gt_i64_e32 vcc, s[36:37], v[4:5]
	v_pk_mov_b32 v[46:47], v[30:31], v[30:31] op_sel:[0,1]
	v_pk_mov_b32 v[44:45], v[28:29], v[28:29] op_sel:[0,1]
	;; [unrolled: 1-line block ×7, first 2 shown]
	s_and_saveexec_b64 s[0:1], vcc
	s_cbranch_execz .LBB151_92
; %bb.91:                               ;   in Loop: Header=BB151_85 Depth=1
	v_add_co_u32_e32 v4, vcc, v112, v116
	v_addc_co_u32_e32 v5, vcc, v1, v117, vcc
	global_load_dword v2, v[4:5], off
	v_add_co_u32_e32 v4, vcc, v114, v116
	v_addc_co_u32_e32 v5, vcc, v111, v117, vcc
	global_load_dword v18, v[4:5], off
	v_mov_b32_e32 v16, v3
	v_mov_b32_e32 v17, v3
	;; [unrolled: 1-line block ×14, first 2 shown]
	s_waitcnt vmcnt(1)
	v_pk_mov_b32 v[48:49], v[16:17], v[16:17] op_sel:[0,1]
	v_mov_b32_e32 v19, v3
	v_mov_b32_e32 v20, v3
	;; [unrolled: 1-line block ×15, first 2 shown]
	v_pk_mov_b32 v[46:47], v[14:15], v[14:15] op_sel:[0,1]
	v_pk_mov_b32 v[44:45], v[12:13], v[12:13] op_sel:[0,1]
	;; [unrolled: 1-line block ×7, first 2 shown]
.LBB151_92:                             ;   in Loop: Header=BB151_85 Depth=1
	s_or_b64 exec, exec, s[0:1]
	v_add_co_u32_e32 v4, vcc, 0xffffff02, v113
	v_addc_co_u32_e32 v5, vcc, -1, v115, vcc
	v_cmp_gt_i64_e32 vcc, s[36:37], v[4:5]
	s_and_saveexec_b64 s[0:1], vcc
	s_cbranch_execz .LBB151_94
; %bb.93:                               ;   in Loop: Header=BB151_85 Depth=1
	v_add_co_u32_e32 v4, vcc, v118, v116
	v_addc_co_u32_e32 v5, vcc, v127, v117, vcc
	global_load_dword v35, v[4:5], off
	v_add_co_u32_e32 v4, vcc, v120, v116
	v_addc_co_u32_e32 v5, vcc, v123, v117, vcc
	global_load_dword v19, v[4:5], off
.LBB151_94:                             ;   in Loop: Header=BB151_85 Depth=1
	s_or_b64 exec, exec, s[0:1]
	v_add_co_u32_e32 v4, vcc, 0xffffff03, v113
	v_addc_co_u32_e32 v5, vcc, -1, v115, vcc
	v_cmp_gt_i64_e32 vcc, s[36:37], v[4:5]
	s_and_saveexec_b64 s[0:1], vcc
	s_cbranch_execz .LBB151_96
; %bb.95:                               ;   in Loop: Header=BB151_85 Depth=1
	buffer_load_dword v4, off, s[52:55], 0 offset:384 ; 4-byte Folded Reload
	buffer_load_dword v5, off, s[52:55], 0 offset:388 ; 4-byte Folded Reload
	;; [unrolled: 1-line block ×4, first 2 shown]
	s_waitcnt vmcnt(3)
	v_add_co_u32_e32 v4, vcc, v4, v116
	s_waitcnt vmcnt(0)
	v_addc_co_u32_e32 v5, vcc, v7, v117, vcc
	global_load_dword v36, v[4:5], off
	s_nop 0
	buffer_load_dword v4, off, s[52:55], 0 offset:400 ; 4-byte Folded Reload
	buffer_load_dword v5, off, s[52:55], 0 offset:404 ; 4-byte Folded Reload
	s_waitcnt vmcnt(1)
	v_add_co_u32_e32 v4, vcc, v4, v116
	s_waitcnt vmcnt(0)
	v_addc_co_u32_e32 v5, vcc, v125, v117, vcc
	global_load_dword v20, v[4:5], off
.LBB151_96:                             ;   in Loop: Header=BB151_85 Depth=1
	s_or_b64 exec, exec, s[0:1]
	v_add_co_u32_e32 v4, vcc, 0xffffff04, v113
	v_addc_co_u32_e32 v5, vcc, -1, v115, vcc
	v_cmp_gt_i64_e32 vcc, s[36:37], v[4:5]
	s_and_saveexec_b64 s[0:1], vcc
	s_cbranch_execz .LBB151_98
; %bb.97:                               ;   in Loop: Header=BB151_85 Depth=1
	buffer_load_dword v4, off, s[52:55], 0 offset:352 ; 4-byte Folded Reload
	buffer_load_dword v5, off, s[52:55], 0 offset:356 ; 4-byte Folded Reload
	;; [unrolled: 1-line block ×4, first 2 shown]
	s_waitcnt vmcnt(3)
	v_add_co_u32_e32 v4, vcc, v4, v116
	s_waitcnt vmcnt(0)
	v_addc_co_u32_e32 v5, vcc, v7, v117, vcc
	global_load_dword v37, v[4:5], off
	s_nop 0
	buffer_load_dword v4, off, s[52:55], 0 offset:368 ; 4-byte Folded Reload
	buffer_load_dword v5, off, s[52:55], 0 offset:372 ; 4-byte Folded Reload
	buffer_load_dword v6, off, s[52:55], 0 offset:376 ; 4-byte Folded Reload
	buffer_load_dword v7, off, s[52:55], 0 offset:380 ; 4-byte Folded Reload
	s_waitcnt vmcnt(3)
	v_add_co_u32_e32 v4, vcc, v4, v116
	s_waitcnt vmcnt(0)
	v_addc_co_u32_e32 v5, vcc, v7, v117, vcc
	global_load_dword v21, v[4:5], off
.LBB151_98:                             ;   in Loop: Header=BB151_85 Depth=1
	s_or_b64 exec, exec, s[0:1]
	v_add_co_u32_e32 v4, vcc, 0xffffff05, v113
	v_addc_co_u32_e32 v5, vcc, -1, v115, vcc
	v_cmp_gt_i64_e32 vcc, s[36:37], v[4:5]
	s_and_saveexec_b64 s[0:1], vcc
	s_cbranch_execz .LBB151_100
; %bb.99:                               ;   in Loop: Header=BB151_85 Depth=1
	buffer_load_dword v4, off, s[52:55], 0 offset:320 ; 4-byte Folded Reload
	buffer_load_dword v5, off, s[52:55], 0 offset:324 ; 4-byte Folded Reload
	;; [unrolled: 1-line block ×4, first 2 shown]
	s_waitcnt vmcnt(3)
	v_add_co_u32_e32 v4, vcc, v4, v116
	s_waitcnt vmcnt(0)
	v_addc_co_u32_e32 v5, vcc, v7, v117, vcc
	global_load_dword v38, v[4:5], off
	s_nop 0
	buffer_load_dword v4, off, s[52:55], 0 offset:336 ; 4-byte Folded Reload
	buffer_load_dword v5, off, s[52:55], 0 offset:340 ; 4-byte Folded Reload
	;; [unrolled: 1-line block ×4, first 2 shown]
	s_waitcnt vmcnt(3)
	v_add_co_u32_e32 v4, vcc, v4, v116
	s_waitcnt vmcnt(0)
	v_addc_co_u32_e32 v5, vcc, v7, v117, vcc
	global_load_dword v22, v[4:5], off
.LBB151_100:                            ;   in Loop: Header=BB151_85 Depth=1
	s_or_b64 exec, exec, s[0:1]
	v_add_co_u32_e32 v4, vcc, 0xffffff06, v113
	v_addc_co_u32_e32 v5, vcc, -1, v115, vcc
	v_cmp_gt_i64_e32 vcc, s[36:37], v[4:5]
	s_and_saveexec_b64 s[0:1], vcc
	s_cbranch_execz .LBB151_102
; %bb.101:                              ;   in Loop: Header=BB151_85 Depth=1
	buffer_load_dword v4, off, s[52:55], 0 offset:288 ; 4-byte Folded Reload
	buffer_load_dword v5, off, s[52:55], 0 offset:292 ; 4-byte Folded Reload
	buffer_load_dword v6, off, s[52:55], 0 offset:296 ; 4-byte Folded Reload
	buffer_load_dword v7, off, s[52:55], 0 offset:300 ; 4-byte Folded Reload
	s_waitcnt vmcnt(3)
	v_add_co_u32_e32 v4, vcc, v4, v116
	s_waitcnt vmcnt(0)
	v_addc_co_u32_e32 v5, vcc, v7, v117, vcc
	global_load_dword v39, v[4:5], off
	s_nop 0
	buffer_load_dword v4, off, s[52:55], 0 offset:304 ; 4-byte Folded Reload
	buffer_load_dword v5, off, s[52:55], 0 offset:308 ; 4-byte Folded Reload
	buffer_load_dword v6, off, s[52:55], 0 offset:312 ; 4-byte Folded Reload
	buffer_load_dword v7, off, s[52:55], 0 offset:316 ; 4-byte Folded Reload
	s_waitcnt vmcnt(3)
	v_add_co_u32_e32 v4, vcc, v4, v116
	s_waitcnt vmcnt(0)
	v_addc_co_u32_e32 v5, vcc, v7, v117, vcc
	global_load_dword v23, v[4:5], off
.LBB151_102:                            ;   in Loop: Header=BB151_85 Depth=1
	s_or_b64 exec, exec, s[0:1]
	v_add_co_u32_e32 v4, vcc, 0xffffff07, v113
	v_addc_co_u32_e32 v5, vcc, -1, v115, vcc
	v_cmp_gt_i64_e32 vcc, s[36:37], v[4:5]
	s_and_saveexec_b64 s[0:1], vcc
	s_cbranch_execz .LBB151_104
; %bb.103:                              ;   in Loop: Header=BB151_85 Depth=1
	buffer_load_dword v4, off, s[52:55], 0 offset:256 ; 4-byte Folded Reload
	buffer_load_dword v5, off, s[52:55], 0 offset:260 ; 4-byte Folded Reload
	buffer_load_dword v6, off, s[52:55], 0 offset:264 ; 4-byte Folded Reload
	buffer_load_dword v7, off, s[52:55], 0 offset:268 ; 4-byte Folded Reload
	s_waitcnt vmcnt(3)
	v_add_co_u32_e32 v4, vcc, v4, v116
	s_waitcnt vmcnt(0)
	v_addc_co_u32_e32 v5, vcc, v7, v117, vcc
	global_load_dword v40, v[4:5], off
	s_nop 0
	buffer_load_dword v4, off, s[52:55], 0 offset:272 ; 4-byte Folded Reload
	buffer_load_dword v5, off, s[52:55], 0 offset:276 ; 4-byte Folded Reload
	buffer_load_dword v6, off, s[52:55], 0 offset:280 ; 4-byte Folded Reload
	buffer_load_dword v7, off, s[52:55], 0 offset:284 ; 4-byte Folded Reload
	s_waitcnt vmcnt(3)
	v_add_co_u32_e32 v4, vcc, v4, v116
	s_waitcnt vmcnt(0)
	v_addc_co_u32_e32 v5, vcc, v7, v117, vcc
	global_load_dword v24, v[4:5], off
.LBB151_104:                            ;   in Loop: Header=BB151_85 Depth=1
	;; [unrolled: 27-line block ×8, first 2 shown]
	s_or_b64 exec, exec, s[0:1]
	v_add_co_u32_e32 v4, vcc, 0xffffff0e, v113
	v_addc_co_u32_e32 v5, vcc, -1, v115, vcc
	v_cmp_gt_i64_e32 vcc, s[36:37], v[4:5]
	s_and_saveexec_b64 s[0:1], vcc
	s_cbranch_execz .LBB151_118
; %bb.117:                              ;   in Loop: Header=BB151_85 Depth=1
	v_add_co_u32_e32 v4, vcc, v124, v116
	v_addc_co_u32_e32 v5, vcc, v121, v117, vcc
	global_load_dword v47, v[4:5], off
	buffer_load_dword v6, off, s[52:55], 0 offset:56 ; 4-byte Folded Reload
	buffer_load_dword v7, off, s[52:55], 0 offset:60 ; 4-byte Folded Reload
	v_add_co_u32_e32 v4, vcc, v126, v116
	s_waitcnt vmcnt(0)
	v_addc_co_u32_e32 v5, vcc, v7, v117, vcc
	global_load_dword v31, v[4:5], off
.LBB151_118:                            ;   in Loop: Header=BB151_85 Depth=1
	s_or_b64 exec, exec, s[0:1]
	v_add_co_u32_e32 v4, vcc, 0xffffff0f, v113
	v_addc_co_u32_e32 v5, vcc, -1, v115, vcc
	v_cmp_gt_i64_e32 vcc, s[36:37], v[4:5]
	s_and_saveexec_b64 s[0:1], vcc
	s_cbranch_execz .LBB151_120
; %bb.119:                              ;   in Loop: Header=BB151_85 Depth=1
	buffer_load_dword v4, off, s[52:55], 0 offset:32 ; 4-byte Folded Reload
	buffer_load_dword v5, off, s[52:55], 0 offset:36 ; 4-byte Folded Reload
	;; [unrolled: 1-line block ×4, first 2 shown]
	s_waitcnt vmcnt(3)
	v_add_co_u32_e32 v4, vcc, v4, v116
	s_waitcnt vmcnt(0)
	v_addc_co_u32_e32 v5, vcc, v7, v117, vcc
	global_load_dword v48, v[4:5], off
	s_nop 0
	buffer_load_dword v4, off, s[52:55], 0 offset:48 ; 4-byte Folded Reload
	buffer_load_dword v5, off, s[52:55], 0 offset:52 ; 4-byte Folded Reload
	s_waitcnt vmcnt(1)
	v_add_co_u32_e32 v4, vcc, v4, v116
	s_waitcnt vmcnt(0)
	v_addc_co_u32_e32 v5, vcc, v119, v117, vcc
	global_load_dword v32, v[4:5], off
.LBB151_120:                            ;   in Loop: Header=BB151_85 Depth=1
	s_or_b64 exec, exec, s[0:1]
	v_add_co_u32_e32 v4, vcc, 0xffffff10, v113
	v_addc_co_u32_e32 v5, vcc, -1, v115, vcc
	v_cmp_gt_i64_e32 vcc, s[36:37], v[4:5]
	s_and_saveexec_b64 s[0:1], vcc
	s_cbranch_execz .LBB151_122
; %bb.121:                              ;   in Loop: Header=BB151_85 Depth=1
	buffer_load_dword v4, off, s[52:55], 0  ; 4-byte Folded Reload
	buffer_load_dword v5, off, s[52:55], 0 offset:4 ; 4-byte Folded Reload
	buffer_load_dword v6, off, s[52:55], 0 offset:8 ; 4-byte Folded Reload
	;; [unrolled: 1-line block ×3, first 2 shown]
	s_waitcnt vmcnt(3)
	v_add_co_u32_e32 v4, vcc, v4, v116
	s_waitcnt vmcnt(0)
	v_addc_co_u32_e32 v5, vcc, v7, v117, vcc
	global_load_dword v49, v[4:5], off
	s_nop 0
	buffer_load_dword v4, off, s[52:55], 0 offset:16 ; 4-byte Folded Reload
	buffer_load_dword v5, off, s[52:55], 0 offset:20 ; 4-byte Folded Reload
	;; [unrolled: 1-line block ×4, first 2 shown]
	s_waitcnt vmcnt(3)
	v_add_co_u32_e32 v4, vcc, v4, v116
	s_waitcnt vmcnt(0)
	v_addc_co_u32_e32 v5, vcc, v7, v117, vcc
	global_load_dword v33, v[4:5], off
.LBB151_122:                            ;   in Loop: Header=BB151_85 Depth=1
	s_or_b64 exec, exec, s[0:1]
	s_waitcnt vmcnt(0)
	ds_bpermute_b32 v2, v110, v122
	v_mul_f32_e32 v4, v18, v34
	v_mul_f32_e32 v5, v19, v35
	ds_bpermute_b32 v6, v110, v122 offset:16
	ds_bpermute_b32 v7, v110, v122 offset:20
	s_waitcnt lgkmcnt(2)
	v_fma_f32 v2, v4, v2, v0
	ds_bpermute_b32 v4, v110, v122 offset:4
	v_pk_mul_f32 v[16:17], v[22:23], v[38:39]
	v_pk_mul_f32 v[14:15], v[24:25], v[40:41]
	s_waitcnt lgkmcnt(1)
	v_pk_mul_f32 v[6:7], v[16:17], v[6:7]
	v_pk_mul_f32 v[12:13], v[26:27], v[42:43]
	s_waitcnt lgkmcnt(0)
	v_fmac_f32_e32 v2, v5, v4
	ds_bpermute_b32 v4, v110, v122 offset:8
	v_mul_f32_e32 v5, v20, v36
	v_pk_mul_f32 v[10:11], v[28:29], v[44:45]
	v_pk_mul_f32 v[8:9], v[30:31], v[46:47]
	s_waitcnt lgkmcnt(0)
	v_fmac_f32_e32 v2, v5, v4
	ds_bpermute_b32 v4, v110, v122 offset:12
	v_mul_f32_e32 v5, v21, v37
	s_waitcnt lgkmcnt(0)
	v_fmac_f32_e32 v2, v5, v4
	v_add_f32_e32 v2, v2, v6
	v_add_f32_e32 v2, v2, v7
	ds_bpermute_b32 v6, v110, v122 offset:24
	ds_bpermute_b32 v7, v110, v122 offset:28
	v_pk_mul_f32 v[4:5], v[32:33], v[48:49]
	s_waitcnt lgkmcnt(0)
	v_pk_mul_f32 v[6:7], v[14:15], v[6:7]
	v_add_f32_e32 v2, v2, v6
	v_add_f32_e32 v2, v2, v7
	ds_bpermute_b32 v6, v110, v122 offset:32
	ds_bpermute_b32 v7, v110, v122 offset:36
	s_waitcnt lgkmcnt(0)
	v_pk_mul_f32 v[6:7], v[12:13], v[6:7]
	v_add_f32_e32 v2, v2, v6
	v_add_f32_e32 v2, v2, v7
	ds_bpermute_b32 v6, v110, v122 offset:40
	ds_bpermute_b32 v7, v110, v122 offset:44
	;; [unrolled: 6-line block ×4, first 2 shown]
	s_waitcnt lgkmcnt(0)
	v_pk_mul_f32 v[4:5], v[4:5], v[6:7]
	v_add_f32_e32 v2, v2, v4
	v_add_f32_e32 v2, v2, v5
	s_branch .LBB151_129
.LBB151_123:                            ;   in Loop: Header=BB151_85 Depth=1
                                        ; implicit-def: $vgpr2
	s_cbranch_execz .LBB151_129
; %bb.124:                              ;   in Loop: Header=BB151_85 Depth=1
	s_load_dword s0, s[2:3], 0x0
	s_waitcnt lgkmcnt(0)
	s_cmp_lt_u32 s6, s0
	s_cselect_b32 s0, 12, 18
	s_add_u32 s0, s2, s0
	s_addc_u32 s1, s3, 0
	global_load_ushort v2, v3, s[0:1]
	buffer_load_dword v4, off, s[52:55], 0 offset:408 ; 4-byte Folded Reload
	buffer_load_dword v5, off, s[52:55], 0 offset:420 ; 4-byte Folded Reload
	s_waitcnt vmcnt(0)
	v_mad_u32_u24 v2, v4, v2, v5
	v_and_b32_e32 v4, 63, v2
	v_cmp_gt_u32_e32 vcc, 16, v4
	v_mov_b32_e32 v2, 0
	s_and_saveexec_b64 s[0:1], vcc
	s_cbranch_execz .LBB151_128
; %bb.125:                              ;   in Loop: Header=BB151_85 Depth=1
	v_add_co_u32_e32 v2, vcc, v113, v4
	v_addc_co_u32_e32 v5, vcc, 0, v115, vcc
	v_add_co_u32_e32 v4, vcc, 0xffffff01, v2
	v_addc_co_u32_e32 v5, vcc, -1, v5, vcc
	v_cmp_gt_i64_e32 vcc, s[36:37], v[4:5]
	v_mov_b32_e32 v2, 0
	s_and_saveexec_b64 s[10:11], vcc
	s_cbranch_execz .LBB151_127
; %bb.126:                              ;   in Loop: Header=BB151_85 Depth=1
	v_lshlrev_b64 v[4:5], 2, v[4:5]
	v_mov_b32_e32 v2, s29
	v_add_co_u32_e32 v4, vcc, s28, v4
	v_addc_co_u32_e32 v5, vcc, v2, v5, vcc
	global_load_dword v2, v[4:5], off
.LBB151_127:                            ;   in Loop: Header=BB151_85 Depth=1
	s_or_b64 exec, exec, s[10:11]
.LBB151_128:                            ;   in Loop: Header=BB151_85 Depth=1
	s_or_b64 exec, exec, s[0:1]
	v_add_co_u32_e32 v4, vcc, v112, v116
	v_addc_co_u32_e32 v5, vcc, v1, v117, vcc
	global_load_dword v30, v[4:5], off
	v_add_co_u32_e32 v4, vcc, v114, v116
	v_addc_co_u32_e32 v5, vcc, v111, v117, vcc
	global_load_dword v31, v[4:5], off
	;; [unrolled: 3-line block ×28, first 2 shown]
	v_add_co_u32_e32 v4, vcc, v102, v116
	v_addc_co_u32_e32 v5, vcc, v103, v117, vcc
	v_add_co_u32_e32 v6, vcc, v104, v116
	v_addc_co_u32_e32 v7, vcc, v105, v117, vcc
	;; [unrolled: 2-line block ×3, first 2 shown]
	global_load_dword v4, v[4:5], off
	s_waitcnt vmcnt(17)
	v_pk_mul_f32 v[24:25], v[24:25], v[26:27]
	global_load_dword v5, v[28:29], off
	v_add_co_u32_e32 v28, vcc, v108, v116
	v_addc_co_u32_e32 v29, vcc, v109, v117, vcc
	global_load_dword v6, v[6:7], off
	s_waitcnt vmcnt(15)
	v_pk_mul_f32 v[16:17], v[16:17], v[20:21]
	global_load_dword v7, v[28:29], off
	ds_bpermute_b32 v28, v110, v2
	v_mul_f32_e32 v29, v30, v31
	s_waitcnt lgkmcnt(0)
	v_fmac_f32_e32 v0, v29, v28
	ds_bpermute_b32 v28, v110, v2 offset:4
	v_mul_f32_e32 v29, v32, v33
	s_waitcnt lgkmcnt(0)
	v_fmac_f32_e32 v0, v29, v28
	ds_bpermute_b32 v28, v110, v2 offset:8
	;; [unrolled: 4-line block ×3, first 2 shown]
	v_mul_f32_e32 v29, v36, v37
	s_waitcnt vmcnt(12)
	v_pk_mul_f32 v[18:19], v[18:19], v[22:23]
	s_waitcnt lgkmcnt(0)
	v_fmac_f32_e32 v0, v29, v28
	ds_bpermute_b32 v28, v110, v2 offset:16
	ds_bpermute_b32 v29, v110, v2 offset:20
	s_waitcnt lgkmcnt(0)
	v_pk_mul_f32 v[24:25], v[24:25], v[28:29]
	v_add_f32_e32 v0, v0, v24
	v_add_f32_e32 v0, v0, v25
	ds_bpermute_b32 v24, v110, v2 offset:24
	ds_bpermute_b32 v25, v110, v2 offset:28
	s_waitcnt vmcnt(8)
	v_pk_mul_f32 v[8:9], v[8:9], v[12:13]
	s_waitcnt lgkmcnt(0)
	v_pk_mul_f32 v[16:17], v[16:17], v[24:25]
	v_add_f32_e32 v0, v0, v16
	v_add_f32_e32 v0, v0, v17
	ds_bpermute_b32 v16, v110, v2 offset:32
	ds_bpermute_b32 v17, v110, v2 offset:36
	s_waitcnt lgkmcnt(0)
	v_pk_mul_f32 v[16:17], v[18:19], v[16:17]
	v_add_f32_e32 v0, v0, v16
	v_add_f32_e32 v0, v0, v17
	ds_bpermute_b32 v16, v110, v2 offset:40
	ds_bpermute_b32 v17, v110, v2 offset:44
	;; [unrolled: 6-line block ×3, first 2 shown]
	s_waitcnt vmcnt(4)
	v_pk_mul_f32 v[10:11], v[10:11], v[14:15]
	s_waitcnt lgkmcnt(0)
	v_pk_mul_f32 v[8:9], v[10:11], v[8:9]
	v_add_f32_e32 v0, v0, v8
	v_add_f32_e32 v0, v0, v9
	ds_bpermute_b32 v8, v110, v2 offset:56
	ds_bpermute_b32 v9, v110, v2 offset:60
	s_waitcnt vmcnt(0)
	v_pk_mul_f32 v[4:5], v[4:5], v[6:7]
	s_waitcnt lgkmcnt(0)
	v_pk_mul_f32 v[4:5], v[4:5], v[8:9]
	v_add_f32_e32 v0, v0, v4
	v_add_f32_e32 v2, v0, v5
.LBB151_129:                            ;   in Loop: Header=BB151_85 Depth=1
	buffer_load_dword v4, off, s[52:55], 0  ; 4-byte Folded Reload
	buffer_load_dword v5, off, s[52:55], 0 offset:4 ; 4-byte Folded Reload
	v_add_co_u32_e32 v50, vcc, s26, v50
	v_mov_b32_e32 v0, s27
	v_addc_co_u32_e32 v51, vcc, v51, v0, vcc
	v_add_co_u32_e32 v52, vcc, s26, v52
	v_addc_co_u32_e32 v53, vcc, v53, v0, vcc
	v_add_co_u32_e32 v54, vcc, s26, v54
	;; [unrolled: 2-line block ×31, first 2 shown]
	v_addc_co_u32_e32 v111, vcc, v111, v0, vcc
	s_waitcnt vmcnt(1)
	v_add_co_u32_e32 v4, vcc, s26, v4
	s_waitcnt vmcnt(0)
	buffer_store_dword v4, off, s[52:55], 0 ; 4-byte Folded Spill
	s_nop 0
	buffer_store_dword v5, off, s[52:55], 0 offset:4 ; 4-byte Folded Spill
	buffer_load_dword v4, off, s[52:55], 0 offset:8 ; 4-byte Folded Reload
	s_nop 0
	buffer_load_dword v5, off, s[52:55], 0 offset:12 ; 4-byte Folded Reload
	s_add_u32 s30, s30, s7
	s_addc_u32 s31, s31, 0
	s_add_u32 s24, s24, s7
	s_addc_u32 s25, s25, 0
	s_waitcnt vmcnt(0)
	v_addc_co_u32_e32 v5, vcc, v5, v0, vcc
	buffer_store_dword v4, off, s[52:55], 0 offset:8 ; 4-byte Folded Spill
	s_nop 0
	buffer_store_dword v5, off, s[52:55], 0 offset:12 ; 4-byte Folded Spill
	buffer_load_dword v4, off, s[52:55], 0 offset:16 ; 4-byte Folded Reload
	s_nop 0
	buffer_load_dword v5, off, s[52:55], 0 offset:20 ; 4-byte Folded Reload
	s_waitcnt vmcnt(1)
	v_add_co_u32_e32 v4, vcc, s26, v4
	s_waitcnt vmcnt(0)
	buffer_store_dword v4, off, s[52:55], 0 offset:16 ; 4-byte Folded Spill
	s_nop 0
	buffer_store_dword v5, off, s[52:55], 0 offset:20 ; 4-byte Folded Spill
	buffer_load_dword v4, off, s[52:55], 0 offset:24 ; 4-byte Folded Reload
	s_nop 0
	buffer_load_dword v5, off, s[52:55], 0 offset:28 ; 4-byte Folded Reload
	s_waitcnt vmcnt(0)
	v_addc_co_u32_e32 v5, vcc, v5, v0, vcc
	buffer_store_dword v4, off, s[52:55], 0 offset:24 ; 4-byte Folded Spill
	s_nop 0
	buffer_store_dword v5, off, s[52:55], 0 offset:28 ; 4-byte Folded Spill
	buffer_load_dword v4, off, s[52:55], 0 offset:32 ; 4-byte Folded Reload
	s_nop 0
	buffer_load_dword v5, off, s[52:55], 0 offset:36 ; 4-byte Folded Reload
	s_waitcnt vmcnt(1)
	v_add_co_u32_e32 v4, vcc, s26, v4
	s_waitcnt vmcnt(0)
	buffer_store_dword v4, off, s[52:55], 0 offset:32 ; 4-byte Folded Spill
	s_nop 0
	buffer_store_dword v5, off, s[52:55], 0 offset:36 ; 4-byte Folded Spill
	buffer_load_dword v4, off, s[52:55], 0 offset:40 ; 4-byte Folded Reload
	s_nop 0
	buffer_load_dword v5, off, s[52:55], 0 offset:44 ; 4-byte Folded Reload
	;; [unrolled: 17-line block ×3, first 2 shown]
	v_addc_co_u32_e32 v119, vcc, v119, v0, vcc
	v_add_co_u32_e32 v124, vcc, s26, v124
	v_addc_co_u32_e32 v121, vcc, v121, v0, vcc
	v_add_co_u32_e32 v126, vcc, s26, v126
	s_waitcnt vmcnt(0)
	v_addc_co_u32_e32 v5, vcc, v5, v0, vcc
	buffer_store_dword v4, off, s[52:55], 0 offset:56 ; 4-byte Folded Spill
	s_nop 0
	buffer_store_dword v5, off, s[52:55], 0 offset:60 ; 4-byte Folded Spill
	buffer_load_dword v4, off, s[52:55], 0 offset:64 ; 4-byte Folded Reload
	s_nop 0
	buffer_load_dword v5, off, s[52:55], 0 offset:68 ; 4-byte Folded Reload
	s_waitcnt vmcnt(1)
	v_add_co_u32_e32 v4, vcc, s26, v4
	s_waitcnt vmcnt(0)
	buffer_store_dword v4, off, s[52:55], 0 offset:64 ; 4-byte Folded Spill
	s_nop 0
	buffer_store_dword v5, off, s[52:55], 0 offset:68 ; 4-byte Folded Spill
	buffer_load_dword v4, off, s[52:55], 0 offset:72 ; 4-byte Folded Reload
	s_nop 0
	buffer_load_dword v5, off, s[52:55], 0 offset:76 ; 4-byte Folded Reload
	s_waitcnt vmcnt(0)
	v_addc_co_u32_e32 v5, vcc, v5, v0, vcc
	buffer_store_dword v4, off, s[52:55], 0 offset:72 ; 4-byte Folded Spill
	s_nop 0
	buffer_store_dword v5, off, s[52:55], 0 offset:76 ; 4-byte Folded Spill
	buffer_load_dword v4, off, s[52:55], 0 offset:80 ; 4-byte Folded Reload
	s_nop 0
	buffer_load_dword v5, off, s[52:55], 0 offset:84 ; 4-byte Folded Reload
	s_waitcnt vmcnt(1)
	v_add_co_u32_e32 v4, vcc, s26, v4
	s_waitcnt vmcnt(0)
	buffer_store_dword v4, off, s[52:55], 0 offset:80 ; 4-byte Folded Spill
	s_nop 0
	buffer_store_dword v5, off, s[52:55], 0 offset:84 ; 4-byte Folded Spill
	buffer_load_dword v4, off, s[52:55], 0 offset:88 ; 4-byte Folded Reload
	s_nop 0
	buffer_load_dword v5, off, s[52:55], 0 offset:92 ; 4-byte Folded Reload
	;; [unrolled: 17-line block ×21, first 2 shown]
	s_waitcnt vmcnt(0)
	v_addc_co_u32_e32 v5, vcc, v5, v0, vcc
	buffer_store_dword v4, off, s[52:55], 0 offset:392 ; 4-byte Folded Spill
	s_nop 0
	buffer_store_dword v5, off, s[52:55], 0 offset:396 ; 4-byte Folded Spill
	buffer_load_dword v4, off, s[52:55], 0 offset:400 ; 4-byte Folded Reload
	s_nop 0
	buffer_load_dword v5, off, s[52:55], 0 offset:404 ; 4-byte Folded Reload
	s_waitcnt vmcnt(1)
	v_add_co_u32_e32 v4, vcc, s26, v4
	v_addc_co_u32_e32 v125, vcc, v125, v0, vcc
	v_add_co_u32_e32 v118, vcc, s26, v118
	v_addc_co_u32_e32 v127, vcc, v127, v0, vcc
	s_waitcnt vmcnt(0)
	buffer_store_dword v4, off, s[52:55], 0 offset:400 ; 4-byte Folded Spill
	s_nop 0
	buffer_store_dword v5, off, s[52:55], 0 offset:404 ; 4-byte Folded Spill
	v_add_co_u32_e32 v120, vcc, s26, v120
	v_addc_co_u32_e32 v123, vcc, v123, v0, vcc
	v_pk_mov_b32 v[4:5], s[36:37], s[36:37] op_sel:[0,1]
	v_cmp_ge_i64_e32 vcc, s[30:31], v[4:5]
	s_cbranch_vccnz .LBB151_131
; %bb.130:                              ;   in Loop: Header=BB151_85 Depth=1
	v_mov_b32_e32 v0, v2
	s_branch .LBB151_85
.LBB151_131:
	buffer_load_dword v122, off, s[52:55], 0 offset:424 ; 4-byte Folded Reload
.LBB151_132:
	s_waitcnt vmcnt(0)
	v_bfe_u32 v0, v122, 10, 10
	v_and_b32_e32 v3, 0x3ff, v122
	s_movk_i32 s0, 0x41
	v_mad_u32_u24 v1, v0, s0, v3
	v_lshl_add_u32 v1, v1, 2, 0
	ds_write_b32 v1, v2
	v_mov_b32_e32 v2, 0
	ds_write_b32 v1, v2 offset:4160
	v_lshrrev_b32_e32 v1, 6, v3
	v_add_u32_e32 v2, v1, v0
	s_mov_b32 s7, 0
	v_cmp_gt_u32_e32 vcc, 64, v2
	s_waitcnt lgkmcnt(0)
	s_barrier
	s_and_saveexec_b64 s[0:1], vcc
	s_cbranch_execz .LBB151_139
; %bb.133:
	v_mbcnt_lo_u32_b32 v5, -1, 0
	v_mbcnt_hi_u32_b32 v7, -1, v5
	v_and_b32_e32 v4, 63, v3
	v_and_b32_e32 v5, 64, v7
	v_cmp_gt_u32_e32 vcc, 16, v4
	v_add_u32_e32 v8, 64, v5
	v_cmp_ne_u32_e64 s[0:1], 0, v3
	v_mul_u32_u24_e32 v3, 0x104, v4
	v_xor_b32_e32 v4, 8, v7
	v_cmp_lt_i32_e64 s[2:3], v4, v8
	v_xor_b32_e32 v5, 4, v7
	v_cndmask_b32_e64 v4, v7, v4, s[2:3]
	v_cmp_lt_i32_e64 s[2:3], v5, v8
	v_xor_b32_e32 v6, 2, v7
	v_cndmask_b32_e64 v5, v7, v5, s[2:3]
	v_cmp_lt_i32_e64 s[2:3], v6, v8
	v_xor_b32_e32 v9, 1, v7
	v_cndmask_b32_e64 v6, v7, v6, s[2:3]
	v_cmp_lt_i32_e64 s[2:3], v9, v8
	s_load_dwordx2 s[10:11], s[4:5], 0x30
	v_cndmask_b32_e64 v7, v7, v9, s[2:3]
	v_add_co_u32_e64 v0, s[2:3], v1, v0
	s_lshl_b64 s[4:5], s[6:7], 6
	v_lshlrev_b32_e32 v2, 2, v2
	v_addc_co_u32_e64 v1, s[2:3], 0, 0, s[2:3]
	v_add3_u32 v8, v3, v2, 0
	v_mov_b32_e32 v3, s5
	v_add_co_u32_e64 v2, s[2:3], s4, v0
	v_addc_co_u32_e64 v3, s[2:3], v1, v3, s[2:3]
	v_lshlrev_b64 v[2:3], 2, v[2:3]
	s_waitcnt lgkmcnt(0)
	s_cmp_eq_u64 s[10:11], 0
	v_mov_b32_e32 v9, s11
	v_add_co_u32_e64 v2, s[2:3], s10, v2
	s_mov_b64 s[6:7], 0
	s_cselect_b64 s[8:9], -1, 0
	v_lshlrev_b32_e32 v4, 2, v4
	v_lshlrev_b32_e32 v5, 2, v5
	;; [unrolled: 1-line block ×4, first 2 shown]
	v_addc_co_u32_e64 v3, s[2:3], v9, v3, s[2:3]
	v_mov_b32_e32 v9, s5
                                        ; implicit-def: $vgpr10
	s_branch .LBB151_135
.LBB151_134:                            ;   in Loop: Header=BB151_135 Depth=1
	s_or_b64 exec, exec, s[2:3]
	v_add_co_u32_e64 v0, s[2:3], 16, v0
	v_addc_co_u32_e64 v1, s[2:3], 0, v1, s[2:3]
	v_add_u32_e32 v11, -16, v0
	v_cmp_lt_u32_e64 s[2:3], 47, v11
	s_or_b64 s[6:7], s[2:3], s[6:7]
	v_add_co_u32_e64 v2, s[2:3], 64, v2
	v_add_u32_e32 v8, 64, v8
	v_addc_co_u32_e64 v3, s[2:3], 0, v3, s[2:3]
	s_andn2_b64 exec, exec, s[6:7]
	s_cbranch_execz .LBB151_139
.LBB151_135:                            ; =>This Inner Loop Header: Depth=1
	s_and_saveexec_b64 s[2:3], vcc
	s_cbranch_execz .LBB151_137
; %bb.136:                              ;   in Loop: Header=BB151_135 Depth=1
	ds_read_b32 v10, v8
.LBB151_137:                            ;   in Loop: Header=BB151_135 Depth=1
	s_or_b64 exec, exec, s[2:3]
	s_waitcnt lgkmcnt(0)
	ds_bpermute_b32 v11, v4, v10
	s_waitcnt lgkmcnt(0)
	v_add_f32_e32 v10, v10, v11
	ds_bpermute_b32 v11, v5, v10
	s_waitcnt lgkmcnt(0)
	v_add_f32_e32 v10, v10, v11
	;; [unrolled: 3-line block ×3, first 2 shown]
	ds_bpermute_b32 v13, v7, v12
	v_add_co_u32_e64 v10, s[2:3], s4, v0
	v_addc_co_u32_e64 v11, s[2:3], v9, v1, s[2:3]
	v_cmp_le_i64_e64 s[2:3], s[38:39], v[10:11]
	s_or_b64 s[2:3], s[0:1], s[2:3]
	s_or_b64 s[2:3], s[8:9], s[2:3]
	s_waitcnt lgkmcnt(0)
	v_add_f32_e32 v10, v12, v13
	s_xor_b64 s[10:11], s[2:3], -1
	s_and_saveexec_b64 s[2:3], s[10:11]
	s_cbranch_execz .LBB151_134
; %bb.138:                              ;   in Loop: Header=BB151_135 Depth=1
	global_store_dword v[2:3], v10, off
	s_branch .LBB151_134
.LBB151_139:
	s_endpgm
	.section	.rodata,"a",@progbits
	.p2align	6, 0x0
	.amdhsa_kernel _ZN2at6native12_GLOBAL__N_135GammaBetaBackwardCUDAKernelTemplateIffLj64ELj16ELj256ELb0ELb0ELb1EEEvllPKT_S5_PKT0_S8_PS3_S9_
		.amdhsa_group_segment_fixed_size 0
		.amdhsa_private_segment_fixed_size 432
		.amdhsa_kernarg_size 320
		.amdhsa_user_sgpr_count 6
		.amdhsa_user_sgpr_private_segment_buffer 1
		.amdhsa_user_sgpr_dispatch_ptr 0
		.amdhsa_user_sgpr_queue_ptr 0
		.amdhsa_user_sgpr_kernarg_segment_ptr 1
		.amdhsa_user_sgpr_dispatch_id 0
		.amdhsa_user_sgpr_flat_scratch_init 0
		.amdhsa_user_sgpr_kernarg_preload_length 0
		.amdhsa_user_sgpr_kernarg_preload_offset 0
		.amdhsa_user_sgpr_private_segment_size 0
		.amdhsa_uses_dynamic_stack 0
		.amdhsa_system_sgpr_private_segment_wavefront_offset 1
		.amdhsa_system_sgpr_workgroup_id_x 1
		.amdhsa_system_sgpr_workgroup_id_y 1
		.amdhsa_system_sgpr_workgroup_id_z 0
		.amdhsa_system_sgpr_workgroup_info 0
		.amdhsa_system_vgpr_workitem_id 1
		.amdhsa_next_free_vgpr 128
		.amdhsa_next_free_sgpr 56
		.amdhsa_accum_offset 128
		.amdhsa_reserve_vcc 1
		.amdhsa_reserve_flat_scratch 0
		.amdhsa_float_round_mode_32 0
		.amdhsa_float_round_mode_16_64 0
		.amdhsa_float_denorm_mode_32 3
		.amdhsa_float_denorm_mode_16_64 3
		.amdhsa_dx10_clamp 1
		.amdhsa_ieee_mode 1
		.amdhsa_fp16_overflow 0
		.amdhsa_tg_split 0
		.amdhsa_exception_fp_ieee_invalid_op 0
		.amdhsa_exception_fp_denorm_src 0
		.amdhsa_exception_fp_ieee_div_zero 0
		.amdhsa_exception_fp_ieee_overflow 0
		.amdhsa_exception_fp_ieee_underflow 0
		.amdhsa_exception_fp_ieee_inexact 0
		.amdhsa_exception_int_div_zero 0
	.end_amdhsa_kernel
	.section	.text._ZN2at6native12_GLOBAL__N_135GammaBetaBackwardCUDAKernelTemplateIffLj64ELj16ELj256ELb0ELb0ELb1EEEvllPKT_S5_PKT0_S8_PS3_S9_,"axG",@progbits,_ZN2at6native12_GLOBAL__N_135GammaBetaBackwardCUDAKernelTemplateIffLj64ELj16ELj256ELb0ELb0ELb1EEEvllPKT_S5_PKT0_S8_PS3_S9_,comdat
.Lfunc_end151:
	.size	_ZN2at6native12_GLOBAL__N_135GammaBetaBackwardCUDAKernelTemplateIffLj64ELj16ELj256ELb0ELb0ELb1EEEvllPKT_S5_PKT0_S8_PS3_S9_, .Lfunc_end151-_ZN2at6native12_GLOBAL__N_135GammaBetaBackwardCUDAKernelTemplateIffLj64ELj16ELj256ELb0ELb0ELb1EEEvllPKT_S5_PKT0_S8_PS3_S9_
                                        ; -- End function
	.section	.AMDGPU.csdata,"",@progbits
; Kernel info:
; codeLenInByte = 16156
; NumSgprs: 60
; NumVgprs: 128
; NumAgprs: 0
; TotalNumVgprs: 128
; ScratchSize: 432
; MemoryBound: 0
; FloatMode: 240
; IeeeMode: 1
; LDSByteSize: 0 bytes/workgroup (compile time only)
; SGPRBlocks: 7
; VGPRBlocks: 15
; NumSGPRsForWavesPerEU: 60
; NumVGPRsForWavesPerEU: 128
; AccumOffset: 128
; Occupancy: 4
; WaveLimiterHint : 0
; COMPUTE_PGM_RSRC2:SCRATCH_EN: 1
; COMPUTE_PGM_RSRC2:USER_SGPR: 6
; COMPUTE_PGM_RSRC2:TRAP_HANDLER: 0
; COMPUTE_PGM_RSRC2:TGID_X_EN: 1
; COMPUTE_PGM_RSRC2:TGID_Y_EN: 1
; COMPUTE_PGM_RSRC2:TGID_Z_EN: 0
; COMPUTE_PGM_RSRC2:TIDIG_COMP_CNT: 1
; COMPUTE_PGM_RSRC3_GFX90A:ACCUM_OFFSET: 31
; COMPUTE_PGM_RSRC3_GFX90A:TG_SPLIT: 0
	.section	.text._ZN2at6native12_GLOBAL__N_135GammaBetaBackwardCUDAKernelTemplateIffLj32ELj1ELj32ELb1ELb1ELb1EEEvllPKT_S5_PKT0_S8_PS3_S9_,"axG",@progbits,_ZN2at6native12_GLOBAL__N_135GammaBetaBackwardCUDAKernelTemplateIffLj32ELj1ELj32ELb1ELb1ELb1EEEvllPKT_S5_PKT0_S8_PS3_S9_,comdat
	.globl	_ZN2at6native12_GLOBAL__N_135GammaBetaBackwardCUDAKernelTemplateIffLj32ELj1ELj32ELb1ELb1ELb1EEEvllPKT_S5_PKT0_S8_PS3_S9_ ; -- Begin function _ZN2at6native12_GLOBAL__N_135GammaBetaBackwardCUDAKernelTemplateIffLj32ELj1ELj32ELb1ELb1ELb1EEEvllPKT_S5_PKT0_S8_PS3_S9_
	.p2align	8
	.type	_ZN2at6native12_GLOBAL__N_135GammaBetaBackwardCUDAKernelTemplateIffLj32ELj1ELj32ELb1ELb1ELb1EEEvllPKT_S5_PKT0_S8_PS3_S9_,@function
_ZN2at6native12_GLOBAL__N_135GammaBetaBackwardCUDAKernelTemplateIffLj32ELj1ELj32ELb1ELb1ELb1EEEvllPKT_S5_PKT0_S8_PS3_S9_: ; @_ZN2at6native12_GLOBAL__N_135GammaBetaBackwardCUDAKernelTemplateIffLj32ELj1ELj32ELb1ELb1ELb1EEEvllPKT_S5_PKT0_S8_PS3_S9_
; %bb.0:
	s_load_dwordx4 s[8:11], s[4:5], 0x0
	s_load_dwordx2 s[16:17], s[4:5], 0x30
	s_lshl_b32 s18, s7, 5
	s_mov_b32 s19, 0
	s_mov_b32 s2, s7
	s_waitcnt lgkmcnt(0)
	v_pk_mov_b32 v[2:3], s[8:9], s[8:9] op_sel:[0,1]
	v_cmp_ge_i64_e32 vcc, s[18:19], v[2:3]
	v_mov_b32_e32 v9, 0
	v_bfe_u32 v2, v0, 10, 10
	s_cbranch_vccnz .LBB152_7
; %bb.1:
	s_load_dword s0, s[4:5], 0x4c
	s_load_dword s3, s[4:5], 0x44
	s_load_dwordx4 s[12:15], s[4:5], 0x10
	s_load_dwordx2 s[22:23], s[4:5], 0x28
	v_and_b32_e32 v1, 0x3ff, v0
	s_waitcnt lgkmcnt(0)
	s_and_b32 s0, s0, 0xffff
	v_mad_u32_u24 v3, v2, s0, v1
	v_lshl_or_b32 v8, s6, 5, v1
	v_mbcnt_lo_u32_b32 v1, -1, 0
	v_mbcnt_hi_u32_b32 v1, -1, v1
	v_lshlrev_b32_e32 v5, 5, v2
	v_lshlrev_b32_e32 v1, 2, v1
	v_and_b32_e32 v4, 63, v3
	v_and_b32_e32 v3, 0x100, v1
	v_mov_b32_e32 v1, s19
	v_add_co_u32_e32 v10, vcc, s18, v5
	v_addc_co_u32_e32 v1, vcc, 0, v1, vcc
	v_cmp_gt_u32_e64 s[0:1], 32, v4
	v_add_co_u32_e32 v4, vcc, v10, v4
	v_addc_co_u32_e32 v5, vcc, 0, v1, vcc
	v_lshlrev_b64 v[6:7], 2, v[4:5]
	v_mov_b32_e32 v11, s23
	v_add_co_u32_e32 v6, vcc, s22, v6
	v_addc_co_u32_e32 v7, vcc, v11, v7, vcc
	v_mul_lo_u32 v12, s11, v10
	v_mul_lo_u32 v1, s10, v1
	v_mad_u64_u32 v[10:11], s[24:25], s10, v10, 0
	v_mov_b32_e32 v9, 0
	s_lshl_b32 s20, s3, 5
	v_add3_u32 v11, v11, v1, v12
	v_lshlrev_b64 v[10:11], 2, v[10:11]
	v_lshlrev_b64 v[12:13], 2, v[8:9]
	s_mul_i32 s3, s11, s20
	s_mul_hi_u32 s7, s10, s20
	s_mov_b32 s21, s19
	v_add_co_u32_e32 v8, vcc, v10, v12
	s_add_i32 s25, s7, s3
	s_mul_i32 s24, s10, s20
	v_or_b32_e32 v34, 4, v3
	v_or_b32_e32 v35, 8, v3
	;; [unrolled: 1-line block ×31, first 2 shown]
	s_lshl_b64 s[22:23], s[20:21], 2
	v_addc_co_u32_e32 v1, vcc, v11, v13, vcc
	s_lshl_b64 s[24:25], s[24:25], 2
	s_lshl_b64 s[26:27], s[10:11], 2
	s_branch .LBB152_4
.LBB152_2:                              ;   in Loop: Header=BB152_4 Depth=1
	s_or_b64 exec, exec, s[30:31]
.LBB152_3:                              ;   in Loop: Header=BB152_4 Depth=1
	s_or_b64 exec, exec, s[28:29]
	v_mov_b32_e32 v11, s13
	v_add_co_u32_e32 v10, vcc, s12, v8
	v_addc_co_u32_e32 v11, vcc, v11, v1, vcc
	v_mov_b32_e32 v13, s15
	v_add_co_u32_e32 v12, vcc, s14, v8
	v_addc_co_u32_e32 v13, vcc, v13, v1, vcc
	global_load_dword v66, v[10:11], off
	v_mov_b32_e32 v33, s27
	v_add_co_u32_e32 v10, vcc, s26, v10
	v_addc_co_u32_e32 v11, vcc, v11, v33, vcc
	global_load_dword v67, v[12:13], off
	v_add_co_u32_e32 v12, vcc, s26, v12
	v_addc_co_u32_e32 v13, vcc, v13, v33, vcc
	global_load_dword v68, v[10:11], off
	;; [unrolled: 3-line block ×37, first 2 shown]
	v_add_co_u32_e32 v12, vcc, s26, v12
	v_addc_co_u32_e32 v13, vcc, v13, v33, vcc
	v_add_co_u32_e32 v14, vcc, s26, v10
	v_addc_co_u32_e32 v15, vcc, v11, v33, vcc
	;; [unrolled: 2-line block ×3, first 2 shown]
	global_load_dword v104, v[10:11], off
	global_load_dword v105, v[12:13], off
	s_waitcnt vmcnt(38)
	v_mul_f32_e32 v66, v66, v67
	global_load_dword v10, v[14:15], off
	v_add_co_u32_e32 v14, vcc, s26, v14
	v_addc_co_u32_e32 v15, vcc, v15, v33, vcc
	global_load_dword v12, v[16:17], off
	v_add_co_u32_e32 v16, vcc, s26, v16
	v_addc_co_u32_e32 v17, vcc, v17, v33, vcc
	v_add_co_u32_e32 v18, vcc, s26, v14
	v_addc_co_u32_e32 v19, vcc, v15, v33, vcc
	;; [unrolled: 2-line block ×3, first 2 shown]
	global_load_dword v11, v[14:15], off
	global_load_dword v13, v[16:17], off
	s_waitcnt vmcnt(40)
	v_mul_f32_e32 v67, v68, v69
	global_load_dword v14, v[18:19], off
	v_add_co_u32_e32 v18, vcc, s26, v18
	v_addc_co_u32_e32 v19, vcc, v19, v33, vcc
	global_load_dword v16, v[20:21], off
	v_add_co_u32_e32 v20, vcc, s26, v20
	v_addc_co_u32_e32 v21, vcc, v21, v33, vcc
	v_add_co_u32_e32 v24, vcc, s26, v18
	v_addc_co_u32_e32 v25, vcc, v19, v33, vcc
	global_load_dword v17, v[20:21], off
	v_add_co_u32_e32 v20, vcc, s26, v20
	v_addc_co_u32_e32 v21, vcc, v21, v33, vcc
	global_load_dword v15, v[18:19], off
	global_load_dword v22, v[20:21], off
	s_waitcnt vmcnt(43)
	v_mul_f32_e32 v68, v70, v71
	global_load_dword v18, v[24:25], off
	v_add_co_u32_e32 v24, vcc, s26, v24
	v_addc_co_u32_e32 v25, vcc, v25, v33, vcc
	v_add_co_u32_e32 v26, vcc, s26, v20
	v_addc_co_u32_e32 v27, vcc, v21, v33, vcc
	;; [unrolled: 2-line block ×3, first 2 shown]
	global_load_dword v23, v[26:27], off
	v_add_co_u32_e32 v26, vcc, s26, v26
	v_addc_co_u32_e32 v27, vcc, v27, v33, vcc
	global_load_dword v20, v[28:29], off
	v_add_co_u32_e32 v28, vcc, s26, v28
	v_addc_co_u32_e32 v29, vcc, v29, v33, vcc
	v_add_co_u32_e32 v30, vcc, s26, v26
	v_addc_co_u32_e32 v31, vcc, v27, v33, vcc
	global_load_dword v21, v[28:29], off
	v_add_co_u32_e32 v28, vcc, s26, v28
	v_addc_co_u32_e32 v29, vcc, v29, v33, vcc
	v_add_co_u32_e32 v106, vcc, s26, v30
	v_addc_co_u32_e32 v107, vcc, v31, v33, vcc
	global_load_dword v19, v[24:25], off
	s_waitcnt vmcnt(14)
	v_mul_f32_e32 v69, v104, v105
	global_load_dword v24, v[26:27], off
	global_load_dword v25, v[30:31], off
	s_add_u32 s18, s18, s20
	global_load_dword v26, v[28:29], off
	v_add_co_u32_e32 v28, vcc, s26, v28
	v_addc_co_u32_e32 v29, vcc, v29, v33, vcc
	global_load_dword v30, v[106:107], off
	v_add_co_u32_e32 v106, vcc, s26, v106
	v_addc_co_u32_e32 v107, vcc, v107, v33, vcc
	v_add_co_u32_e32 v108, vcc, s26, v28
	v_addc_co_u32_e32 v109, vcc, v29, v33, vcc
	global_load_dword v31, v[106:107], off
	v_add_co_u32_e32 v106, vcc, s26, v106
	v_addc_co_u32_e32 v107, vcc, v107, v33, vcc
	global_load_dword v27, v[28:29], off
	global_load_dword v32, v[106:107], off
	s_waitcnt vmcnt(17)
	v_pk_mul_f32 v[10:11], v[10:11], v[12:13]
	global_load_dword v28, v[108:109], off
	v_add_co_u32_e32 v108, vcc, s26, v108
	v_addc_co_u32_e32 v109, vcc, v109, v33, vcc
	v_add_co_u32_e32 v106, vcc, s26, v106
	v_addc_co_u32_e32 v107, vcc, v107, v33, vcc
	global_load_dword v29, v[108:109], off
	global_load_dword v33, v[106:107], off
	ds_bpermute_b32 v108, v3, v65
	ds_bpermute_b32 v106, v34, v65
	;; [unrolled: 1-line block ×4, first 2 shown]
	v_add_co_u32_e32 v6, vcc, s22, v6
	s_waitcnt lgkmcnt(3)
	v_fmac_f32_e32 v9, v66, v108
	ds_bpermute_b32 v66, v35, v65
	s_waitcnt lgkmcnt(3)
	v_fmac_f32_e32 v9, v67, v106
	ds_bpermute_b32 v67, v36, v65
	s_addc_u32 s19, s19, 0
	s_waitcnt lgkmcnt(1)
	v_fmac_f32_e32 v9, v68, v66
	ds_bpermute_b32 v66, v37, v65
	v_mul_f32_e32 v68, v72, v73
	s_waitcnt lgkmcnt(1)
	v_fmac_f32_e32 v9, v68, v67
	ds_bpermute_b32 v67, v38, v65
	v_mul_f32_e32 v68, v74, v75
	;; [unrolled: 4-line block ×15, first 2 shown]
	s_waitcnt lgkmcnt(1)
	v_fmac_f32_e32 v9, v68, v67
	v_mul_f32_e32 v67, v102, v103
	ds_bpermute_b32 v68, v52, v65
	s_waitcnt lgkmcnt(1)
	v_fmac_f32_e32 v9, v67, v66
	ds_bpermute_b32 v66, v53, v65
	ds_bpermute_b32 v67, v54, v65
	s_waitcnt lgkmcnt(2)
	v_fmac_f32_e32 v9, v69, v68
	s_waitcnt lgkmcnt(0)
	v_pk_mul_f32 v[10:11], v[10:11], v[66:67]
	v_add_f32_e32 v9, v9, v10
	v_add_f32_e32 v9, v9, v11
	s_waitcnt vmcnt(16)
	v_pk_mul_f32 v[10:11], v[14:15], v[16:17]
	v_pk_mul_f32 v[10:11], v[10:11], v[12:13]
	ds_bpermute_b32 v12, v57, v65
	ds_bpermute_b32 v13, v58, v65
	v_add_f32_e32 v9, v9, v10
	ds_bpermute_b32 v14, v59, v65
	ds_bpermute_b32 v15, v60, v65
	v_add_f32_e32 v9, v9, v11
	s_waitcnt vmcnt(10)
	v_pk_mul_f32 v[10:11], v[18:19], v[22:23]
	s_waitcnt lgkmcnt(2)
	v_pk_mul_f32 v[10:11], v[10:11], v[12:13]
	v_add_f32_e32 v9, v9, v10
	ds_bpermute_b32 v12, v61, v65
	ds_bpermute_b32 v13, v62, v65
	v_add_f32_e32 v9, v9, v11
	s_waitcnt vmcnt(8)
	v_pk_mul_f32 v[10:11], v[20:21], v[24:25]
	s_waitcnt lgkmcnt(2)
	v_pk_mul_f32 v[10:11], v[10:11], v[14:15]
	;; [unrolled: 8-line block ×3, first 2 shown]
	v_add_f32_e32 v9, v9, v10
	v_add_f32_e32 v9, v9, v11
	s_waitcnt vmcnt(0)
	v_pk_mul_f32 v[10:11], v[28:29], v[32:33]
	s_waitcnt lgkmcnt(0)
	v_pk_mul_f32 v[10:11], v[10:11], v[14:15]
	v_add_f32_e32 v9, v9, v10
	v_mov_b32_e32 v10, s23
	v_addc_co_u32_e32 v7, vcc, v7, v10, vcc
	v_mov_b32_e32 v10, s21
	v_add_co_u32_e32 v4, vcc, s20, v4
	v_addc_co_u32_e32 v5, vcc, v5, v10, vcc
	v_mov_b32_e32 v10, s25
	v_add_co_u32_e32 v8, vcc, s24, v8
	v_add_f32_e32 v9, v9, v11
	v_addc_co_u32_e32 v1, vcc, v1, v10, vcc
	v_pk_mov_b32 v[10:11], s[8:9], s[8:9] op_sel:[0,1]
	v_cmp_lt_i64_e32 vcc, s[18:19], v[10:11]
	s_cbranch_vccz .LBB152_7
.LBB152_4:                              ; =>This Inner Loop Header: Depth=1
	v_mov_b32_e32 v65, 0
	s_and_saveexec_b64 s[28:29], s[0:1]
	s_cbranch_execz .LBB152_3
; %bb.5:                                ;   in Loop: Header=BB152_4 Depth=1
	v_cmp_gt_i64_e32 vcc, s[8:9], v[4:5]
	v_mov_b32_e32 v65, 0
	s_and_saveexec_b64 s[30:31], vcc
	s_cbranch_execz .LBB152_2
; %bb.6:                                ;   in Loop: Header=BB152_4 Depth=1
	global_load_dword v65, v[6:7], off
	s_branch .LBB152_2
.LBB152_7:
	s_cmp_eq_u64 s[16:17], 0
	s_cbranch_scc1 .LBB152_9
; %bb.8:
	s_load_dword s0, s[4:5], 0x4c
	v_mov_b32_e32 v3, 0
	v_mov_b32_e32 v1, s2
	s_mov_b32 s7, 0
	v_and_b32_e32 v0, 0x3ff, v0
	s_waitcnt lgkmcnt(0)
	s_lshr_b32 s0, s0, 16
	v_mad_u64_u32 v[2:3], s[0:1], s0, v1, v[2:3]
	v_mul_lo_u32 v1, v3, s10
	v_mul_lo_u32 v4, v2, s11
	v_mad_u64_u32 v[2:3], s[0:1], v2, s10, 0
	s_lshl_b64 s[0:1], s[6:7], 7
	v_add3_u32 v3, v3, v4, v1
	s_add_u32 s0, s0, s16
	v_lshlrev_b64 v[2:3], 2, v[2:3]
	s_addc_u32 s1, s1, s17
	v_mov_b32_e32 v1, s1
	v_add_co_u32_e32 v2, vcc, s0, v2
	v_addc_co_u32_e32 v1, vcc, v1, v3, vcc
	v_lshlrev_b32_e32 v0, 2, v0
	v_add_co_u32_e32 v0, vcc, v2, v0
	v_addc_co_u32_e32 v1, vcc, 0, v1, vcc
	global_store_dword v[0:1], v9, off
.LBB152_9:
	s_endpgm
	.section	.rodata,"a",@progbits
	.p2align	6, 0x0
	.amdhsa_kernel _ZN2at6native12_GLOBAL__N_135GammaBetaBackwardCUDAKernelTemplateIffLj32ELj1ELj32ELb1ELb1ELb1EEEvllPKT_S5_PKT0_S8_PS3_S9_
		.amdhsa_group_segment_fixed_size 0
		.amdhsa_private_segment_fixed_size 0
		.amdhsa_kernarg_size 320
		.amdhsa_user_sgpr_count 6
		.amdhsa_user_sgpr_private_segment_buffer 1
		.amdhsa_user_sgpr_dispatch_ptr 0
		.amdhsa_user_sgpr_queue_ptr 0
		.amdhsa_user_sgpr_kernarg_segment_ptr 1
		.amdhsa_user_sgpr_dispatch_id 0
		.amdhsa_user_sgpr_flat_scratch_init 0
		.amdhsa_user_sgpr_kernarg_preload_length 0
		.amdhsa_user_sgpr_kernarg_preload_offset 0
		.amdhsa_user_sgpr_private_segment_size 0
		.amdhsa_uses_dynamic_stack 0
		.amdhsa_system_sgpr_private_segment_wavefront_offset 0
		.amdhsa_system_sgpr_workgroup_id_x 1
		.amdhsa_system_sgpr_workgroup_id_y 1
		.amdhsa_system_sgpr_workgroup_id_z 0
		.amdhsa_system_sgpr_workgroup_info 0
		.amdhsa_system_vgpr_workitem_id 1
		.amdhsa_next_free_vgpr 110
		.amdhsa_next_free_sgpr 32
		.amdhsa_accum_offset 112
		.amdhsa_reserve_vcc 1
		.amdhsa_reserve_flat_scratch 0
		.amdhsa_float_round_mode_32 0
		.amdhsa_float_round_mode_16_64 0
		.amdhsa_float_denorm_mode_32 3
		.amdhsa_float_denorm_mode_16_64 3
		.amdhsa_dx10_clamp 1
		.amdhsa_ieee_mode 1
		.amdhsa_fp16_overflow 0
		.amdhsa_tg_split 0
		.amdhsa_exception_fp_ieee_invalid_op 0
		.amdhsa_exception_fp_denorm_src 0
		.amdhsa_exception_fp_ieee_div_zero 0
		.amdhsa_exception_fp_ieee_overflow 0
		.amdhsa_exception_fp_ieee_underflow 0
		.amdhsa_exception_fp_ieee_inexact 0
		.amdhsa_exception_int_div_zero 0
	.end_amdhsa_kernel
	.section	.text._ZN2at6native12_GLOBAL__N_135GammaBetaBackwardCUDAKernelTemplateIffLj32ELj1ELj32ELb1ELb1ELb1EEEvllPKT_S5_PKT0_S8_PS3_S9_,"axG",@progbits,_ZN2at6native12_GLOBAL__N_135GammaBetaBackwardCUDAKernelTemplateIffLj32ELj1ELj32ELb1ELb1ELb1EEEvllPKT_S5_PKT0_S8_PS3_S9_,comdat
.Lfunc_end152:
	.size	_ZN2at6native12_GLOBAL__N_135GammaBetaBackwardCUDAKernelTemplateIffLj32ELj1ELj32ELb1ELb1ELb1EEEvllPKT_S5_PKT0_S8_PS3_S9_, .Lfunc_end152-_ZN2at6native12_GLOBAL__N_135GammaBetaBackwardCUDAKernelTemplateIffLj32ELj1ELj32ELb1ELb1ELb1EEEvllPKT_S5_PKT0_S8_PS3_S9_
                                        ; -- End function
	.section	.AMDGPU.csdata,"",@progbits
; Kernel info:
; codeLenInByte = 2480
; NumSgprs: 36
; NumVgprs: 110
; NumAgprs: 0
; TotalNumVgprs: 110
; ScratchSize: 0
; MemoryBound: 0
; FloatMode: 240
; IeeeMode: 1
; LDSByteSize: 0 bytes/workgroup (compile time only)
; SGPRBlocks: 4
; VGPRBlocks: 13
; NumSGPRsForWavesPerEU: 36
; NumVGPRsForWavesPerEU: 110
; AccumOffset: 112
; Occupancy: 4
; WaveLimiterHint : 0
; COMPUTE_PGM_RSRC2:SCRATCH_EN: 0
; COMPUTE_PGM_RSRC2:USER_SGPR: 6
; COMPUTE_PGM_RSRC2:TRAP_HANDLER: 0
; COMPUTE_PGM_RSRC2:TGID_X_EN: 1
; COMPUTE_PGM_RSRC2:TGID_Y_EN: 1
; COMPUTE_PGM_RSRC2:TGID_Z_EN: 0
; COMPUTE_PGM_RSRC2:TIDIG_COMP_CNT: 1
; COMPUTE_PGM_RSRC3_GFX90A:ACCUM_OFFSET: 27
; COMPUTE_PGM_RSRC3_GFX90A:TG_SPLIT: 0
	.section	.text._ZN2at6native12_GLOBAL__N_135GammaBetaBackwardCUDAKernelTemplateIffLj32ELj1ELj32ELb1ELb0ELb1EEEvllPKT_S5_PKT0_S8_PS3_S9_,"axG",@progbits,_ZN2at6native12_GLOBAL__N_135GammaBetaBackwardCUDAKernelTemplateIffLj32ELj1ELj32ELb1ELb0ELb1EEEvllPKT_S5_PKT0_S8_PS3_S9_,comdat
	.globl	_ZN2at6native12_GLOBAL__N_135GammaBetaBackwardCUDAKernelTemplateIffLj32ELj1ELj32ELb1ELb0ELb1EEEvllPKT_S5_PKT0_S8_PS3_S9_ ; -- Begin function _ZN2at6native12_GLOBAL__N_135GammaBetaBackwardCUDAKernelTemplateIffLj32ELj1ELj32ELb1ELb0ELb1EEEvllPKT_S5_PKT0_S8_PS3_S9_
	.p2align	8
	.type	_ZN2at6native12_GLOBAL__N_135GammaBetaBackwardCUDAKernelTemplateIffLj32ELj1ELj32ELb1ELb0ELb1EEEvllPKT_S5_PKT0_S8_PS3_S9_,@function
_ZN2at6native12_GLOBAL__N_135GammaBetaBackwardCUDAKernelTemplateIffLj32ELj1ELj32ELb1ELb0ELb1EEEvllPKT_S5_PKT0_S8_PS3_S9_: ; @_ZN2at6native12_GLOBAL__N_135GammaBetaBackwardCUDAKernelTemplateIffLj32ELj1ELj32ELb1ELb0ELb1EEEvllPKT_S5_PKT0_S8_PS3_S9_
; %bb.0:
	s_load_dwordx8 s[12:19], s[4:5], 0x0
	s_load_dwordx2 s[20:21], s[4:5], 0x28
	s_mov_b32 s8, s7
	s_lshl_b32 s7, s6, 5
	v_mov_b32_e32 v253, v0
	s_or_b32 s22, s7, 31
	s_mov_b32 s23, 0
	s_waitcnt lgkmcnt(0)
	v_pk_mov_b32 v[0:1], s[14:15], s[14:15] op_sel:[0,1]
	v_cmp_ge_i64_e32 vcc, s[22:23], v[0:1]
	s_lshl_b32 s22, s8, 5
	v_pk_mov_b32 v[0:1], s[12:13], s[12:13] op_sel:[0,1]
	v_cmp_lt_i64_e64 s[0:1], s[22:23], v[0:1]
	v_cndmask_b32_e64 v0, 0, 1, s[0:1]
	v_cmp_ne_u32_e64 s[0:1], 1, v0
	s_cbranch_vccz .LBB153_145
; %bb.1:
	s_and_b64 vcc, exec, s[0:1]
	v_mov_b32_e32 v139, 0
	s_cbranch_vccnz .LBB153_146
; %bb.2:
	v_bfe_u32 v0, v253, 10, 10
	v_lshlrev_b32_e32 v2, 5, v0
	v_mov_b32_e32 v1, s23
	v_add_co_u32_e32 v121, vcc, s22, v2
	v_addc_co_u32_e32 v123, vcc, 0, v1, vcc
	v_add_co_u32_e32 v1, vcc, 31, v121
	v_addc_co_u32_e32 v3, vcc, 0, v123, vcc
	v_mul_lo_u32 v6, s15, v1
	v_mul_lo_u32 v3, s14, v3
	v_mad_u64_u32 v[4:5], s[2:3], s14, v1, 0
	v_add3_u32 v5, v5, v3, v6
	v_lshlrev_b64 v[6:7], 2, v[4:5]
	v_mov_b32_e32 v125, s17
	v_add_co_u32_e32 v4, vcc, s16, v6
	v_addc_co_u32_e32 v1, vcc, v125, v7, vcc
	v_mov_b32_e32 v127, s19
	v_add_co_u32_e32 v6, vcc, s18, v6
	v_addc_co_u32_e32 v3, vcc, v127, v7, vcc
	v_add_co_u32_e32 v5, vcc, 30, v121
	v_addc_co_u32_e32 v7, vcc, 0, v123, vcc
	v_mul_lo_u32 v10, s15, v5
	v_mul_lo_u32 v7, s14, v7
	v_mad_u64_u32 v[8:9], s[2:3], s14, v5, 0
	v_add3_u32 v9, v9, v7, v10
	v_lshlrev_b64 v[10:11], 2, v[8:9]
	v_add_co_u32_e32 v8, vcc, s16, v10
	v_addc_co_u32_e32 v5, vcc, v125, v11, vcc
	v_add_co_u32_e32 v10, vcc, s18, v10
	v_addc_co_u32_e32 v7, vcc, v127, v11, vcc
	v_add_co_u32_e32 v9, vcc, 29, v121
	v_addc_co_u32_e32 v11, vcc, 0, v123, vcc
	v_mul_lo_u32 v14, s15, v9
	v_mul_lo_u32 v11, s14, v11
	v_mad_u64_u32 v[12:13], s[2:3], s14, v9, 0
	v_add3_u32 v13, v13, v11, v14
	v_lshlrev_b64 v[14:15], 2, v[12:13]
	v_add_co_u32_e32 v12, vcc, s16, v14
	v_addc_co_u32_e32 v9, vcc, v125, v15, vcc
	;; [unrolled: 11-line block ×29, first 2 shown]
	v_add_co_u32_e32 v122, vcc, s18, v128
	v_addc_co_u32_e32 v119, vcc, v127, v129, vcc
	v_pk_mov_b32 v[128:129], s[14:15], s[14:15] op_sel:[0,1]
	v_mad_u64_u32 v[128:129], s[2:3], s14, v121, v[128:129]
	v_mul_lo_u32 v123, s14, v123
	v_mul_lo_u32 v124, s15, v121
	v_add3_u32 v129, v124, v129, v123
	v_lshlrev_b64 v[128:129], 2, v[128:129]
	v_mad_u64_u32 v[130:131], s[2:3], s14, v121, 0
	v_add3_u32 v131, v131, v123, v124
	v_add_co_u32_e32 v124, vcc, s16, v128
	v_addc_co_u32_e32 v121, vcc, v125, v129, vcc
	s_load_dword s10, s[4:5], 0x44
	v_add_co_u32_e32 v126, vcc, s18, v128
	v_addc_co_u32_e32 v123, vcc, v127, v129, vcc
	v_lshlrev_b64 v[130:131], 2, v[130:131]
	v_add_co_u32_e32 v128, vcc, s16, v130
	v_addc_co_u32_e32 v125, vcc, v125, v131, vcc
	s_add_u32 s24, s4, 64
	v_add_co_u32_e32 v130, vcc, s18, v130
	s_addc_u32 s25, s5, 0
	s_waitcnt lgkmcnt(0)
	s_lshl_b32 s33, s10, 5
	v_mbcnt_lo_u32_b32 v129, -1, 0
	v_addc_co_u32_e32 v127, vcc, v127, v131, vcc
	v_and_b32_e32 v131, 0x3ff, v253
	s_mul_i32 s10, s15, s33
	s_mul_hi_u32 s11, s14, s33
	v_mbcnt_hi_u32_b32 v129, -1, v129
	v_add_u32_e32 v132, s7, v131
	v_mov_b32_e32 v133, 0
	s_add_i32 s11, s11, s10
	s_mul_i32 s10, s14, s33
	v_lshlrev_b32_e32 v129, 2, v129
	s_mov_b32 s9, 0
	v_cmp_gt_i64_e64 s[2:3], s[14:15], v[132:133]
	s_mov_b64 s[26:27], 31
	s_lshl_b64 s[28:29], s[10:11], 2
	v_and_b32_e32 v162, 0x100, v129
	s_mov_b64 s[30:31], s[22:23]
	v_mov_b32_e32 v163, 0
	v_mov_b32_e32 v129, v133
	v_lshlrev_b64 v[134:135], 2, v[132:133]
.LBB153_3:                              ; =>This Inner Loop Header: Depth=1
	s_add_u32 s10, s22, s26
	s_addc_u32 s11, 0, s27
	v_pk_mov_b32 v[136:137], s[12:13], s[12:13] op_sel:[0,1]
	v_cmp_ge_i64_e32 vcc, s[10:11], v[136:137]
	v_mov_b32_e32 v132, s23
	v_add_co_u32_e64 v136, s[10:11], s22, v2
	v_addc_co_u32_e64 v137, s[10:11], v132, v129, s[10:11]
	s_cbranch_vccz .LBB153_73
; %bb.4:                                ;   in Loop: Header=BB153_3 Depth=1
	s_load_dword s10, s[24:25], 0xc
	v_mov_b32_e32 v164, 0
	s_waitcnt lgkmcnt(0)
	s_and_b32 s10, s10, 0xffff
	v_mad_u32_u24 v132, v0, s10, v131
	v_and_b32_e32 v138, 63, v132
	v_cmp_gt_u32_e32 vcc, 32, v138
	v_mov_b32_e32 v132, 0
	s_and_saveexec_b64 s[10:11], vcc
	s_cbranch_execz .LBB153_8
; %bb.5:                                ;   in Loop: Header=BB153_3 Depth=1
	v_add_co_u32_e32 v138, vcc, v136, v138
	v_addc_co_u32_e32 v139, vcc, 0, v137, vcc
	v_cmp_gt_i64_e32 vcc, s[12:13], v[138:139]
	v_mov_b32_e32 v132, 0
	s_and_saveexec_b64 s[34:35], vcc
	s_cbranch_execz .LBB153_7
; %bb.6:                                ;   in Loop: Header=BB153_3 Depth=1
	v_lshlrev_b64 v[138:139], 2, v[138:139]
	v_mov_b32_e32 v132, s21
	v_add_co_u32_e32 v138, vcc, s20, v138
	v_addc_co_u32_e32 v139, vcc, v132, v139, vcc
	global_load_dword v132, v[138:139], off
.LBB153_7:                              ;   in Loop: Header=BB153_3 Depth=1
	s_or_b64 exec, exec, s[34:35]
.LBB153_8:                              ;   in Loop: Header=BB153_3 Depth=1
	s_or_b64 exec, exec, s[10:11]
	v_cmp_gt_i64_e32 vcc, s[12:13], v[136:137]
	s_and_b64 s[34:35], s[2:3], vcc
	v_mov_b32_e32 v165, 0
	s_and_saveexec_b64 s[10:11], s[34:35]
	s_cbranch_execz .LBB153_10
; %bb.9:                                ;   in Loop: Header=BB153_3 Depth=1
	v_add_co_u32_e32 v138, vcc, v128, v134
	v_addc_co_u32_e32 v139, vcc, v125, v135, vcc
	global_load_dword v164, v[138:139], off
	v_add_co_u32_e32 v138, vcc, v130, v134
	v_addc_co_u32_e32 v139, vcc, v127, v135, vcc
	global_load_dword v165, v[138:139], off
.LBB153_10:                             ;   in Loop: Header=BB153_3 Depth=1
	s_or_b64 exec, exec, s[10:11]
	v_add_co_u32_e32 v138, vcc, 1, v136
	v_addc_co_u32_e32 v139, vcc, 0, v137, vcc
	v_cmp_gt_i64_e32 vcc, s[12:13], v[138:139]
	s_and_b64 s[34:35], s[2:3], vcc
	v_mov_b32_e32 v166, 0
	v_mov_b32_e32 v167, 0
	v_mov_b32_e32 v168, 0
	s_and_saveexec_b64 s[10:11], s[34:35]
	s_cbranch_execz .LBB153_12
; %bb.11:                               ;   in Loop: Header=BB153_3 Depth=1
	v_add_co_u32_e32 v138, vcc, v124, v134
	v_addc_co_u32_e32 v139, vcc, v121, v135, vcc
	global_load_dword v167, v[138:139], off
	v_add_co_u32_e32 v138, vcc, v126, v134
	v_addc_co_u32_e32 v139, vcc, v123, v135, vcc
	global_load_dword v168, v[138:139], off
.LBB153_12:                             ;   in Loop: Header=BB153_3 Depth=1
	s_or_b64 exec, exec, s[10:11]
	v_add_co_u32_e32 v138, vcc, 2, v136
	v_addc_co_u32_e32 v139, vcc, 0, v137, vcc
	v_cmp_gt_i64_e32 vcc, s[12:13], v[138:139]
	s_and_b64 s[34:35], s[2:3], vcc
	v_mov_b32_e32 v169, 0
	s_and_saveexec_b64 s[10:11], s[34:35]
	s_cbranch_execz .LBB153_14
; %bb.13:                               ;   in Loop: Header=BB153_3 Depth=1
	v_add_co_u32_e32 v138, vcc, v120, v134
	v_addc_co_u32_e32 v139, vcc, v117, v135, vcc
	global_load_dword v166, v[138:139], off
	v_add_co_u32_e32 v138, vcc, v122, v134
	v_addc_co_u32_e32 v139, vcc, v119, v135, vcc
	global_load_dword v169, v[138:139], off
.LBB153_14:                             ;   in Loop: Header=BB153_3 Depth=1
	s_or_b64 exec, exec, s[10:11]
	v_add_co_u32_e32 v138, vcc, 3, v136
	v_addc_co_u32_e32 v139, vcc, 0, v137, vcc
	v_cmp_gt_i64_e32 vcc, s[12:13], v[138:139]
	s_and_b64 s[34:35], s[2:3], vcc
	v_mov_b32_e32 v170, 0
	v_mov_b32_e32 v171, 0
	v_mov_b32_e32 v172, 0
	s_and_saveexec_b64 s[10:11], s[34:35]
	s_cbranch_execz .LBB153_16
; %bb.15:                               ;   in Loop: Header=BB153_3 Depth=1
	v_add_co_u32_e32 v138, vcc, v116, v134
	v_addc_co_u32_e32 v139, vcc, v113, v135, vcc
	global_load_dword v171, v[138:139], off
	v_add_co_u32_e32 v138, vcc, v118, v134
	v_addc_co_u32_e32 v139, vcc, v115, v135, vcc
	global_load_dword v172, v[138:139], off
.LBB153_16:                             ;   in Loop: Header=BB153_3 Depth=1
	s_or_b64 exec, exec, s[10:11]
	v_add_co_u32_e32 v138, vcc, 4, v136
	v_addc_co_u32_e32 v139, vcc, 0, v137, vcc
	v_cmp_gt_i64_e32 vcc, s[12:13], v[138:139]
	s_and_b64 s[34:35], s[2:3], vcc
	v_mov_b32_e32 v173, 0
	s_and_saveexec_b64 s[10:11], s[34:35]
	s_cbranch_execz .LBB153_18
; %bb.17:                               ;   in Loop: Header=BB153_3 Depth=1
	v_add_co_u32_e32 v138, vcc, v112, v134
	v_addc_co_u32_e32 v139, vcc, v109, v135, vcc
	global_load_dword v170, v[138:139], off
	v_add_co_u32_e32 v138, vcc, v114, v134
	v_addc_co_u32_e32 v139, vcc, v111, v135, vcc
	global_load_dword v173, v[138:139], off
.LBB153_18:                             ;   in Loop: Header=BB153_3 Depth=1
	;; [unrolled: 34-line block ×15, first 2 shown]
	s_or_b64 exec, exec, s[10:11]
	v_add_co_u32_e32 v202, vcc, 31, v136
	v_addc_co_u32_e32 v203, vcc, 0, v137, vcc
	v_cmp_gt_i64_e32 vcc, s[12:13], v[202:203]
	s_and_b64 s[34:35], s[2:3], vcc
	v_mov_b32_e32 v202, 0
	s_and_saveexec_b64 s[10:11], s[34:35]
	s_cbranch_execz .LBB153_72
; %bb.71:                               ;   in Loop: Header=BB153_3 Depth=1
	v_add_co_u32_e32 v202, vcc, v4, v134
	v_addc_co_u32_e32 v203, vcc, v1, v135, vcc
	global_load_dword v204, v[202:203], off
	v_add_co_u32_e32 v202, vcc, v6, v134
	v_addc_co_u32_e32 v203, vcc, v3, v135, vcc
	global_load_dword v202, v[202:203], off
	s_waitcnt vmcnt(0)
	v_mul_f32_e32 v202, v204, v202
.LBB153_72:                             ;   in Loop: Header=BB153_3 Depth=1
	s_or_b64 exec, exec, s[10:11]
	s_waitcnt vmcnt(0)
	ds_bpermute_b32 v203, v162, v132
	ds_bpermute_b32 v204, v162, v132 offset:4
	v_mul_f32_e32 v164, v164, v165
	v_mul_f32_e32 v165, v167, v168
	ds_bpermute_b32 v167, v162, v132 offset:8
	s_waitcnt lgkmcnt(2)
	v_fma_f32 v168, v164, v203, v163
	ds_bpermute_b32 v164, v162, v132 offset:12
	s_waitcnt lgkmcnt(2)
	v_fmac_f32_e32 v168, v165, v204
	v_mul_f32_e32 v165, v166, v169
	s_waitcnt lgkmcnt(1)
	v_fmac_f32_e32 v168, v165, v167
	ds_bpermute_b32 v165, v162, v132 offset:16
	v_mul_f32_e32 v166, v171, v172
	s_waitcnt lgkmcnt(1)
	v_fmac_f32_e32 v168, v166, v164
	ds_bpermute_b32 v164, v162, v132 offset:20
	;; [unrolled: 4-line block ×10, first 2 shown]
	v_mul_f32_e32 v166, v186, v189
	s_waitcnt lgkmcnt(1)
	v_fmac_f32_e32 v168, v166, v165
	v_mul_f32_e32 v165, v191, v192
	ds_bpermute_b32 v166, v162, v132 offset:56
	s_waitcnt lgkmcnt(1)
	v_fmac_f32_e32 v168, v165, v164
	ds_bpermute_b32 v164, v162, v132 offset:60
	ds_bpermute_b32 v167, v162, v132 offset:64
	v_mul_f32_e32 v165, v190, v193
	s_waitcnt lgkmcnt(2)
	v_fmac_f32_e32 v168, v165, v166
	v_mul_f32_e32 v165, v195, v196
	s_waitcnt lgkmcnt(1)
	v_fmac_f32_e32 v168, v165, v164
	v_mul_f32_e32 v164, v194, v197
	ds_bpermute_b32 v166, v162, v132 offset:68
	s_waitcnt lgkmcnt(1)
	v_fmac_f32_e32 v168, v164, v167
	ds_bpermute_b32 v169, v162, v132 offset:72
	ds_bpermute_b32 v164, v162, v132 offset:76
	;; [unrolled: 1-line block ×3, first 2 shown]
	v_mul_f32_e32 v167, v199, v200
	s_waitcnt lgkmcnt(3)
	v_fmac_f32_e32 v168, v167, v166
	v_mul_f32_e32 v166, v198, v201
	v_pk_mul_f32 v[138:139], v[138:139], v[140:141]
	ds_bpermute_b32 v140, v162, v132 offset:84
	ds_bpermute_b32 v141, v162, v132 offset:88
	s_waitcnt lgkmcnt(4)
	v_fmac_f32_e32 v168, v166, v169
	s_waitcnt lgkmcnt(2)
	v_pk_mul_f32 v[138:139], v[138:139], v[164:165]
	v_add_f32_e32 v138, v168, v138
	v_add_f32_e32 v164, v138, v139
	v_pk_mul_f32 v[138:139], v[142:143], v[144:145]
	ds_bpermute_b32 v142, v162, v132 offset:92
	ds_bpermute_b32 v143, v162, v132 offset:96
	s_waitcnt lgkmcnt(2)
	v_pk_mul_f32 v[138:139], v[138:139], v[140:141]
	v_add_f32_e32 v138, v164, v138
	v_add_f32_e32 v140, v138, v139
	v_pk_mul_f32 v[138:139], v[146:147], v[148:149]
	s_waitcnt lgkmcnt(0)
	v_pk_mul_f32 v[138:139], v[138:139], v[142:143]
	v_add_f32_e32 v138, v140, v138
	ds_bpermute_b32 v140, v162, v132 offset:100
	ds_bpermute_b32 v141, v162, v132 offset:104
	;; [unrolled: 1-line block ×4, first 2 shown]
	v_add_f32_e32 v144, v138, v139
	v_pk_mul_f32 v[138:139], v[150:151], v[152:153]
	s_waitcnt lgkmcnt(2)
	v_pk_mul_f32 v[138:139], v[138:139], v[140:141]
	v_add_f32_e32 v138, v144, v138
	ds_bpermute_b32 v140, v162, v132 offset:116
	ds_bpermute_b32 v141, v162, v132 offset:120
	v_add_f32_e32 v144, v138, v139
	v_pk_mul_f32 v[138:139], v[154:155], v[156:157]
	s_waitcnt lgkmcnt(2)
	v_pk_mul_f32 v[138:139], v[138:139], v[142:143]
	v_add_f32_e32 v138, v144, v138
	ds_bpermute_b32 v132, v162, v132 offset:124
	v_add_f32_e32 v142, v138, v139
	v_pk_mul_f32 v[138:139], v[158:159], v[160:161]
	s_waitcnt lgkmcnt(1)
	v_pk_mul_f32 v[138:139], v[138:139], v[140:141]
	v_add_f32_e32 v138, v142, v138
	v_add_f32_e32 v139, v138, v139
	s_branch .LBB153_141
.LBB153_73:                             ;   in Loop: Header=BB153_3 Depth=1
                                        ; implicit-def: $vgpr139
                                        ; implicit-def: $vgpr202
                                        ; implicit-def: $vgpr132
	s_cbranch_execz .LBB153_141
; %bb.74:                               ;   in Loop: Header=BB153_3 Depth=1
	s_load_dword s10, s[24:25], 0x0
	v_mov_b32_e32 v160, 0
	s_waitcnt lgkmcnt(0)
	s_cmp_lt_u32 s6, s10
	s_cselect_b32 s10, 12, 18
	s_add_u32 s10, s24, s10
	s_addc_u32 s11, s25, 0
	global_load_ushort v132, v133, s[10:11]
	s_waitcnt vmcnt(0)
	v_mad_u32_u24 v132, v0, v132, v131
	v_and_b32_e32 v138, 63, v132
	v_cmp_gt_u32_e32 vcc, 32, v138
	v_mov_b32_e32 v132, 0
	s_and_saveexec_b64 s[10:11], vcc
	s_cbranch_execz .LBB153_78
; %bb.75:                               ;   in Loop: Header=BB153_3 Depth=1
	v_add_co_u32_e32 v136, vcc, v136, v138
	v_addc_co_u32_e32 v137, vcc, 0, v137, vcc
	v_cmp_gt_i64_e32 vcc, s[12:13], v[136:137]
	v_mov_b32_e32 v132, 0
	s_and_saveexec_b64 s[34:35], vcc
	s_cbranch_execz .LBB153_77
; %bb.76:                               ;   in Loop: Header=BB153_3 Depth=1
	v_lshlrev_b64 v[136:137], 2, v[136:137]
	v_mov_b32_e32 v132, s21
	v_add_co_u32_e32 v136, vcc, s20, v136
	v_addc_co_u32_e32 v137, vcc, v132, v137, vcc
	global_load_dword v132, v[136:137], off
.LBB153_77:                             ;   in Loop: Header=BB153_3 Depth=1
	s_or_b64 exec, exec, s[34:35]
.LBB153_78:                             ;   in Loop: Header=BB153_3 Depth=1
	s_or_b64 exec, exec, s[10:11]
	v_mov_b32_e32 v161, 0
	s_and_saveexec_b64 s[10:11], s[2:3]
	s_cbranch_execz .LBB153_80
; %bb.79:                               ;   in Loop: Header=BB153_3 Depth=1
	v_add_co_u32_e32 v136, vcc, v128, v134
	v_addc_co_u32_e32 v137, vcc, v125, v135, vcc
	global_load_dword v160, v[136:137], off
	v_add_co_u32_e32 v136, vcc, v130, v134
	v_addc_co_u32_e32 v137, vcc, v127, v135, vcc
	global_load_dword v161, v[136:137], off
.LBB153_80:                             ;   in Loop: Header=BB153_3 Depth=1
	s_or_b64 exec, exec, s[10:11]
	v_mov_b32_e32 v164, 0
	v_mov_b32_e32 v165, 0
	v_mov_b32_e32 v166, 0
	s_and_saveexec_b64 s[10:11], s[2:3]
	s_cbranch_execz .LBB153_82
; %bb.81:                               ;   in Loop: Header=BB153_3 Depth=1
	v_add_co_u32_e32 v136, vcc, v124, v134
	v_addc_co_u32_e32 v137, vcc, v121, v135, vcc
	global_load_dword v165, v[136:137], off
	v_add_co_u32_e32 v136, vcc, v126, v134
	v_addc_co_u32_e32 v137, vcc, v123, v135, vcc
	global_load_dword v166, v[136:137], off
.LBB153_82:                             ;   in Loop: Header=BB153_3 Depth=1
	s_or_b64 exec, exec, s[10:11]
	v_mov_b32_e32 v167, 0
	s_and_saveexec_b64 s[10:11], s[2:3]
	s_cbranch_execz .LBB153_84
; %bb.83:                               ;   in Loop: Header=BB153_3 Depth=1
	v_add_co_u32_e32 v136, vcc, v120, v134
	v_addc_co_u32_e32 v137, vcc, v117, v135, vcc
	global_load_dword v164, v[136:137], off
	v_add_co_u32_e32 v136, vcc, v122, v134
	v_addc_co_u32_e32 v137, vcc, v119, v135, vcc
	global_load_dword v167, v[136:137], off
.LBB153_84:                             ;   in Loop: Header=BB153_3 Depth=1
	s_or_b64 exec, exec, s[10:11]
	v_mov_b32_e32 v168, 0
	v_mov_b32_e32 v169, 0
	v_mov_b32_e32 v170, 0
	s_and_saveexec_b64 s[10:11], s[2:3]
	s_cbranch_execz .LBB153_86
; %bb.85:                               ;   in Loop: Header=BB153_3 Depth=1
	v_add_co_u32_e32 v136, vcc, v116, v134
	v_addc_co_u32_e32 v137, vcc, v113, v135, vcc
	global_load_dword v169, v[136:137], off
	v_add_co_u32_e32 v136, vcc, v118, v134
	v_addc_co_u32_e32 v137, vcc, v115, v135, vcc
	global_load_dword v170, v[136:137], off
.LBB153_86:                             ;   in Loop: Header=BB153_3 Depth=1
	;; [unrolled: 26-line block ×5, first 2 shown]
	s_or_b64 exec, exec, s[10:11]
	v_mov_b32_e32 v183, 0
	s_and_saveexec_b64 s[10:11], s[2:3]
	s_cbranch_execz .LBB153_100
; %bb.99:                               ;   in Loop: Header=BB153_3 Depth=1
	v_add_co_u32_e32 v136, vcc, v88, v134
	v_addc_co_u32_e32 v137, vcc, v85, v135, vcc
	global_load_dword v180, v[136:137], off
	v_add_co_u32_e32 v136, vcc, v90, v134
	v_addc_co_u32_e32 v137, vcc, v87, v135, vcc
	global_load_dword v183, v[136:137], off
.LBB153_100:                            ;   in Loop: Header=BB153_3 Depth=1
	s_or_b64 exec, exec, s[10:11]
	v_mov_b32_e32 v184, 0
	v_mov_b32_e32 v185, 0
	v_mov_b32_e32 v186, 0
	s_and_saveexec_b64 s[10:11], s[2:3]
	s_cbranch_execz .LBB153_102
; %bb.101:                              ;   in Loop: Header=BB153_3 Depth=1
	v_add_co_u32_e32 v136, vcc, v84, v134
	v_addc_co_u32_e32 v137, vcc, v81, v135, vcc
	global_load_dword v185, v[136:137], off
	v_add_co_u32_e32 v136, vcc, v86, v134
	v_addc_co_u32_e32 v137, vcc, v83, v135, vcc
	global_load_dword v186, v[136:137], off
.LBB153_102:                            ;   in Loop: Header=BB153_3 Depth=1
	s_or_b64 exec, exec, s[10:11]
	v_mov_b32_e32 v187, 0
	s_and_saveexec_b64 s[10:11], s[2:3]
	s_cbranch_execz .LBB153_104
; %bb.103:                              ;   in Loop: Header=BB153_3 Depth=1
	v_add_co_u32_e32 v136, vcc, v80, v134
	v_addc_co_u32_e32 v137, vcc, v77, v135, vcc
	global_load_dword v184, v[136:137], off
	v_add_co_u32_e32 v136, vcc, v82, v134
	v_addc_co_u32_e32 v137, vcc, v79, v135, vcc
	global_load_dword v187, v[136:137], off
.LBB153_104:                            ;   in Loop: Header=BB153_3 Depth=1
	s_or_b64 exec, exec, s[10:11]
	v_mov_b32_e32 v188, 0
	v_mov_b32_e32 v189, 0
	v_mov_b32_e32 v190, 0
	s_and_saveexec_b64 s[10:11], s[2:3]
	s_cbranch_execz .LBB153_106
; %bb.105:                              ;   in Loop: Header=BB153_3 Depth=1
	v_add_co_u32_e32 v136, vcc, v76, v134
	v_addc_co_u32_e32 v137, vcc, v73, v135, vcc
	global_load_dword v189, v[136:137], off
	v_add_co_u32_e32 v136, vcc, v78, v134
	v_addc_co_u32_e32 v137, vcc, v75, v135, vcc
	global_load_dword v190, v[136:137], off
.LBB153_106:                            ;   in Loop: Header=BB153_3 Depth=1
	s_or_b64 exec, exec, s[10:11]
	v_mov_b32_e32 v191, 0
	s_and_saveexec_b64 s[10:11], s[2:3]
	s_cbranch_execz .LBB153_108
; %bb.107:                              ;   in Loop: Header=BB153_3 Depth=1
	v_add_co_u32_e32 v136, vcc, v72, v134
	v_addc_co_u32_e32 v137, vcc, v69, v135, vcc
	global_load_dword v188, v[136:137], off
	v_add_co_u32_e32 v136, vcc, v74, v134
	v_addc_co_u32_e32 v137, vcc, v71, v135, vcc
	global_load_dword v191, v[136:137], off
.LBB153_108:                            ;   in Loop: Header=BB153_3 Depth=1
	;; [unrolled: 26-line block ×9, first 2 shown]
	s_or_b64 exec, exec, s[10:11]
	v_mov_b32_e32 v157, 0
	v_mov_b32_e32 v156, 0
	;; [unrolled: 1-line block ×3, first 2 shown]
	s_and_saveexec_b64 s[10:11], s[2:3]
	s_cbranch_execnz .LBB153_143
; %bb.137:                              ;   in Loop: Header=BB153_3 Depth=1
	s_or_b64 exec, exec, s[10:11]
	v_mov_b32_e32 v159, 0
	s_and_saveexec_b64 s[10:11], s[2:3]
	s_cbranch_execnz .LBB153_144
.LBB153_138:                            ;   in Loop: Header=BB153_3 Depth=1
	s_or_b64 exec, exec, s[10:11]
	v_mov_b32_e32 v202, 0
	s_and_saveexec_b64 s[10:11], s[2:3]
	s_cbranch_execz .LBB153_140
.LBB153_139:                            ;   in Loop: Header=BB153_3 Depth=1
	v_add_co_u32_e32 v200, vcc, v4, v134
	v_addc_co_u32_e32 v201, vcc, v1, v135, vcc
	global_load_dword v202, v[200:201], off
	v_add_co_u32_e32 v200, vcc, v6, v134
	v_addc_co_u32_e32 v201, vcc, v3, v135, vcc
	global_load_dword v200, v[200:201], off
	s_waitcnt vmcnt(0)
	v_mul_f32_e32 v202, v202, v200
.LBB153_140:                            ;   in Loop: Header=BB153_3 Depth=1
	s_or_b64 exec, exec, s[10:11]
	s_waitcnt vmcnt(0)
	ds_bpermute_b32 v200, v162, v132
	ds_bpermute_b32 v201, v162, v132 offset:4
	v_mul_f32_e32 v160, v160, v161
	v_mul_f32_e32 v161, v165, v166
	ds_bpermute_b32 v165, v162, v132 offset:8
	s_waitcnt lgkmcnt(2)
	v_fmac_f32_e32 v163, v160, v200
	ds_bpermute_b32 v160, v162, v132 offset:12
	s_waitcnt lgkmcnt(2)
	v_fmac_f32_e32 v163, v161, v201
	v_mul_f32_e32 v161, v164, v167
	s_waitcnt lgkmcnt(1)
	v_fmac_f32_e32 v163, v161, v165
	ds_bpermute_b32 v161, v162, v132 offset:16
	v_mul_f32_e32 v164, v169, v170
	s_waitcnt lgkmcnt(1)
	v_fmac_f32_e32 v163, v164, v160
	ds_bpermute_b32 v160, v162, v132 offset:20
	;; [unrolled: 4-line block ×10, first 2 shown]
	v_mul_f32_e32 v164, v184, v187
	s_waitcnt lgkmcnt(1)
	v_fmac_f32_e32 v163, v164, v161
	v_mul_f32_e32 v161, v189, v190
	ds_bpermute_b32 v164, v162, v132 offset:56
	s_waitcnt lgkmcnt(1)
	v_fmac_f32_e32 v163, v161, v160
	ds_bpermute_b32 v160, v162, v132 offset:60
	ds_bpermute_b32 v165, v162, v132 offset:64
	v_mul_f32_e32 v161, v188, v191
	s_waitcnt lgkmcnt(2)
	v_fmac_f32_e32 v163, v161, v164
	v_mul_f32_e32 v161, v193, v194
	s_waitcnt lgkmcnt(1)
	v_fmac_f32_e32 v163, v161, v160
	v_mul_f32_e32 v160, v192, v196
	ds_bpermute_b32 v164, v162, v132 offset:68
	s_waitcnt lgkmcnt(1)
	v_fmac_f32_e32 v163, v160, v165
	ds_bpermute_b32 v166, v162, v132 offset:72
	ds_bpermute_b32 v160, v162, v132 offset:76
	;; [unrolled: 1-line block ×3, first 2 shown]
	v_mul_f32_e32 v165, v197, v198
	s_waitcnt lgkmcnt(3)
	v_fmac_f32_e32 v163, v165, v164
	v_mul_f32_e32 v164, v195, v199
	v_pk_mul_f32 v[136:137], v[136:137], v[138:139]
	ds_bpermute_b32 v138, v162, v132 offset:84
	ds_bpermute_b32 v139, v162, v132 offset:88
	s_waitcnt lgkmcnt(4)
	v_fmac_f32_e32 v163, v164, v166
	s_waitcnt lgkmcnt(2)
	v_pk_mul_f32 v[136:137], v[136:137], v[160:161]
	v_add_f32_e32 v136, v163, v136
	v_add_f32_e32 v160, v136, v137
	v_pk_mul_f32 v[136:137], v[140:141], v[142:143]
	ds_bpermute_b32 v140, v162, v132 offset:92
	ds_bpermute_b32 v141, v162, v132 offset:96
	s_waitcnt lgkmcnt(2)
	v_pk_mul_f32 v[136:137], v[136:137], v[138:139]
	v_add_f32_e32 v136, v160, v136
	v_add_f32_e32 v138, v136, v137
	v_pk_mul_f32 v[136:137], v[144:145], v[146:147]
	s_waitcnt lgkmcnt(0)
	v_pk_mul_f32 v[136:137], v[136:137], v[140:141]
	v_add_f32_e32 v136, v138, v136
	ds_bpermute_b32 v138, v162, v132 offset:100
	ds_bpermute_b32 v139, v162, v132 offset:104
	;; [unrolled: 1-line block ×4, first 2 shown]
	v_add_f32_e32 v142, v136, v137
	v_pk_mul_f32 v[136:137], v[148:149], v[150:151]
	s_waitcnt lgkmcnt(2)
	v_pk_mul_f32 v[136:137], v[136:137], v[138:139]
	v_add_f32_e32 v136, v142, v136
	ds_bpermute_b32 v138, v162, v132 offset:116
	ds_bpermute_b32 v139, v162, v132 offset:120
	v_add_f32_e32 v142, v136, v137
	v_pk_mul_f32 v[136:137], v[152:153], v[154:155]
	s_waitcnt lgkmcnt(2)
	v_pk_mul_f32 v[136:137], v[136:137], v[140:141]
	v_add_f32_e32 v136, v142, v136
	v_add_f32_e32 v140, v136, v137
	v_pk_mul_f32 v[136:137], v[156:157], v[158:159]
	s_waitcnt lgkmcnt(0)
	v_pk_mul_f32 v[136:137], v[136:137], v[138:139]
	v_add_f32_e32 v136, v140, v136
	ds_bpermute_b32 v132, v162, v132 offset:124
	v_add_f32_e32 v139, v136, v137
.LBB153_141:                            ;   in Loop: Header=BB153_3 Depth=1
	s_waitcnt lgkmcnt(0)
	v_fmac_f32_e32 v139, v202, v132
	v_mov_b32_e32 v132, s9
	v_add_co_u32_e64 v2, s[10:11], s33, v2
	v_addc_co_u32_e64 v129, s[10:11], v129, v132, s[10:11]
	v_mov_b32_e32 v132, s29
	v_add_co_u32_e64 v4, s[10:11], s28, v4
	v_addc_co_u32_e64 v1, s[10:11], v1, v132, s[10:11]
	v_add_co_u32_e64 v6, s[10:11], s28, v6
	v_addc_co_u32_e64 v3, s[10:11], v3, v132, s[10:11]
	;; [unrolled: 2-line block ×62, first 2 shown]
	s_add_u32 s30, s30, s33
	v_add_co_u32_e64 v128, s[10:11], s28, v128
	s_addc_u32 s31, s31, 0
	v_pk_mov_b32 v[136:137], s[12:13], s[12:13] op_sel:[0,1]
	v_addc_co_u32_e64 v125, s[10:11], v125, v132, s[10:11]
	v_cmp_lt_i64_e32 vcc, s[30:31], v[136:137]
	v_add_co_u32_e64 v130, s[10:11], s28, v130
	s_add_u32 s26, s26, s33
	v_addc_co_u32_e64 v127, s[10:11], v127, v132, s[10:11]
	s_addc_u32 s27, s27, 0
	s_cbranch_vccz .LBB153_146
; %bb.142:                              ;   in Loop: Header=BB153_3 Depth=1
	v_mov_b32_e32 v163, v139
	s_branch .LBB153_3
.LBB153_143:                            ;   in Loop: Header=BB153_3 Depth=1
	v_add_co_u32_e32 v158, vcc, v12, v134
	v_addc_co_u32_e32 v159, vcc, v9, v135, vcc
	global_load_dword v156, v[158:159], off
	v_add_co_u32_e32 v158, vcc, v14, v134
	v_addc_co_u32_e32 v159, vcc, v11, v135, vcc
	global_load_dword v158, v[158:159], off
	s_or_b64 exec, exec, s[10:11]
	v_mov_b32_e32 v159, 0
	s_and_saveexec_b64 s[10:11], s[2:3]
	s_cbranch_execz .LBB153_138
.LBB153_144:                            ;   in Loop: Header=BB153_3 Depth=1
	v_add_co_u32_e32 v200, vcc, v8, v134
	v_addc_co_u32_e32 v201, vcc, v5, v135, vcc
	global_load_dword v157, v[200:201], off
	v_add_co_u32_e32 v200, vcc, v10, v134
	v_addc_co_u32_e32 v201, vcc, v7, v135, vcc
	global_load_dword v159, v[200:201], off
	s_or_b64 exec, exec, s[10:11]
	v_mov_b32_e32 v202, 0
	s_and_saveexec_b64 s[10:11], s[2:3]
	s_cbranch_execnz .LBB153_139
	s_branch .LBB153_140
.LBB153_145:
                                        ; implicit-def: $vgpr139
	s_load_dwordx2 s[2:3], s[4:5], 0x30
	s_branch .LBB153_147
.LBB153_146:
	s_load_dwordx2 s[2:3], s[4:5], 0x30
	s_cbranch_execnz .LBB153_228
.LBB153_147:
	s_and_b64 vcc, exec, s[0:1]
	v_mov_b32_e32 v139, 0
	s_cbranch_vccnz .LBB153_228
; %bb.148:
	v_bfe_u32 v128, v253, 10, 10
	s_add_u32 s10, s4, 64
	s_addc_u32 s11, s5, 0
	v_lshlrev_b32_e32 v0, 7, v128
	s_lshl_b64 s[0:1], s[22:23], 2
	v_mov_b32_e32 v1, s1
	v_add_co_u32_e32 v0, vcc, s0, v0
	v_addc_co_u32_e32 v1, vcc, 0, v1, vcc
	v_add_co_u32_e32 v22, vcc, 4, v0
	v_addc_co_u32_e32 v4, vcc, 0, v1, vcc
	;; [unrolled: 2-line block ×10, first 2 shown]
	v_add_co_u32_e32 v50, vcc, 40, v0
	v_pk_mov_b32 v[122:123], s[16:17], s[16:17] op_sel:[0,1]
	v_addc_co_u32_e32 v23, vcc, 0, v1, vcc
	v_pk_mov_b32 v[124:125], s[18:19], s[18:19] op_sel:[0,1]
	v_mad_u64_u32 v[2:3], s[0:1], s14, v22, v[122:123]
	v_mul_lo_u32 v24, s14, v4
	v_mul_lo_u32 v25, s15, v22
	;; [unrolled: 1-line block ×3, first 2 shown]
	v_mad_u64_u32 v[22:23], s[0:1], s14, v22, v[124:125]
	v_add3_u32 v3, v25, v3, v24
	v_mad_u64_u32 v[4:5], s[0:1], s14, v26, v[122:123]
	v_mul_lo_u32 v27, s14, v6
	v_mul_lo_u32 v28, s15, v26
	v_add3_u32 v23, v25, v23, v24
	v_mad_u64_u32 v[24:25], s[0:1], s14, v26, v[124:125]
	v_add3_u32 v5, v28, v5, v27
	v_mad_u64_u32 v[6:7], s[0:1], s14, v29, v[122:123]
	v_mul_lo_u32 v30, s14, v8
	v_mul_lo_u32 v31, s15, v29
	v_add3_u32 v25, v28, v25, v27
	v_mad_u64_u32 v[26:27], s[0:1], s14, v29, v[124:125]
	v_add3_u32 v7, v31, v7, v30
	v_mad_u64_u32 v[8:9], s[0:1], s14, v32, v[122:123]
	v_mul_lo_u32 v33, s14, v10
	v_mul_lo_u32 v34, s15, v32
	v_add_co_u32_e32 v53, vcc, 44, v0
	v_add3_u32 v27, v31, v27, v30
	v_mad_u64_u32 v[30:31], s[0:1], s14, v32, v[124:125]
	v_add3_u32 v9, v34, v9, v33
	v_mad_u64_u32 v[10:11], s[0:1], s14, v35, v[122:123]
	v_mul_lo_u32 v36, s14, v12
	v_mul_lo_u32 v37, s15, v35
	v_mad_u64_u32 v[12:13], s[0:1], s14, v38, v[122:123]
	v_mul_lo_u32 v39, s14, v14
	v_mul_lo_u32 v40, s15, v38
	v_addc_co_u32_e32 v54, vcc, 0, v1, vcc
	v_add3_u32 v31, v34, v31, v33
	v_mad_u64_u32 v[32:33], s[0:1], s14, v35, v[124:125]
	v_mad_u64_u32 v[34:35], s[0:1], s14, v38, v[124:125]
	v_add3_u32 v13, v40, v13, v39
	v_mul_lo_u32 v42, s14, v16
	v_mad_u64_u32 v[16:17], s[0:1], s14, v44, v[122:123]
	v_mul_lo_u32 v45, s14, v18
	v_mul_lo_u32 v46, s15, v44
	v_add3_u32 v35, v40, v35, v39
	v_add_co_u32_e32 v56, vcc, 48, v0
	v_mad_u64_u32 v[38:39], s[0:1], s14, v44, v[124:125]
	v_add3_u32 v17, v46, v17, v45
	v_mul_lo_u32 v48, s14, v20
	v_mad_u64_u32 v[20:21], s[0:1], s14, v50, v[122:123]
	v_mul_lo_u32 v52, s15, v50
	v_addc_co_u32_e32 v57, vcc, 0, v1, vcc
	v_add3_u32 v39, v46, v39, v45
	v_mad_u64_u32 v[44:45], s[0:1], s14, v50, v[124:125]
	v_add3_u32 v11, v37, v11, v36
	v_mad_u64_u32 v[14:15], s[0:1], s14, v41, v[122:123]
	v_mul_lo_u32 v43, s15, v41
	v_add3_u32 v21, v52, v21, v51
	v_add3_u32 v33, v37, v33, v36
	v_mad_u64_u32 v[36:37], s[0:1], s14, v41, v[124:125]
	v_add3_u32 v45, v52, v45, v51
	v_add_co_u32_e32 v52, vcc, 52, v0
	v_add3_u32 v15, v43, v15, v42
	v_mad_u64_u32 v[18:19], s[0:1], s14, v47, v[122:123]
	v_mul_lo_u32 v49, s15, v47
	v_mad_u64_u32 v[28:29], s[0:1], s14, v53, v[122:123]
	v_mul_lo_u32 v54, s14, v54
	v_mul_lo_u32 v55, s15, v53
	v_add3_u32 v37, v43, v37, v42
	v_mad_u64_u32 v[42:43], s[0:1], s14, v47, v[124:125]
	v_mad_u64_u32 v[46:47], s[0:1], s14, v53, v[124:125]
	v_addc_co_u32_e32 v53, vcc, 0, v1, vcc
	v_add3_u32 v19, v49, v19, v48
	v_add3_u32 v29, v55, v29, v54
	v_mad_u64_u32 v[40:41], s[0:1], s14, v56, v[122:123]
	v_add3_u32 v43, v49, v43, v48
	v_mul_lo_u32 v58, s15, v56
	v_add3_u32 v47, v55, v47, v54
	v_mad_u64_u32 v[48:49], s[0:1], s14, v56, v[124:125]
	v_mad_u64_u32 v[50:51], s[0:1], s14, v52, v[122:123]
	v_mul_lo_u32 v54, s14, v53
	v_mul_lo_u32 v55, s15, v52
	v_mad_u64_u32 v[52:53], s[0:1], s14, v52, v[124:125]
	v_add_co_u32_e32 v56, vcc, 56, v0
	v_mul_lo_u32 v57, s14, v57
	v_add3_u32 v51, v55, v51, v54
	v_add3_u32 v53, v55, v53, v54
	v_addc_co_u32_e32 v54, vcc, 0, v1, vcc
	v_add3_u32 v41, v58, v41, v57
	v_add3_u32 v49, v58, v49, v57
	v_mul_lo_u32 v58, s14, v54
	v_mul_lo_u32 v59, s15, v56
	v_mad_u64_u32 v[54:55], s[0:1], s14, v56, v[122:123]
	v_mad_u64_u32 v[56:57], s[0:1], s14, v56, v[124:125]
	v_add_co_u32_e32 v60, vcc, 60, v0
	v_add3_u32 v55, v59, v55, v58
	v_add3_u32 v57, v59, v57, v58
	v_addc_co_u32_e32 v58, vcc, 0, v1, vcc
	v_mul_lo_u32 v62, s14, v58
	v_mul_lo_u32 v63, s15, v60
	v_mad_u64_u32 v[58:59], s[0:1], s14, v60, v[122:123]
	v_mad_u64_u32 v[60:61], s[0:1], s14, v60, v[124:125]
	v_add_co_u32_e32 v64, vcc, 64, v0
	v_add3_u32 v59, v63, v59, v62
	v_add3_u32 v61, v63, v61, v62
	v_addc_co_u32_e32 v62, vcc, 0, v1, vcc
	v_mul_lo_u32 v66, s14, v62
	v_mul_lo_u32 v67, s15, v64
	v_mad_u64_u32 v[62:63], s[0:1], s14, v64, v[122:123]
	v_mad_u64_u32 v[64:65], s[0:1], s14, v64, v[124:125]
	s_movk_i32 s0, 0x44
	v_add_co_u32_e32 v68, vcc, s0, v0
	v_add3_u32 v63, v67, v63, v66
	v_add3_u32 v65, v67, v65, v66
	v_addc_co_u32_e32 v66, vcc, 0, v1, vcc
	v_mul_lo_u32 v70, s14, v66
	v_mul_lo_u32 v71, s15, v68
	v_mad_u64_u32 v[66:67], s[0:1], s14, v68, v[122:123]
	v_mad_u64_u32 v[68:69], s[0:1], s14, v68, v[124:125]
	s_movk_i32 s0, 0x48
	;; [unrolled: 9-line block ×15, first 2 shown]
	v_add_co_u32_e32 v0, vcc, s0, v0
	v_addc_co_u32_e32 v1, vcc, 0, v1, vcc
	v_mad_u64_u32 v[122:123], s[0:1], s14, v0, v[122:123]
	v_mul_lo_u32 v1, s14, v1
	v_mad_u64_u32 v[124:125], s[0:1], s14, v0, v[124:125]
	v_mul_lo_u32 v0, s15, v0
	v_add3_u32 v123, v0, v123, v1
	v_add3_u32 v125, v0, v125, v1
	v_lshlrev_b32_e32 v0, 5, v128
	v_mov_b32_e32 v1, s23
	v_accvgpr_write_b32 a2, v0
	v_add_co_u32_e32 v0, vcc, s22, v0
	v_addc_co_u32_e32 v1, vcc, 0, v1, vcc
	v_add3_u32 v119, v127, v119, v126
	v_add3_u32 v121, v127, v121, v126
	v_add_co_u32_e32 v126, vcc, 31, v0
	v_addc_co_u32_e32 v127, vcc, 0, v1, vcc
	v_accvgpr_write_b32 a1, v128
	v_mul_lo_u32 v127, s14, v127
	v_mul_lo_u32 v128, s15, v126
	v_mad_u64_u32 v[132:133], s[0:1], s14, v126, 0
	v_add_co_u32_e32 v126, vcc, 30, v0
	v_add3_u32 v133, v133, v127, v128
	v_addc_co_u32_e32 v127, vcc, 0, v1, vcc
	v_mul_lo_u32 v127, s14, v127
	v_mul_lo_u32 v128, s15, v126
	v_mad_u64_u32 v[134:135], s[0:1], s14, v126, 0
	v_add_co_u32_e32 v126, vcc, 29, v0
	v_add3_u32 v135, v135, v127, v128
	v_addc_co_u32_e32 v127, vcc, 0, v1, vcc
	;; [unrolled: 6-line block ×29, first 2 shown]
	v_mul_lo_u32 v127, s14, v127
	v_mul_lo_u32 v128, s15, v126
	v_mad_u64_u32 v[170:171], s[0:1], s14, v126, 0
	v_add3_u32 v171, v171, v127, v128
	v_pk_mov_b32 v[126:127], s[14:15], s[14:15] op_sel:[0,1]
	v_mul_lo_u32 v128, s14, v1
	v_mad_u64_u32 v[172:173], s[0:1], s14, v0, v[126:127]
	v_mul_lo_u32 v126, s15, v0
	v_mad_u64_u32 v[0:1], s[0:1], s14, v0, 0
	v_add3_u32 v1, v1, v128, v126
	v_add3_u32 v173, v126, v173, v128
	v_lshlrev_b64 v[126:127], 2, v[0:1]
	v_mov_b32_e32 v0, s17
	v_add_co_u32_e32 v128, vcc, s16, v126
	v_addc_co_u32_e32 v1, vcc, v0, v127, vcc
	v_mov_b32_e32 v129, s19
	v_add_co_u32_e32 v130, vcc, s18, v126
	v_addc_co_u32_e32 v127, vcc, v129, v127, vcc
	v_lshlrev_b64 v[132:133], 2, v[132:133]
	v_add_co_u32_e32 v126, vcc, s16, v132
	v_addc_co_u32_e32 v131, vcc, v0, v133, vcc
	v_accvgpr_write_b32 a4, v126
	v_add_co_u32_e32 v126, vcc, s18, v132
	v_accvgpr_write_b32 a3, v131
	v_addc_co_u32_e32 v131, vcc, v129, v133, vcc
	v_lshlrev_b64 v[132:133], 2, v[134:135]
	v_accvgpr_write_b32 a6, v126
	v_add_co_u32_e32 v126, vcc, s16, v132
	v_accvgpr_write_b32 a5, v131
	v_addc_co_u32_e32 v131, vcc, v0, v133, vcc
	v_accvgpr_write_b32 a8, v126
	v_add_co_u32_e32 v126, vcc, s18, v132
	v_accvgpr_write_b32 a7, v131
	v_addc_co_u32_e32 v131, vcc, v129, v133, vcc
	v_lshlrev_b64 v[132:133], 2, v[136:137]
	v_accvgpr_write_b32 a10, v126
	v_add_co_u32_e32 v126, vcc, s16, v132
	v_accvgpr_write_b32 a9, v131
	;; [unrolled: 9-line block ×16, first 2 shown]
	v_addc_co_u32_e32 v131, vcc, v0, v133, vcc
	v_accvgpr_write_b32 a68, v126
	v_add_co_u32_e32 v126, vcc, s18, v132
	v_addc_co_u32_e32 v195, vcc, v129, v133, vcc
	v_lshlrev_b64 v[132:133], 2, v[200:201]
	v_add_co_u32_e32 v200, vcc, s16, v132
	v_accvgpr_write_b32 a67, v131
	v_addc_co_u32_e32 v131, vcc, v0, v133, vcc
	v_add_co_u32_e32 v202, vcc, s18, v132
	v_accvgpr_write_b32 a69, v131
	v_addc_co_u32_e32 v131, vcc, v129, v133, vcc
	v_lshlrev_b64 v[132:133], 2, v[204:205]
	v_add_co_u32_e32 v204, vcc, s16, v132
	v_addc_co_u32_e32 v201, vcc, v0, v133, vcc
	v_add_co_u32_e32 v206, vcc, s18, v132
	v_addc_co_u32_e32 v203, vcc, v129, v133, vcc
	v_lshlrev_b64 v[132:133], 2, v[208:209]
	v_add_co_u32_e32 v208, vcc, s16, v132
	v_addc_co_u32_e32 v205, vcc, v0, v133, vcc
	v_add_co_u32_e32 v210, vcc, s18, v132
	;; [unrolled: 5-line block ×11, first 2 shown]
	v_addc_co_u32_e32 v243, vcc, v129, v133, vcc
	v_lshlrev_b64 v[132:133], 2, v[170:171]
	v_add_co_u32_e32 v248, vcc, s16, v132
	v_addc_co_u32_e32 v245, vcc, v0, v133, vcc
	s_load_dword s0, s[4:5], 0x44
	v_add_co_u32_e32 v250, vcc, s18, v132
	v_addc_co_u32_e32 v247, vcc, v129, v133, vcc
	v_lshlrev_b64 v[132:133], 2, v[172:173]
	v_add_co_u32_e32 v252, vcc, s16, v132
	v_addc_co_u32_e32 v249, vcc, v0, v133, vcc
	v_and_b32_e32 v0, 0x3ff, v253
	v_add_co_u32_e32 v254, vcc, s18, v132
	v_accvgpr_write_b32 a72, v0
	v_add_u32_e32 v132, s7, v0
	s_waitcnt lgkmcnt(0)
	s_lshl_b32 s7, s0, 5
	v_mbcnt_lo_u32_b32 v0, -1, 0
	s_mul_i32 s0, s15, s7
	s_mul_hi_u32 s1, s14, s7
	v_mbcnt_hi_u32_b32 v0, -1, v0
	v_addc_co_u32_e32 v251, vcc, v129, v133, vcc
	v_mov_b32_e32 v133, 0
	s_add_i32 s1, s1, s0
	s_mul_i32 s0, s14, s7
	v_lshlrev_b32_e32 v0, 2, v0
	v_accvgpr_write_b32 a70, v126
	v_accvgpr_write_b32 a71, v131
	s_mov_b32 s9, 0
	v_accvgpr_write_b32 a0, v253
	s_lshl_b64 s[16:17], s[0:1], 2
	s_mov_b64 s[18:19], 31
	v_and_b32_e32 v0, 0x100, v0
	s_mov_b64 s[24:25], s[22:23]
	v_mov_b32_e32 v138, 0
	v_mov_b32_e32 v253, v133
	v_accvgpr_write_b32 a73, v133
	v_lshlrev_b64 v[132:133], 2, v[132:133]
.LBB153_149:                            ; =>This Inner Loop Header: Depth=1
	s_add_u32 s0, s22, s18
	s_addc_u32 s1, 0, s19
	v_pk_mov_b32 v[134:135], s[12:13], s[12:13] op_sel:[0,1]
	v_cmp_ge_i64_e32 vcc, s[0:1], v[134:135]
	v_accvgpr_read_b32 v134, a2
	v_mov_b32_e32 v126, s23
	v_add_co_u32_e64 v134, s[0:1], s22, v134
	v_addc_co_u32_e64 v135, s[0:1], v126, v253, s[0:1]
	s_cbranch_vccz .LBB153_219
; %bb.150:                              ;   in Loop: Header=BB153_149 Depth=1
	s_load_dword s0, s[10:11], 0xc
	v_mov_b32_e32 v126, 0
	v_accvgpr_write_b32 a74, v126           ;  Reload Reuse
	v_accvgpr_read_b32 v126, a1
	v_accvgpr_read_b32 v129, a72
	s_waitcnt lgkmcnt(0)
	s_and_b32 s0, s0, 0xffff
	v_mad_u32_u24 v126, v126, s0, v129
	v_and_b32_e32 v126, 63, v126
	v_cmp_gt_u32_e32 vcc, 32, v126
	v_mov_b32_e32 v139, 0
	s_and_saveexec_b64 s[0:1], vcc
	s_cbranch_execz .LBB153_154
; %bb.151:                              ;   in Loop: Header=BB153_149 Depth=1
	v_add_co_u32_e32 v136, vcc, v134, v126
	v_addc_co_u32_e32 v137, vcc, 0, v135, vcc
	v_cmp_gt_i64_e32 vcc, s[12:13], v[136:137]
	v_mov_b32_e32 v139, 0
	s_and_saveexec_b64 s[26:27], vcc
	s_cbranch_execz .LBB153_153
; %bb.152:                              ;   in Loop: Header=BB153_149 Depth=1
	v_lshlrev_b64 v[136:137], 2, v[136:137]
	v_mov_b32_e32 v126, s21
	v_add_co_u32_e32 v136, vcc, s20, v136
	v_addc_co_u32_e32 v137, vcc, v126, v137, vcc
	global_load_dword v139, v[136:137], off
.LBB153_153:                            ;   in Loop: Header=BB153_149 Depth=1
	s_or_b64 exec, exec, s[26:27]
.LBB153_154:                            ;   in Loop: Header=BB153_149 Depth=1
	s_or_b64 exec, exec, s[0:1]
	v_cmp_gt_i64_e32 vcc, s[12:13], v[134:135]
	v_mov_b32_e32 v156, 0
	s_and_saveexec_b64 s[0:1], vcc
	s_cbranch_execz .LBB153_156
; %bb.155:                              ;   in Loop: Header=BB153_149 Depth=1
	v_add_co_u32_e32 v136, vcc, v128, v132
	v_addc_co_u32_e32 v137, vcc, v1, v133, vcc
	global_load_dword v126, v[136:137], off
	v_add_co_u32_e32 v136, vcc, v130, v132
	v_addc_co_u32_e32 v137, vcc, v127, v133, vcc
	global_load_dword v156, v[136:137], off
	s_waitcnt vmcnt(1)
	v_accvgpr_write_b32 a74, v126           ;  Reload Reuse
.LBB153_156:                            ;   in Loop: Header=BB153_149 Depth=1
	s_or_b64 exec, exec, s[0:1]
	v_add_co_u32_e32 v136, vcc, 1, v134
	v_addc_co_u32_e32 v137, vcc, 0, v135, vcc
	v_cmp_gt_i64_e32 vcc, s[12:13], v[136:137]
	v_mov_b32_e32 v129, 0
	v_mov_b32_e32 v131, 0
	v_mov_b32_e32 v255, 0
	s_and_saveexec_b64 s[0:1], vcc
	s_cbranch_execz .LBB153_158
; %bb.157:                              ;   in Loop: Header=BB153_149 Depth=1
	v_add_co_u32_e32 v136, vcc, v252, v132
	v_addc_co_u32_e32 v137, vcc, v249, v133, vcc
	global_load_dword v131, v[136:137], off
	v_add_co_u32_e32 v136, vcc, v254, v132
	v_addc_co_u32_e32 v137, vcc, v251, v133, vcc
	global_load_dword v255, v[136:137], off
.LBB153_158:                            ;   in Loop: Header=BB153_149 Depth=1
	s_or_b64 exec, exec, s[0:1]
	v_add_co_u32_e32 v136, vcc, 2, v134
	v_addc_co_u32_e32 v137, vcc, 0, v135, vcc
	v_cmp_gt_i64_e32 vcc, s[12:13], v[136:137]
	v_mov_b32_e32 v162, 0
	s_and_saveexec_b64 s[0:1], vcc
	s_cbranch_execz .LBB153_160
; %bb.159:                              ;   in Loop: Header=BB153_149 Depth=1
	v_add_co_u32_e32 v136, vcc, v248, v132
	v_addc_co_u32_e32 v137, vcc, v245, v133, vcc
	global_load_dword v129, v[136:137], off
	v_add_co_u32_e32 v136, vcc, v250, v132
	v_addc_co_u32_e32 v137, vcc, v247, v133, vcc
	global_load_dword v162, v[136:137], off
.LBB153_160:                            ;   in Loop: Header=BB153_149 Depth=1
	s_or_b64 exec, exec, s[0:1]
	v_add_co_u32_e32 v136, vcc, 3, v134
	v_addc_co_u32_e32 v137, vcc, 0, v135, vcc
	v_cmp_gt_i64_e32 vcc, s[12:13], v[136:137]
	v_mov_b32_e32 v160, 0
	v_mov_b32_e32 v164, 0
	v_mov_b32_e32 v161, 0
	s_and_saveexec_b64 s[0:1], vcc
	s_cbranch_execz .LBB153_162
; %bb.161:                              ;   in Loop: Header=BB153_149 Depth=1
	v_add_co_u32_e32 v136, vcc, v244, v132
	v_addc_co_u32_e32 v137, vcc, v241, v133, vcc
	global_load_dword v164, v[136:137], off
	v_add_co_u32_e32 v136, vcc, v246, v132
	v_addc_co_u32_e32 v137, vcc, v243, v133, vcc
	global_load_dword v161, v[136:137], off
.LBB153_162:                            ;   in Loop: Header=BB153_149 Depth=1
	s_or_b64 exec, exec, s[0:1]
	v_add_co_u32_e32 v136, vcc, 4, v134
	v_addc_co_u32_e32 v137, vcc, 0, v135, vcc
	v_cmp_gt_i64_e32 vcc, s[12:13], v[136:137]
	v_mov_b32_e32 v163, 0
	s_and_saveexec_b64 s[0:1], vcc
	s_cbranch_execz .LBB153_164
; %bb.163:                              ;   in Loop: Header=BB153_149 Depth=1
	v_add_co_u32_e32 v136, vcc, v240, v132
	v_addc_co_u32_e32 v137, vcc, v237, v133, vcc
	global_load_dword v160, v[136:137], off
	v_add_co_u32_e32 v136, vcc, v242, v132
	v_addc_co_u32_e32 v137, vcc, v239, v133, vcc
	global_load_dword v163, v[136:137], off
.LBB153_164:                            ;   in Loop: Header=BB153_149 Depth=1
	s_or_b64 exec, exec, s[0:1]
	v_add_co_u32_e32 v136, vcc, 5, v134
	v_addc_co_u32_e32 v137, vcc, 0, v135, vcc
	v_cmp_gt_i64_e32 vcc, s[12:13], v[136:137]
	v_mov_b32_e32 v166, 0
	v_mov_b32_e32 v168, 0
	v_mov_b32_e32 v165, 0
	s_and_saveexec_b64 s[0:1], vcc
	s_cbranch_execz .LBB153_166
; %bb.165:                              ;   in Loop: Header=BB153_149 Depth=1
	v_add_co_u32_e32 v136, vcc, v236, v132
	v_addc_co_u32_e32 v137, vcc, v233, v133, vcc
	global_load_dword v168, v[136:137], off
	v_add_co_u32_e32 v136, vcc, v238, v132
	v_addc_co_u32_e32 v137, vcc, v235, v133, vcc
	global_load_dword v165, v[136:137], off
.LBB153_166:                            ;   in Loop: Header=BB153_149 Depth=1
	s_or_b64 exec, exec, s[0:1]
	v_add_co_u32_e32 v136, vcc, 6, v134
	v_addc_co_u32_e32 v137, vcc, 0, v135, vcc
	v_cmp_gt_i64_e32 vcc, s[12:13], v[136:137]
	v_mov_b32_e32 v167, 0
	s_and_saveexec_b64 s[0:1], vcc
	s_cbranch_execz .LBB153_168
; %bb.167:                              ;   in Loop: Header=BB153_149 Depth=1
	v_add_co_u32_e32 v136, vcc, v232, v132
	v_addc_co_u32_e32 v137, vcc, v229, v133, vcc
	global_load_dword v166, v[136:137], off
	v_add_co_u32_e32 v136, vcc, v234, v132
	v_addc_co_u32_e32 v137, vcc, v231, v133, vcc
	global_load_dword v167, v[136:137], off
.LBB153_168:                            ;   in Loop: Header=BB153_149 Depth=1
	s_or_b64 exec, exec, s[0:1]
	v_add_co_u32_e32 v136, vcc, 7, v134
	v_addc_co_u32_e32 v137, vcc, 0, v135, vcc
	v_cmp_gt_i64_e32 vcc, s[12:13], v[136:137]
	v_mov_b32_e32 v170, 0
	v_mov_b32_e32 v126, 0
	v_mov_b32_e32 v172, 0
	s_and_saveexec_b64 s[0:1], vcc
	s_cbranch_execz .LBB153_170
; %bb.169:                              ;   in Loop: Header=BB153_149 Depth=1
	v_add_co_u32_e32 v136, vcc, v228, v132
	v_addc_co_u32_e32 v137, vcc, v225, v133, vcc
	global_load_dword v126, v[136:137], off
	v_add_co_u32_e32 v136, vcc, v230, v132
	v_addc_co_u32_e32 v137, vcc, v227, v133, vcc
	global_load_dword v172, v[136:137], off
.LBB153_170:                            ;   in Loop: Header=BB153_149 Depth=1
	s_or_b64 exec, exec, s[0:1]
	v_add_co_u32_e32 v136, vcc, 8, v134
	v_addc_co_u32_e32 v137, vcc, 0, v135, vcc
	v_cmp_gt_i64_e32 vcc, s[12:13], v[136:137]
	v_mov_b32_e32 v174, 0
	s_and_saveexec_b64 s[0:1], vcc
	s_cbranch_execz .LBB153_172
; %bb.171:                              ;   in Loop: Header=BB153_149 Depth=1
	v_add_co_u32_e32 v136, vcc, v224, v132
	v_addc_co_u32_e32 v137, vcc, v221, v133, vcc
	global_load_dword v170, v[136:137], off
	v_add_co_u32_e32 v136, vcc, v226, v132
	v_addc_co_u32_e32 v137, vcc, v223, v133, vcc
	global_load_dword v174, v[136:137], off
.LBB153_172:                            ;   in Loop: Header=BB153_149 Depth=1
	s_or_b64 exec, exec, s[0:1]
	v_add_co_u32_e32 v136, vcc, 9, v134
	v_addc_co_u32_e32 v137, vcc, 0, v135, vcc
	v_cmp_gt_i64_e32 vcc, s[12:13], v[136:137]
	v_mov_b32_e32 v169, 0
	v_mov_b32_e32 v171, 0
	v_mov_b32_e32 v176, 0
	s_and_saveexec_b64 s[0:1], vcc
	s_cbranch_execz .LBB153_174
; %bb.173:                              ;   in Loop: Header=BB153_149 Depth=1
	v_add_co_u32_e32 v136, vcc, v220, v132
	v_addc_co_u32_e32 v137, vcc, v217, v133, vcc
	global_load_dword v171, v[136:137], off
	v_add_co_u32_e32 v136, vcc, v222, v132
	v_addc_co_u32_e32 v137, vcc, v219, v133, vcc
	global_load_dword v176, v[136:137], off
.LBB153_174:                            ;   in Loop: Header=BB153_149 Depth=1
	s_or_b64 exec, exec, s[0:1]
	v_add_co_u32_e32 v136, vcc, 10, v134
	v_addc_co_u32_e32 v137, vcc, 0, v135, vcc
	v_cmp_gt_i64_e32 vcc, s[12:13], v[136:137]
	v_mov_b32_e32 v178, 0
	s_and_saveexec_b64 s[0:1], vcc
	s_cbranch_execz .LBB153_176
; %bb.175:                              ;   in Loop: Header=BB153_149 Depth=1
	v_add_co_u32_e32 v136, vcc, v216, v132
	v_addc_co_u32_e32 v137, vcc, v213, v133, vcc
	global_load_dword v169, v[136:137], off
	v_add_co_u32_e32 v136, vcc, v218, v132
	v_addc_co_u32_e32 v137, vcc, v215, v133, vcc
	global_load_dword v178, v[136:137], off
.LBB153_176:                            ;   in Loop: Header=BB153_149 Depth=1
	s_or_b64 exec, exec, s[0:1]
	v_add_co_u32_e32 v136, vcc, 11, v134
	v_addc_co_u32_e32 v137, vcc, 0, v135, vcc
	v_cmp_gt_i64_e32 vcc, s[12:13], v[136:137]
	v_mov_b32_e32 v173, 0
	v_mov_b32_e32 v175, 0
	v_mov_b32_e32 v180, 0
	s_and_saveexec_b64 s[0:1], vcc
	s_cbranch_execz .LBB153_178
; %bb.177:                              ;   in Loop: Header=BB153_149 Depth=1
	v_add_co_u32_e32 v136, vcc, v212, v132
	v_addc_co_u32_e32 v137, vcc, v209, v133, vcc
	global_load_dword v175, v[136:137], off
	v_add_co_u32_e32 v136, vcc, v214, v132
	v_addc_co_u32_e32 v137, vcc, v211, v133, vcc
	global_load_dword v180, v[136:137], off
.LBB153_178:                            ;   in Loop: Header=BB153_149 Depth=1
	s_or_b64 exec, exec, s[0:1]
	v_add_co_u32_e32 v136, vcc, 12, v134
	v_addc_co_u32_e32 v137, vcc, 0, v135, vcc
	v_cmp_gt_i64_e32 vcc, s[12:13], v[136:137]
	v_mov_b32_e32 v182, 0
	s_and_saveexec_b64 s[0:1], vcc
	s_cbranch_execz .LBB153_180
; %bb.179:                              ;   in Loop: Header=BB153_149 Depth=1
	v_add_co_u32_e32 v136, vcc, v208, v132
	v_addc_co_u32_e32 v137, vcc, v205, v133, vcc
	global_load_dword v173, v[136:137], off
	v_add_co_u32_e32 v136, vcc, v210, v132
	v_addc_co_u32_e32 v137, vcc, v207, v133, vcc
	global_load_dword v182, v[136:137], off
.LBB153_180:                            ;   in Loop: Header=BB153_149 Depth=1
	s_or_b64 exec, exec, s[0:1]
	v_add_co_u32_e32 v136, vcc, 13, v134
	v_addc_co_u32_e32 v137, vcc, 0, v135, vcc
	v_cmp_gt_i64_e32 vcc, s[12:13], v[136:137]
	v_mov_b32_e32 v177, 0
	v_mov_b32_e32 v179, 0
	v_mov_b32_e32 v184, 0
	s_and_saveexec_b64 s[0:1], vcc
	s_cbranch_execz .LBB153_182
; %bb.181:                              ;   in Loop: Header=BB153_149 Depth=1
	v_add_co_u32_e32 v136, vcc, v204, v132
	v_addc_co_u32_e32 v137, vcc, v201, v133, vcc
	global_load_dword v179, v[136:137], off
	v_add_co_u32_e32 v136, vcc, v206, v132
	v_addc_co_u32_e32 v137, vcc, v203, v133, vcc
	global_load_dword v184, v[136:137], off
.LBB153_182:                            ;   in Loop: Header=BB153_149 Depth=1
	s_or_b64 exec, exec, s[0:1]
	v_add_co_u32_e32 v136, vcc, 14, v134
	v_addc_co_u32_e32 v137, vcc, 0, v135, vcc
	v_cmp_gt_i64_e32 vcc, s[12:13], v[136:137]
	v_mov_b32_e32 v186, 0
	s_and_saveexec_b64 s[0:1], vcc
	s_cbranch_execz .LBB153_184
; %bb.183:                              ;   in Loop: Header=BB153_149 Depth=1
	v_add_co_u32_e32 v136, vcc, v200, v132
	v_accvgpr_read_b32 v137, a69
	v_addc_co_u32_e32 v137, vcc, v137, v133, vcc
	global_load_dword v177, v[136:137], off
	v_add_co_u32_e32 v136, vcc, v202, v132
	v_accvgpr_read_b32 v137, a71
	v_addc_co_u32_e32 v137, vcc, v137, v133, vcc
	global_load_dword v186, v[136:137], off
.LBB153_184:                            ;   in Loop: Header=BB153_149 Depth=1
	s_or_b64 exec, exec, s[0:1]
	v_add_co_u32_e32 v136, vcc, 15, v134
	v_addc_co_u32_e32 v137, vcc, 0, v135, vcc
	v_cmp_gt_i64_e32 vcc, s[12:13], v[136:137]
	v_mov_b32_e32 v181, 0
	v_mov_b32_e32 v183, 0
	;; [unrolled: 1-line block ×3, first 2 shown]
	s_and_saveexec_b64 s[0:1], vcc
	s_cbranch_execz .LBB153_186
; %bb.185:                              ;   in Loop: Header=BB153_149 Depth=1
	v_accvgpr_read_b32 v136, a68
	v_add_co_u32_e32 v136, vcc, v136, v132
	v_accvgpr_read_b32 v137, a67
	v_addc_co_u32_e32 v137, vcc, v137, v133, vcc
	global_load_dword v183, v[136:137], off
	v_accvgpr_read_b32 v136, a70
	v_add_co_u32_e32 v136, vcc, v136, v132
	v_addc_co_u32_e32 v137, vcc, v195, v133, vcc
	global_load_dword v185, v[136:137], off
.LBB153_186:                            ;   in Loop: Header=BB153_149 Depth=1
	s_or_b64 exec, exec, s[0:1]
	v_add_co_u32_e32 v136, vcc, 16, v134
	v_addc_co_u32_e32 v137, vcc, 0, v135, vcc
	v_cmp_gt_i64_e32 vcc, s[12:13], v[136:137]
	v_mov_b32_e32 v190, 0
	s_and_saveexec_b64 s[0:1], vcc
	s_cbranch_execz .LBB153_188
; %bb.187:                              ;   in Loop: Header=BB153_149 Depth=1
	v_accvgpr_read_b32 v136, a64
	v_add_co_u32_e32 v136, vcc, v136, v132
	v_accvgpr_read_b32 v137, a63
	v_addc_co_u32_e32 v137, vcc, v137, v133, vcc
	global_load_dword v181, v[136:137], off
	v_accvgpr_read_b32 v136, a66
	v_add_co_u32_e32 v136, vcc, v136, v132
	v_accvgpr_read_b32 v137, a65
	v_addc_co_u32_e32 v137, vcc, v137, v133, vcc
	global_load_dword v190, v[136:137], off
.LBB153_188:                            ;   in Loop: Header=BB153_149 Depth=1
	s_or_b64 exec, exec, s[0:1]
	v_add_co_u32_e32 v136, vcc, 17, v134
	v_addc_co_u32_e32 v137, vcc, 0, v135, vcc
	v_cmp_gt_i64_e32 vcc, s[12:13], v[136:137]
	v_mov_b32_e32 v188, 0
	v_mov_b32_e32 v187, 0
	;; [unrolled: 1-line block ×3, first 2 shown]
	s_and_saveexec_b64 s[0:1], vcc
	s_cbranch_execz .LBB153_190
; %bb.189:                              ;   in Loop: Header=BB153_149 Depth=1
	v_accvgpr_read_b32 v136, a60
	v_add_co_u32_e32 v136, vcc, v136, v132
	v_accvgpr_read_b32 v137, a59
	v_addc_co_u32_e32 v137, vcc, v137, v133, vcc
	global_load_dword v187, v[136:137], off
	v_accvgpr_read_b32 v136, a62
	v_add_co_u32_e32 v136, vcc, v136, v132
	v_accvgpr_read_b32 v137, a61
	v_addc_co_u32_e32 v137, vcc, v137, v133, vcc
	global_load_dword v192, v[136:137], off
.LBB153_190:                            ;   in Loop: Header=BB153_149 Depth=1
	s_or_b64 exec, exec, s[0:1]
	v_add_co_u32_e32 v136, vcc, 18, v134
	v_addc_co_u32_e32 v137, vcc, 0, v135, vcc
	v_cmp_gt_i64_e32 vcc, s[12:13], v[136:137]
	v_mov_b32_e32 v189, 0
	s_and_saveexec_b64 s[0:1], vcc
	s_cbranch_execz .LBB153_192
; %bb.191:                              ;   in Loop: Header=BB153_149 Depth=1
	v_accvgpr_read_b32 v136, a56
	v_add_co_u32_e32 v136, vcc, v136, v132
	v_accvgpr_read_b32 v137, a55
	v_addc_co_u32_e32 v137, vcc, v137, v133, vcc
	global_load_dword v188, v[136:137], off
	v_accvgpr_read_b32 v136, a58
	v_add_co_u32_e32 v136, vcc, v136, v132
	v_accvgpr_read_b32 v137, a57
	v_addc_co_u32_e32 v137, vcc, v137, v133, vcc
	global_load_dword v189, v[136:137], off
.LBB153_192:                            ;   in Loop: Header=BB153_149 Depth=1
	s_or_b64 exec, exec, s[0:1]
	v_add_co_u32_e32 v136, vcc, 19, v134
	v_addc_co_u32_e32 v137, vcc, 0, v135, vcc
	v_cmp_gt_i64_e32 vcc, s[12:13], v[136:137]
	v_mov_b32_e32 v136, 0
	v_mov_b32_e32 v194, 0
	;; [unrolled: 1-line block ×3, first 2 shown]
	s_and_saveexec_b64 s[0:1], vcc
	s_cbranch_execz .LBB153_194
; %bb.193:                              ;   in Loop: Header=BB153_149 Depth=1
	v_accvgpr_read_b32 v140, a52
	v_add_co_u32_e32 v140, vcc, v140, v132
	v_accvgpr_read_b32 v137, a51
	v_addc_co_u32_e32 v141, vcc, v137, v133, vcc
	global_load_dword v194, v[140:141], off
	v_accvgpr_read_b32 v140, a54
	v_add_co_u32_e32 v140, vcc, v140, v132
	v_accvgpr_read_b32 v137, a53
	v_addc_co_u32_e32 v141, vcc, v137, v133, vcc
	global_load_dword v191, v[140:141], off
.LBB153_194:                            ;   in Loop: Header=BB153_149 Depth=1
	s_or_b64 exec, exec, s[0:1]
	v_add_co_u32_e32 v140, vcc, 20, v134
	v_addc_co_u32_e32 v141, vcc, 0, v135, vcc
	v_cmp_gt_i64_e32 vcc, s[12:13], v[140:141]
	v_mov_b32_e32 v140, 0
	s_and_saveexec_b64 s[0:1], vcc
	s_cbranch_execz .LBB153_196
; %bb.195:                              ;   in Loop: Header=BB153_149 Depth=1
	v_accvgpr_read_b32 v136, a48
	v_add_co_u32_e32 v136, vcc, v136, v132
	v_accvgpr_read_b32 v137, a47
	v_addc_co_u32_e32 v137, vcc, v137, v133, vcc
	v_accvgpr_read_b32 v140, a50
	global_load_dword v136, v[136:137], off
	v_add_co_u32_e32 v140, vcc, v140, v132
	v_accvgpr_read_b32 v137, a49
	v_addc_co_u32_e32 v141, vcc, v137, v133, vcc
	global_load_dword v140, v[140:141], off
.LBB153_196:                            ;   in Loop: Header=BB153_149 Depth=1
	s_or_b64 exec, exec, s[0:1]
	v_add_co_u32_e32 v142, vcc, 21, v134
	v_addc_co_u32_e32 v143, vcc, 0, v135, vcc
	v_cmp_gt_i64_e32 vcc, s[12:13], v[142:143]
	v_mov_b32_e32 v158, 0
	v_mov_b32_e32 v137, 0
	;; [unrolled: 1-line block ×3, first 2 shown]
	s_and_saveexec_b64 s[0:1], vcc
	s_cbranch_execz .LBB153_198
; %bb.197:                              ;   in Loop: Header=BB153_149 Depth=1
	v_accvgpr_read_b32 v142, a44
	v_add_co_u32_e32 v142, vcc, v142, v132
	v_accvgpr_read_b32 v137, a43
	v_addc_co_u32_e32 v143, vcc, v137, v133, vcc
	global_load_dword v137, v[142:143], off
	v_accvgpr_read_b32 v142, a46
	v_add_co_u32_e32 v142, vcc, v142, v132
	v_accvgpr_read_b32 v141, a45
	v_addc_co_u32_e32 v143, vcc, v141, v133, vcc
	global_load_dword v141, v[142:143], off
.LBB153_198:                            ;   in Loop: Header=BB153_149 Depth=1
	s_or_b64 exec, exec, s[0:1]
	v_add_co_u32_e32 v142, vcc, 22, v134
	v_addc_co_u32_e32 v143, vcc, 0, v135, vcc
	v_cmp_gt_i64_e32 vcc, s[12:13], v[142:143]
	v_mov_b32_e32 v144, 0
	s_and_saveexec_b64 s[0:1], vcc
	s_cbranch_execz .LBB153_200
; %bb.199:                              ;   in Loop: Header=BB153_149 Depth=1
	v_accvgpr_read_b32 v142, a40
	v_add_co_u32_e32 v142, vcc, v142, v132
	v_accvgpr_read_b32 v143, a39
	v_addc_co_u32_e32 v143, vcc, v143, v133, vcc
	global_load_dword v158, v[142:143], off
	v_accvgpr_read_b32 v142, a42
	v_add_co_u32_e32 v142, vcc, v142, v132
	v_accvgpr_read_b32 v143, a41
	v_addc_co_u32_e32 v143, vcc, v143, v133, vcc
	global_load_dword v144, v[142:143], off
.LBB153_200:                            ;   in Loop: Header=BB153_149 Depth=1
	s_or_b64 exec, exec, s[0:1]
	v_add_co_u32_e32 v142, vcc, 23, v134
	v_addc_co_u32_e32 v143, vcc, 0, v135, vcc
	v_cmp_gt_i64_e32 vcc, s[12:13], v[142:143]
	v_mov_b32_e32 v142, 0
	v_mov_b32_e32 v159, 0
	v_mov_b32_e32 v145, 0
	s_and_saveexec_b64 s[0:1], vcc
	s_cbranch_execz .LBB153_202
; %bb.201:                              ;   in Loop: Header=BB153_149 Depth=1
	v_accvgpr_read_b32 v146, a36
	v_add_co_u32_e32 v146, vcc, v146, v132
	v_accvgpr_read_b32 v143, a35
	v_addc_co_u32_e32 v147, vcc, v143, v133, vcc
	global_load_dword v159, v[146:147], off
	v_accvgpr_read_b32 v146, a38
	v_add_co_u32_e32 v146, vcc, v146, v132
	v_accvgpr_read_b32 v143, a37
	v_addc_co_u32_e32 v147, vcc, v143, v133, vcc
	global_load_dword v145, v[146:147], off
.LBB153_202:                            ;   in Loop: Header=BB153_149 Depth=1
	s_or_b64 exec, exec, s[0:1]
	v_add_co_u32_e32 v146, vcc, 24, v134
	v_addc_co_u32_e32 v147, vcc, 0, v135, vcc
	v_cmp_gt_i64_e32 vcc, s[12:13], v[146:147]
	v_mov_b32_e32 v148, 0
	s_and_saveexec_b64 s[0:1], vcc
	s_cbranch_execz .LBB153_204
; %bb.203:                              ;   in Loop: Header=BB153_149 Depth=1
	v_accvgpr_read_b32 v142, a32
	v_add_co_u32_e32 v142, vcc, v142, v132
	v_accvgpr_read_b32 v143, a31
	v_addc_co_u32_e32 v143, vcc, v143, v133, vcc
	v_accvgpr_read_b32 v146, a34
	global_load_dword v142, v[142:143], off
	v_add_co_u32_e32 v146, vcc, v146, v132
	v_accvgpr_read_b32 v143, a33
	v_addc_co_u32_e32 v147, vcc, v143, v133, vcc
	global_load_dword v148, v[146:147], off
.LBB153_204:                            ;   in Loop: Header=BB153_149 Depth=1
	s_or_b64 exec, exec, s[0:1]
	v_add_co_u32_e32 v146, vcc, 25, v134
	v_addc_co_u32_e32 v147, vcc, 0, v135, vcc
	v_cmp_gt_i64_e32 vcc, s[12:13], v[146:147]
	v_mov_b32_e32 v146, 0
	v_mov_b32_e32 v143, 0
	v_mov_b32_e32 v149, 0
	s_and_saveexec_b64 s[0:1], vcc
	s_cbranch_execz .LBB153_206
; %bb.205:                              ;   in Loop: Header=BB153_149 Depth=1
	v_accvgpr_read_b32 v150, a28
	v_add_co_u32_e32 v150, vcc, v150, v132
	v_accvgpr_read_b32 v143, a27
	v_addc_co_u32_e32 v151, vcc, v143, v133, vcc
	global_load_dword v143, v[150:151], off
	v_accvgpr_read_b32 v150, a30
	v_add_co_u32_e32 v150, vcc, v150, v132
	v_accvgpr_read_b32 v147, a29
	v_addc_co_u32_e32 v151, vcc, v147, v133, vcc
	global_load_dword v149, v[150:151], off
.LBB153_206:                            ;   in Loop: Header=BB153_149 Depth=1
	s_or_b64 exec, exec, s[0:1]
	v_add_co_u32_e32 v150, vcc, 26, v134
	v_addc_co_u32_e32 v151, vcc, 0, v135, vcc
	v_cmp_gt_i64_e32 vcc, s[12:13], v[150:151]
	v_mov_b32_e32 v152, 0
	s_and_saveexec_b64 s[0:1], vcc
	s_cbranch_execz .LBB153_208
; %bb.207:                              ;   in Loop: Header=BB153_149 Depth=1
	v_accvgpr_read_b32 v146, a24
	v_add_co_u32_e32 v146, vcc, v146, v132
	v_accvgpr_read_b32 v147, a23
	v_addc_co_u32_e32 v147, vcc, v147, v133, vcc
	v_accvgpr_read_b32 v150, a26
	global_load_dword v146, v[146:147], off
	v_add_co_u32_e32 v150, vcc, v150, v132
	v_accvgpr_read_b32 v147, a25
	v_addc_co_u32_e32 v151, vcc, v147, v133, vcc
	global_load_dword v152, v[150:151], off
.LBB153_208:                            ;   in Loop: Header=BB153_149 Depth=1
	;; [unrolled: 40-line block ×3, first 2 shown]
	s_or_b64 exec, exec, s[0:1]
	v_add_co_u32_e32 v196, vcc, 29, v134
	v_addc_co_u32_e32 v197, vcc, 0, v135, vcc
	v_cmp_gt_i64_e32 vcc, s[12:13], v[196:197]
	v_mov_b32_e32 v196, 0
	v_mov_b32_e32 v151, 0
	;; [unrolled: 1-line block ×3, first 2 shown]
	s_and_saveexec_b64 s[0:1], vcc
	s_cbranch_execz .LBB153_214
; %bb.213:                              ;   in Loop: Header=BB153_149 Depth=1
	v_accvgpr_read_b32 v198, a12
	v_add_co_u32_e32 v198, vcc, v198, v132
	v_accvgpr_read_b32 v151, a11
	v_addc_co_u32_e32 v199, vcc, v151, v133, vcc
	global_load_dword v151, v[198:199], off
	v_accvgpr_read_b32 v198, a14
	v_add_co_u32_e32 v198, vcc, v198, v132
	v_accvgpr_read_b32 v155, a13
	v_addc_co_u32_e32 v199, vcc, v155, v133, vcc
	global_load_dword v155, v[198:199], off
.LBB153_214:                            ;   in Loop: Header=BB153_149 Depth=1
	s_or_b64 exec, exec, s[0:1]
	v_add_co_u32_e32 v198, vcc, 30, v134
	v_addc_co_u32_e32 v199, vcc, 0, v135, vcc
	v_cmp_gt_i64_e32 vcc, s[12:13], v[198:199]
	v_mov_b32_e32 v193, 0
	s_and_saveexec_b64 s[0:1], vcc
	s_cbranch_execz .LBB153_216
; %bb.215:                              ;   in Loop: Header=BB153_149 Depth=1
	v_accvgpr_read_b32 v196, a8
	v_add_co_u32_e32 v196, vcc, v196, v132
	v_accvgpr_read_b32 v157, a7
	v_addc_co_u32_e32 v197, vcc, v157, v133, vcc
	v_accvgpr_read_b32 v198, a10
	v_add_co_u32_e32 v198, vcc, v198, v132
	v_accvgpr_read_b32 v157, a9
	v_addc_co_u32_e32 v199, vcc, v157, v133, vcc
	global_load_dword v196, v[196:197], off
	s_nop 0
	global_load_dword v193, v[198:199], off
.LBB153_216:                            ;   in Loop: Header=BB153_149 Depth=1
	s_or_b64 exec, exec, s[0:1]
	v_add_co_u32_e32 v198, vcc, 31, v134
	v_addc_co_u32_e32 v199, vcc, 0, v135, vcc
	v_cmp_gt_i64_e32 vcc, s[12:13], v[198:199]
	v_mov_b32_e32 v157, 0
	s_and_saveexec_b64 s[0:1], vcc
	s_cbranch_execz .LBB153_218
; %bb.217:                              ;   in Loop: Header=BB153_149 Depth=1
	v_accvgpr_read_b32 v198, a4
	v_add_co_u32_e32 v198, vcc, v198, v132
	v_accvgpr_read_b32 v157, a3
	v_addc_co_u32_e32 v199, vcc, v157, v133, vcc
	global_load_dword v157, v[198:199], off
	v_accvgpr_read_b32 v198, a6
	v_add_co_u32_e32 v198, vcc, v198, v132
	v_accvgpr_read_b32 v197, a5
	v_addc_co_u32_e32 v199, vcc, v197, v133, vcc
	global_load_dword v197, v[198:199], off
	s_waitcnt vmcnt(0)
	v_mul_f32_e32 v157, v157, v197
.LBB153_218:                            ;   in Loop: Header=BB153_149 Depth=1
	s_or_b64 exec, exec, s[0:1]
	s_waitcnt vmcnt(0)
	ds_bpermute_b32 v197, v0, v139
	v_accvgpr_read_b32 v198, a74            ;  Reload Reuse
	v_mul_f32_e32 v156, v198, v156
	v_mul_f32_e32 v131, v131, v255
	;; [unrolled: 1-line block ×3, first 2 shown]
	s_waitcnt lgkmcnt(0)
	v_fma_f32 v156, v156, v197, v138
	ds_bpermute_b32 v197, v0, v139 offset:4
	v_mul_f32_e32 v126, v126, v172
	v_pk_mul_f32 v[136:137], v[136:137], v[140:141]
	v_pk_mul_f32 v[140:141], v[158:159], v[144:145]
	s_waitcnt lgkmcnt(0)
	v_fmac_f32_e32 v156, v131, v197
	ds_bpermute_b32 v131, v0, v139 offset:8
	s_waitcnt lgkmcnt(0)
	v_fmac_f32_e32 v156, v129, v131
	ds_bpermute_b32 v129, v0, v139 offset:12
	v_mul_f32_e32 v131, v164, v161
	ds_bpermute_b32 v161, v0, v139 offset:84
	s_waitcnt lgkmcnt(1)
	v_fmac_f32_e32 v156, v131, v129
	ds_bpermute_b32 v129, v0, v139 offset:16
	v_mul_f32_e32 v131, v160, v163
	;; [unrolled: 5-line block ×3, first 2 shown]
	s_waitcnt lgkmcnt(1)
	v_pk_mul_f32 v[136:137], v[136:137], v[160:161]
	s_waitcnt lgkmcnt(0)
	v_fmac_f32_e32 v156, v131, v129
	ds_bpermute_b32 v129, v0, v139 offset:24
	v_mul_f32_e32 v131, v166, v167
	s_waitcnt lgkmcnt(0)
	v_fmac_f32_e32 v156, v131, v129
	ds_bpermute_b32 v129, v0, v139 offset:28
	s_waitcnt lgkmcnt(0)
	v_fmac_f32_e32 v156, v126, v129
	ds_bpermute_b32 v126, v0, v139 offset:32
	v_mul_f32_e32 v129, v170, v174
	s_waitcnt lgkmcnt(0)
	v_fmac_f32_e32 v156, v129, v126
	ds_bpermute_b32 v126, v0, v139 offset:36
	v_mul_f32_e32 v129, v171, v176
	;; [unrolled: 4-line block ×12, first 2 shown]
	s_waitcnt lgkmcnt(0)
	v_fmac_f32_e32 v156, v129, v126
	v_add_f32_e32 v126, v156, v136
	v_add_f32_e32 v126, v126, v137
	ds_bpermute_b32 v136, v0, v139 offset:88
	ds_bpermute_b32 v137, v0, v139 offset:92
	v_mul_f32_e32 v156, v196, v193
	s_waitcnt lgkmcnt(0)
	v_pk_mul_f32 v[136:137], v[140:141], v[136:137]
	v_add_f32_e32 v126, v126, v136
	v_add_f32_e32 v126, v126, v137
	ds_bpermute_b32 v136, v0, v139 offset:96
	ds_bpermute_b32 v137, v0, v139 offset:100
	v_pk_mul_f32 v[140:141], v[142:143], v[148:149]
	s_waitcnt lgkmcnt(0)
	v_pk_mul_f32 v[136:137], v[140:141], v[136:137]
	v_add_f32_e32 v126, v126, v136
	v_add_f32_e32 v126, v126, v137
	ds_bpermute_b32 v136, v0, v139 offset:104
	ds_bpermute_b32 v137, v0, v139 offset:108
	v_pk_mul_f32 v[140:141], v[146:147], v[152:153]
	;; [unrolled: 7-line block ×3, first 2 shown]
	s_waitcnt lgkmcnt(0)
	v_pk_mul_f32 v[136:137], v[140:141], v[136:137]
	v_add_f32_e32 v126, v126, v136
	v_add_f32_e32 v126, v126, v137
	ds_bpermute_b32 v136, v0, v139 offset:120
	ds_bpermute_b32 v137, v0, v139 offset:124
	s_waitcnt lgkmcnt(0)
	v_pk_mul_f32 v[136:137], v[156:157], v[136:137]
	v_add_f32_e32 v126, v126, v136
	v_add_f32_e32 v139, v126, v137
	s_branch .LBB153_225
.LBB153_219:                            ;   in Loop: Header=BB153_149 Depth=1
                                        ; implicit-def: $vgpr139
	s_cbranch_execz .LBB153_225
; %bb.220:                              ;   in Loop: Header=BB153_149 Depth=1
	s_load_dword s0, s[10:11], 0x0
	v_accvgpr_read_b32 v129, a73
	v_accvgpr_read_b32 v131, a72
	s_waitcnt lgkmcnt(0)
	s_cmp_lt_u32 s6, s0
	s_cselect_b32 s0, 12, 18
	s_add_u32 s0, s10, s0
	s_addc_u32 s1, s11, 0
	global_load_ushort v126, v129, s[0:1]
	v_accvgpr_read_b32 v129, a1
	s_waitcnt vmcnt(0)
	v_mad_u32_u24 v126, v129, v126, v131
	v_and_b32_e32 v129, 63, v126
	v_cmp_gt_u32_e32 vcc, 32, v129
	v_mov_b32_e32 v126, 0
	s_and_saveexec_b64 s[0:1], vcc
	s_cbranch_execz .LBB153_224
; %bb.221:                              ;   in Loop: Header=BB153_149 Depth=1
	v_add_co_u32_e32 v134, vcc, v134, v129
	v_addc_co_u32_e32 v135, vcc, 0, v135, vcc
	v_cmp_gt_i64_e32 vcc, s[12:13], v[134:135]
	v_mov_b32_e32 v126, 0
	s_and_saveexec_b64 s[26:27], vcc
	s_cbranch_execz .LBB153_223
; %bb.222:                              ;   in Loop: Header=BB153_149 Depth=1
	v_lshlrev_b64 v[134:135], 2, v[134:135]
	v_mov_b32_e32 v126, s21
	v_add_co_u32_e32 v134, vcc, s20, v134
	v_addc_co_u32_e32 v135, vcc, v126, v135, vcc
	global_load_dword v126, v[134:135], off
.LBB153_223:                            ;   in Loop: Header=BB153_149 Depth=1
	s_or_b64 exec, exec, s[26:27]
.LBB153_224:                            ;   in Loop: Header=BB153_149 Depth=1
	s_or_b64 exec, exec, s[0:1]
	v_add_co_u32_e32 v134, vcc, v128, v132
	v_addc_co_u32_e32 v135, vcc, v1, v133, vcc
	global_load_dword v129, v[134:135], off
	v_add_co_u32_e32 v134, vcc, v130, v132
	v_addc_co_u32_e32 v135, vcc, v127, v133, vcc
	global_load_dword v131, v[134:135], off
	;; [unrolled: 3-line block ×60, first 2 shown]
	v_add_co_u32_e32 v134, vcc, v118, v132
	v_addc_co_u32_e32 v135, vcc, v119, v133, vcc
	v_add_co_u32_e32 v136, vcc, v120, v132
	v_addc_co_u32_e32 v137, vcc, v121, v133, vcc
	;; [unrolled: 2-line block ×3, first 2 shown]
	global_load_dword v134, v[134:135], off
	s_waitcnt vmcnt(59)
	v_mul_f32_e32 v129, v129, v131
	global_load_dword v135, v[160:161], off
	v_add_co_u32_e32 v160, vcc, v124, v132
	v_addc_co_u32_e32 v161, vcc, v125, v133, vcc
	global_load_dword v136, v[136:137], off
	s_waitcnt vmcnt(59)
	v_mul_f32_e32 v131, v139, v162
	global_load_dword v137, v[160:161], off
	ds_bpermute_b32 v160, v0, v126
	ds_bpermute_b32 v161, v0, v126 offset:84
	s_waitcnt vmcnt(20)
	v_pk_mul_f32 v[154:155], v[154:155], v[156:157]
	ds_bpermute_b32 v139, v0, v126 offset:92
	s_waitcnt vmcnt(16)
	v_pk_mul_f32 v[146:147], v[146:147], v[150:151]
	s_waitcnt lgkmcnt(2)
	v_fmac_f32_e32 v138, v129, v160
	ds_bpermute_b32 v129, v0, v126 offset:4
	ds_bpermute_b32 v160, v0, v126 offset:80
	s_waitcnt lgkmcnt(1)
	v_fmac_f32_e32 v138, v131, v129
	ds_bpermute_b32 v129, v0, v126 offset:8
	v_mul_f32_e32 v131, v163, v164
	s_waitcnt lgkmcnt(1)
	v_pk_mul_f32 v[154:155], v[154:155], v[160:161]
	s_waitcnt lgkmcnt(0)
	v_fmac_f32_e32 v138, v131, v129
	ds_bpermute_b32 v129, v0, v126 offset:12
	v_mul_f32_e32 v131, v165, v166
	s_waitcnt lgkmcnt(0)
	v_fmac_f32_e32 v138, v131, v129
	ds_bpermute_b32 v129, v0, v126 offset:16
	v_mul_f32_e32 v131, v167, v168
	;; [unrolled: 4-line block ×4, first 2 shown]
	s_waitcnt vmcnt(8)
	v_pk_mul_f32 v[142:143], v[158:159], v[142:143]
	s_waitcnt lgkmcnt(0)
	v_fmac_f32_e32 v138, v131, v129
	ds_bpermute_b32 v129, v0, v126 offset:28
	v_mul_f32_e32 v131, v173, v174
	s_waitcnt lgkmcnt(0)
	v_fmac_f32_e32 v138, v131, v129
	ds_bpermute_b32 v129, v0, v126 offset:32
	v_mul_f32_e32 v131, v175, v176
	;; [unrolled: 4-line block ×3, first 2 shown]
	s_waitcnt vmcnt(4)
	v_pk_mul_f32 v[140:141], v[140:141], v[144:145]
	s_waitcnt lgkmcnt(0)
	v_fmac_f32_e32 v138, v131, v129
	ds_bpermute_b32 v129, v0, v126 offset:40
	v_mul_f32_e32 v131, v179, v180
	s_waitcnt lgkmcnt(0)
	v_fmac_f32_e32 v138, v131, v129
	ds_bpermute_b32 v129, v0, v126 offset:44
	v_mul_f32_e32 v131, v181, v182
	;; [unrolled: 4-line block ×4, first 2 shown]
	s_waitcnt vmcnt(0)
	v_pk_mul_f32 v[134:135], v[134:135], v[136:137]
	s_waitcnt lgkmcnt(0)
	v_fmac_f32_e32 v138, v131, v129
	ds_bpermute_b32 v129, v0, v126 offset:56
	v_mul_f32_e32 v131, v187, v188
	s_waitcnt lgkmcnt(0)
	v_fmac_f32_e32 v138, v131, v129
	ds_bpermute_b32 v129, v0, v126 offset:60
	v_mul_f32_e32 v131, v189, v190
	;; [unrolled: 4-line block ×6, first 2 shown]
	s_waitcnt lgkmcnt(0)
	v_fmac_f32_e32 v138, v131, v129
	v_add_f32_e32 v129, v138, v154
	ds_bpermute_b32 v138, v0, v126 offset:88
	v_add_f32_e32 v129, v129, v155
	s_waitcnt lgkmcnt(0)
	v_pk_mul_f32 v[138:139], v[146:147], v[138:139]
	v_add_f32_e32 v129, v129, v138
	v_add_f32_e32 v129, v129, v139
	ds_bpermute_b32 v138, v0, v126 offset:96
	ds_bpermute_b32 v139, v0, v126 offset:100
	v_pk_mul_f32 v[146:147], v[148:149], v[152:153]
	s_waitcnt lgkmcnt(0)
	v_pk_mul_f32 v[138:139], v[146:147], v[138:139]
	v_add_f32_e32 v129, v129, v138
	v_add_f32_e32 v129, v129, v139
	ds_bpermute_b32 v138, v0, v126 offset:104
	ds_bpermute_b32 v139, v0, v126 offset:108
	s_waitcnt lgkmcnt(0)
	v_pk_mul_f32 v[138:139], v[142:143], v[138:139]
	v_add_f32_e32 v129, v129, v138
	v_add_f32_e32 v129, v129, v139
	ds_bpermute_b32 v138, v0, v126 offset:112
	ds_bpermute_b32 v139, v0, v126 offset:116
	;; [unrolled: 6-line block ×3, first 2 shown]
	s_waitcnt lgkmcnt(0)
	v_pk_mul_f32 v[134:135], v[134:135], v[138:139]
	v_add_f32_e32 v126, v129, v134
	v_add_f32_e32 v139, v126, v135
.LBB153_225:                            ;   in Loop: Header=BB153_149 Depth=1
	v_accvgpr_read_b32 v126, a2
	v_add_co_u32_e32 v126, vcc, s7, v126
	v_accvgpr_write_b32 a2, v126
	v_mov_b32_e32 v126, s9
	v_addc_co_u32_e32 v253, vcc, v253, v126, vcc
	v_add_co_u32_e32 v2, vcc, s16, v2
	v_mov_b32_e32 v126, s17
	v_addc_co_u32_e32 v3, vcc, v3, v126, vcc
	v_add_co_u32_e32 v4, vcc, s16, v4
	v_addc_co_u32_e32 v5, vcc, v5, v126, vcc
	v_add_co_u32_e32 v6, vcc, s16, v6
	;; [unrolled: 2-line block ×63, first 2 shown]
	v_addc_co_u32_e32 v127, vcc, v127, v126, vcc
	v_accvgpr_read_b32 v134, a4
	v_add_co_u32_e32 v134, vcc, s16, v134
	v_accvgpr_read_b32 v129, a3
	v_accvgpr_write_b32 a4, v134
	v_addc_co_u32_e32 v129, vcc, v129, v126, vcc
	v_accvgpr_read_b32 v134, a6
	v_accvgpr_write_b32 a3, v129
	v_add_co_u32_e32 v134, vcc, s16, v134
	v_accvgpr_read_b32 v129, a5
	v_accvgpr_write_b32 a6, v134
	v_addc_co_u32_e32 v129, vcc, v129, v126, vcc
	v_accvgpr_read_b32 v134, a8
	v_accvgpr_write_b32 a5, v129
	;; [unrolled: 6-line block ×32, first 2 shown]
	v_add_co_u32_e32 v134, vcc, s16, v134
	v_accvgpr_read_b32 v129, a67
	v_accvgpr_write_b32 a68, v134
	v_addc_co_u32_e32 v129, vcc, v129, v126, vcc
	v_accvgpr_read_b32 v134, a70
	v_add_co_u32_e32 v134, vcc, s16, v134
	v_addc_co_u32_e32 v195, vcc, v195, v126, vcc
	v_accvgpr_write_b32 a67, v129
	v_add_co_u32_e32 v200, vcc, s16, v200
	v_accvgpr_read_b32 v129, a69
	v_addc_co_u32_e32 v129, vcc, v129, v126, vcc
	v_accvgpr_write_b32 a69, v129
	v_add_co_u32_e32 v202, vcc, s16, v202
	v_accvgpr_read_b32 v129, a71
	v_addc_co_u32_e32 v129, vcc, v129, v126, vcc
	v_add_co_u32_e32 v204, vcc, s16, v204
	v_addc_co_u32_e32 v201, vcc, v201, v126, vcc
	v_add_co_u32_e32 v206, vcc, s16, v206
	;; [unrolled: 2-line block ×25, first 2 shown]
	v_addc_co_u32_e32 v249, vcc, v249, v126, vcc
	s_add_u32 s24, s24, s7
	v_add_co_u32_e32 v254, vcc, s16, v254
	s_addc_u32 s25, s25, 0
	v_accvgpr_write_b32 a70, v134
	v_addc_co_u32_e32 v251, vcc, v251, v126, vcc
	v_pk_mov_b32 v[134:135], s[12:13], s[12:13] op_sel:[0,1]
	s_add_u32 s18, s18, s7
	v_cmp_ge_i64_e32 vcc, s[24:25], v[134:135]
	s_addc_u32 s19, s19, 0
	s_cbranch_vccnz .LBB153_227
; %bb.226:                              ;   in Loop: Header=BB153_149 Depth=1
	v_accvgpr_write_b32 a71, v129
	v_mov_b32_e32 v138, v139
	s_branch .LBB153_149
.LBB153_227:
	v_accvgpr_read_b32 v253, a0
.LBB153_228:
	s_mov_b32 s7, 0
	s_lshl_b64 s[0:1], s[6:7], 5
	v_and_b32_e32 v0, 0x3ff, v253
	v_or_b32_e32 v2, s0, v0
	v_mov_b32_e32 v3, s1
	s_waitcnt lgkmcnt(0)
	s_cmp_lg_u64 s[2:3], 0
	v_cmp_gt_i64_e32 vcc, s[14:15], v[2:3]
	s_cselect_b64 s[0:1], -1, 0
	s_and_b64 s[0:1], vcc, s[0:1]
	s_and_saveexec_b64 s[6:7], s[0:1]
	s_cbranch_execz .LBB153_230
; %bb.229:
	s_load_dword s0, s[4:5], 0x4c
	v_bfe_u32 v0, v253, 10, 10
	v_mov_b32_e32 v1, 0
	v_mov_b32_e32 v4, s8
	s_waitcnt lgkmcnt(0)
	s_lshr_b32 s0, s0, 16
	v_mad_u64_u32 v[0:1], s[0:1], s0, v4, v[0:1]
	v_mul_lo_u32 v4, v1, s14
	v_mul_lo_u32 v5, v0, s15
	v_mad_u64_u32 v[0:1], s[0:1], v0, s14, 0
	v_add3_u32 v1, v1, v5, v4
	v_lshlrev_b64 v[0:1], 2, v[0:1]
	v_mov_b32_e32 v4, s3
	v_add_co_u32_e32 v5, vcc, s2, v0
	v_addc_co_u32_e32 v4, vcc, v4, v1, vcc
	v_lshlrev_b64 v[0:1], 2, v[2:3]
	v_add_co_u32_e32 v0, vcc, v5, v0
	v_addc_co_u32_e32 v1, vcc, v4, v1, vcc
	global_store_dword v[0:1], v139, off
.LBB153_230:
	s_endpgm
	.section	.rodata,"a",@progbits
	.p2align	6, 0x0
	.amdhsa_kernel _ZN2at6native12_GLOBAL__N_135GammaBetaBackwardCUDAKernelTemplateIffLj32ELj1ELj32ELb1ELb0ELb1EEEvllPKT_S5_PKT0_S8_PS3_S9_
		.amdhsa_group_segment_fixed_size 0
		.amdhsa_private_segment_fixed_size 0
		.amdhsa_kernarg_size 320
		.amdhsa_user_sgpr_count 6
		.amdhsa_user_sgpr_private_segment_buffer 1
		.amdhsa_user_sgpr_dispatch_ptr 0
		.amdhsa_user_sgpr_queue_ptr 0
		.amdhsa_user_sgpr_kernarg_segment_ptr 1
		.amdhsa_user_sgpr_dispatch_id 0
		.amdhsa_user_sgpr_flat_scratch_init 0
		.amdhsa_user_sgpr_kernarg_preload_length 0
		.amdhsa_user_sgpr_kernarg_preload_offset 0
		.amdhsa_user_sgpr_private_segment_size 0
		.amdhsa_uses_dynamic_stack 0
		.amdhsa_system_sgpr_private_segment_wavefront_offset 0
		.amdhsa_system_sgpr_workgroup_id_x 1
		.amdhsa_system_sgpr_workgroup_id_y 1
		.amdhsa_system_sgpr_workgroup_id_z 0
		.amdhsa_system_sgpr_workgroup_info 0
		.amdhsa_system_vgpr_workitem_id 1
		.amdhsa_next_free_vgpr 331
		.amdhsa_next_free_sgpr 36
		.amdhsa_accum_offset 256
		.amdhsa_reserve_vcc 1
		.amdhsa_reserve_flat_scratch 0
		.amdhsa_float_round_mode_32 0
		.amdhsa_float_round_mode_16_64 0
		.amdhsa_float_denorm_mode_32 3
		.amdhsa_float_denorm_mode_16_64 3
		.amdhsa_dx10_clamp 1
		.amdhsa_ieee_mode 1
		.amdhsa_fp16_overflow 0
		.amdhsa_tg_split 0
		.amdhsa_exception_fp_ieee_invalid_op 0
		.amdhsa_exception_fp_denorm_src 0
		.amdhsa_exception_fp_ieee_div_zero 0
		.amdhsa_exception_fp_ieee_overflow 0
		.amdhsa_exception_fp_ieee_underflow 0
		.amdhsa_exception_fp_ieee_inexact 0
		.amdhsa_exception_int_div_zero 0
	.end_amdhsa_kernel
	.section	.text._ZN2at6native12_GLOBAL__N_135GammaBetaBackwardCUDAKernelTemplateIffLj32ELj1ELj32ELb1ELb0ELb1EEEvllPKT_S5_PKT0_S8_PS3_S9_,"axG",@progbits,_ZN2at6native12_GLOBAL__N_135GammaBetaBackwardCUDAKernelTemplateIffLj32ELj1ELj32ELb1ELb0ELb1EEEvllPKT_S5_PKT0_S8_PS3_S9_,comdat
.Lfunc_end153:
	.size	_ZN2at6native12_GLOBAL__N_135GammaBetaBackwardCUDAKernelTemplateIffLj32ELj1ELj32ELb1ELb0ELb1EEEvllPKT_S5_PKT0_S8_PS3_S9_, .Lfunc_end153-_ZN2at6native12_GLOBAL__N_135GammaBetaBackwardCUDAKernelTemplateIffLj32ELj1ELj32ELb1ELb0ELb1EEEvllPKT_S5_PKT0_S8_PS3_S9_
                                        ; -- End function
	.section	.AMDGPU.csdata,"",@progbits
; Kernel info:
; codeLenInByte = 21204
; NumSgprs: 40
; NumVgprs: 256
; NumAgprs: 75
; TotalNumVgprs: 331
; ScratchSize: 0
; MemoryBound: 0
; FloatMode: 240
; IeeeMode: 1
; LDSByteSize: 0 bytes/workgroup (compile time only)
; SGPRBlocks: 4
; VGPRBlocks: 41
; NumSGPRsForWavesPerEU: 40
; NumVGPRsForWavesPerEU: 331
; AccumOffset: 256
; Occupancy: 1
; WaveLimiterHint : 0
; COMPUTE_PGM_RSRC2:SCRATCH_EN: 0
; COMPUTE_PGM_RSRC2:USER_SGPR: 6
; COMPUTE_PGM_RSRC2:TRAP_HANDLER: 0
; COMPUTE_PGM_RSRC2:TGID_X_EN: 1
; COMPUTE_PGM_RSRC2:TGID_Y_EN: 1
; COMPUTE_PGM_RSRC2:TGID_Z_EN: 0
; COMPUTE_PGM_RSRC2:TIDIG_COMP_CNT: 1
; COMPUTE_PGM_RSRC3_GFX90A:ACCUM_OFFSET: 63
; COMPUTE_PGM_RSRC3_GFX90A:TG_SPLIT: 0
	.section	.text._ZN2at6native12_GLOBAL__N_135GammaBetaBackwardCUDAKernelTemplateIffLj32ELj1ELj8ELb1ELb1ELb1EEEvllPKT_S5_PKT0_S8_PS3_S9_,"axG",@progbits,_ZN2at6native12_GLOBAL__N_135GammaBetaBackwardCUDAKernelTemplateIffLj32ELj1ELj8ELb1ELb1ELb1EEEvllPKT_S5_PKT0_S8_PS3_S9_,comdat
	.globl	_ZN2at6native12_GLOBAL__N_135GammaBetaBackwardCUDAKernelTemplateIffLj32ELj1ELj8ELb1ELb1ELb1EEEvllPKT_S5_PKT0_S8_PS3_S9_ ; -- Begin function _ZN2at6native12_GLOBAL__N_135GammaBetaBackwardCUDAKernelTemplateIffLj32ELj1ELj8ELb1ELb1ELb1EEEvllPKT_S5_PKT0_S8_PS3_S9_
	.p2align	8
	.type	_ZN2at6native12_GLOBAL__N_135GammaBetaBackwardCUDAKernelTemplateIffLj32ELj1ELj8ELb1ELb1ELb1EEEvllPKT_S5_PKT0_S8_PS3_S9_,@function
_ZN2at6native12_GLOBAL__N_135GammaBetaBackwardCUDAKernelTemplateIffLj32ELj1ELj8ELb1ELb1ELb1EEEvllPKT_S5_PKT0_S8_PS3_S9_: ; @_ZN2at6native12_GLOBAL__N_135GammaBetaBackwardCUDAKernelTemplateIffLj32ELj1ELj8ELb1ELb1ELb1EEEvllPKT_S5_PKT0_S8_PS3_S9_
; %bb.0:
	s_load_dwordx4 s[8:11], s[4:5], 0x0
	s_load_dwordx2 s[16:17], s[4:5], 0x30
	s_lshl_b32 s18, s7, 3
	s_mov_b32 s19, 0
	s_mov_b32 s2, s7
	s_waitcnt lgkmcnt(0)
	v_pk_mov_b32 v[2:3], s[8:9], s[8:9] op_sel:[0,1]
	v_cmp_ge_i64_e32 vcc, s[18:19], v[2:3]
	v_mov_b32_e32 v5, 0
	v_bfe_u32 v2, v0, 10, 10
	s_cbranch_vccnz .LBB154_7
; %bb.1:
	s_load_dword s0, s[4:5], 0x4c
	s_load_dword s3, s[4:5], 0x44
	s_load_dwordx4 s[12:15], s[4:5], 0x10
	s_load_dwordx2 s[22:23], s[4:5], 0x28
	v_and_b32_e32 v1, 0x3ff, v0
	s_waitcnt lgkmcnt(0)
	s_and_b32 s0, s0, 0xffff
	v_mad_u32_u24 v3, v2, s0, v1
	v_lshl_or_b32 v4, s6, 5, v1
	v_mbcnt_lo_u32_b32 v1, -1, 0
	v_mbcnt_hi_u32_b32 v1, -1, v1
	v_lshlrev_b32_e32 v7, 3, v2
	v_lshlrev_b32_e32 v1, 2, v1
	v_and_b32_e32 v6, 63, v3
	v_and_b32_e32 v3, 0x100, v1
	v_mov_b32_e32 v1, s19
	v_add_co_u32_e32 v10, vcc, s18, v7
	v_addc_co_u32_e32 v1, vcc, 0, v1, vcc
	v_cmp_gt_u32_e64 s[0:1], 8, v6
	v_add_co_u32_e32 v6, vcc, v10, v6
	v_addc_co_u32_e32 v7, vcc, 0, v1, vcc
	v_lshlrev_b64 v[8:9], 2, v[6:7]
	v_mov_b32_e32 v11, s23
	v_add_co_u32_e32 v8, vcc, s22, v8
	s_lshl_b32 s20, s3, 3
	v_addc_co_u32_e32 v9, vcc, v11, v9, vcc
	v_mul_lo_u32 v19, s11, v10
	v_mul_lo_u32 v1, s10, v1
	v_mad_u64_u32 v[10:11], s[24:25], s10, v10, 0
	v_mov_b32_e32 v5, 0
	v_add3_u32 v11, v11, v1, v19
	s_mul_i32 s3, s11, s20
	s_mul_hi_u32 s7, s10, s20
	s_mov_b32 s21, s19
	v_lshlrev_b64 v[10:11], 2, v[10:11]
	v_lshlrev_b64 v[20:21], 2, v[4:5]
	s_add_i32 s25, s7, s3
	s_mul_i32 s24, s10, s20
	s_lshl_b64 s[22:23], s[20:21], 2
	v_add_co_u32_e32 v4, vcc, v10, v20
	s_lshl_b64 s[24:25], s[24:25], 2
	s_lshl_b64 s[26:27], s[10:11], 2
	v_or_b32_e32 v12, 4, v3
	v_or_b32_e32 v13, 8, v3
	;; [unrolled: 1-line block ×7, first 2 shown]
	v_addc_co_u32_e32 v1, vcc, v11, v21, vcc
	v_mov_b32_e32 v19, s13
	v_mov_b32_e32 v20, s15
	v_mov_b32_e32 v21, s27
	v_mov_b32_e32 v22, s23
	v_mov_b32_e32 v23, s19
	v_mov_b32_e32 v24, s25
	v_pk_mov_b32 v[10:11], s[8:9], s[8:9] op_sel:[0,1]
	s_branch .LBB154_4
.LBB154_2:                              ;   in Loop: Header=BB154_4 Depth=1
	s_or_b64 exec, exec, s[30:31]
.LBB154_3:                              ;   in Loop: Header=BB154_4 Depth=1
	s_or_b64 exec, exec, s[28:29]
	v_add_co_u32_e32 v26, vcc, s12, v4
	v_addc_co_u32_e32 v27, vcc, v19, v1, vcc
	v_add_co_u32_e32 v30, vcc, s14, v4
	v_addc_co_u32_e32 v31, vcc, v20, v1, vcc
	global_load_dword v28, v[26:27], off
	v_add_co_u32_e32 v26, vcc, s26, v26
	v_addc_co_u32_e32 v27, vcc, v27, v21, vcc
	global_load_dword v32, v[30:31], off
	;; [unrolled: 3-line block ×15, first 2 shown]
	global_load_dword v45, v[26:27], off
	s_waitcnt vmcnt(16)
	ds_bpermute_b32 v26, v3, v25
	ds_bpermute_b32 v27, v12, v25
	;; [unrolled: 1-line block ×4, first 2 shown]
	v_add_co_u32_e32 v8, vcc, s22, v8
	v_addc_co_u32_e32 v9, vcc, v9, v22, vcc
	v_add_co_u32_e32 v6, vcc, s20, v6
	v_addc_co_u32_e32 v7, vcc, v7, v23, vcc
	s_add_u32 s18, s18, s20
	v_add_co_u32_e32 v4, vcc, s24, v4
	s_addc_u32 s19, s19, 0
	v_addc_co_u32_e32 v1, vcc, v1, v24, vcc
	v_cmp_lt_i64_e32 vcc, s[18:19], v[10:11]
	s_and_b64 vcc, exec, vcc
	s_waitcnt vmcnt(12)
	v_pk_mul_f32 v[28:29], v[28:29], v[32:33]
	s_waitcnt lgkmcnt(2)
	v_pk_mul_f32 v[26:27], v[28:29], v[26:27]
	v_add_f32_e32 v5, v5, v26
	ds_bpermute_b32 v28, v15, v25
	ds_bpermute_b32 v29, v16, v25
	v_add_f32_e32 v5, v5, v27
	s_waitcnt vmcnt(8)
	v_pk_mul_f32 v[26:27], v[34:35], v[36:37]
	s_waitcnt lgkmcnt(2)
	v_pk_mul_f32 v[26:27], v[26:27], v[30:31]
	v_add_f32_e32 v5, v5, v26
	ds_bpermute_b32 v30, v17, v25
	ds_bpermute_b32 v31, v18, v25
	v_add_f32_e32 v5, v5, v27
	s_waitcnt vmcnt(4)
	v_pk_mul_f32 v[26:27], v[38:39], v[40:41]
	s_waitcnt lgkmcnt(2)
	v_pk_mul_f32 v[26:27], v[26:27], v[28:29]
	v_add_f32_e32 v5, v5, v26
	v_add_f32_e32 v5, v5, v27
	s_waitcnt vmcnt(0)
	v_pk_mul_f32 v[26:27], v[42:43], v[44:45]
	s_waitcnt lgkmcnt(0)
	v_pk_mul_f32 v[26:27], v[26:27], v[30:31]
	v_add_f32_e32 v5, v5, v26
	v_add_f32_e32 v5, v5, v27
	s_cbranch_vccz .LBB154_7
.LBB154_4:                              ; =>This Inner Loop Header: Depth=1
	v_mov_b32_e32 v25, 0
	s_and_saveexec_b64 s[28:29], s[0:1]
	s_cbranch_execz .LBB154_3
; %bb.5:                                ;   in Loop: Header=BB154_4 Depth=1
	v_cmp_gt_i64_e32 vcc, s[8:9], v[6:7]
	v_mov_b32_e32 v25, 0
	s_and_saveexec_b64 s[30:31], vcc
	s_cbranch_execz .LBB154_2
; %bb.6:                                ;   in Loop: Header=BB154_4 Depth=1
	global_load_dword v25, v[8:9], off
	s_branch .LBB154_2
.LBB154_7:
	s_cmp_eq_u64 s[16:17], 0
	s_cbranch_scc1 .LBB154_9
; %bb.8:
	s_load_dword s0, s[4:5], 0x4c
	v_mov_b32_e32 v3, 0
	v_mov_b32_e32 v1, s2
	s_mov_b32 s7, 0
	v_and_b32_e32 v0, 0x3ff, v0
	s_waitcnt lgkmcnt(0)
	s_lshr_b32 s0, s0, 16
	v_mad_u64_u32 v[2:3], s[0:1], s0, v1, v[2:3]
	v_mul_lo_u32 v1, v3, s10
	v_mul_lo_u32 v4, v2, s11
	v_mad_u64_u32 v[2:3], s[0:1], v2, s10, 0
	s_lshl_b64 s[0:1], s[6:7], 7
	v_add3_u32 v3, v3, v4, v1
	s_add_u32 s0, s0, s16
	v_lshlrev_b64 v[2:3], 2, v[2:3]
	s_addc_u32 s1, s1, s17
	v_mov_b32_e32 v1, s1
	v_add_co_u32_e32 v2, vcc, s0, v2
	v_addc_co_u32_e32 v1, vcc, v1, v3, vcc
	v_lshlrev_b32_e32 v0, 2, v0
	v_add_co_u32_e32 v0, vcc, v2, v0
	v_addc_co_u32_e32 v1, vcc, 0, v1, vcc
	global_store_dword v[0:1], v5, off
.LBB154_9:
	s_endpgm
	.section	.rodata,"a",@progbits
	.p2align	6, 0x0
	.amdhsa_kernel _ZN2at6native12_GLOBAL__N_135GammaBetaBackwardCUDAKernelTemplateIffLj32ELj1ELj8ELb1ELb1ELb1EEEvllPKT_S5_PKT0_S8_PS3_S9_
		.amdhsa_group_segment_fixed_size 0
		.amdhsa_private_segment_fixed_size 0
		.amdhsa_kernarg_size 320
		.amdhsa_user_sgpr_count 6
		.amdhsa_user_sgpr_private_segment_buffer 1
		.amdhsa_user_sgpr_dispatch_ptr 0
		.amdhsa_user_sgpr_queue_ptr 0
		.amdhsa_user_sgpr_kernarg_segment_ptr 1
		.amdhsa_user_sgpr_dispatch_id 0
		.amdhsa_user_sgpr_flat_scratch_init 0
		.amdhsa_user_sgpr_kernarg_preload_length 0
		.amdhsa_user_sgpr_kernarg_preload_offset 0
		.amdhsa_user_sgpr_private_segment_size 0
		.amdhsa_uses_dynamic_stack 0
		.amdhsa_system_sgpr_private_segment_wavefront_offset 0
		.amdhsa_system_sgpr_workgroup_id_x 1
		.amdhsa_system_sgpr_workgroup_id_y 1
		.amdhsa_system_sgpr_workgroup_id_z 0
		.amdhsa_system_sgpr_workgroup_info 0
		.amdhsa_system_vgpr_workitem_id 1
		.amdhsa_next_free_vgpr 46
		.amdhsa_next_free_sgpr 32
		.amdhsa_accum_offset 48
		.amdhsa_reserve_vcc 1
		.amdhsa_reserve_flat_scratch 0
		.amdhsa_float_round_mode_32 0
		.amdhsa_float_round_mode_16_64 0
		.amdhsa_float_denorm_mode_32 3
		.amdhsa_float_denorm_mode_16_64 3
		.amdhsa_dx10_clamp 1
		.amdhsa_ieee_mode 1
		.amdhsa_fp16_overflow 0
		.amdhsa_tg_split 0
		.amdhsa_exception_fp_ieee_invalid_op 0
		.amdhsa_exception_fp_denorm_src 0
		.amdhsa_exception_fp_ieee_div_zero 0
		.amdhsa_exception_fp_ieee_overflow 0
		.amdhsa_exception_fp_ieee_underflow 0
		.amdhsa_exception_fp_ieee_inexact 0
		.amdhsa_exception_int_div_zero 0
	.end_amdhsa_kernel
	.section	.text._ZN2at6native12_GLOBAL__N_135GammaBetaBackwardCUDAKernelTemplateIffLj32ELj1ELj8ELb1ELb1ELb1EEEvllPKT_S5_PKT0_S8_PS3_S9_,"axG",@progbits,_ZN2at6native12_GLOBAL__N_135GammaBetaBackwardCUDAKernelTemplateIffLj32ELj1ELj8ELb1ELb1ELb1EEEvllPKT_S5_PKT0_S8_PS3_S9_,comdat
.Lfunc_end154:
	.size	_ZN2at6native12_GLOBAL__N_135GammaBetaBackwardCUDAKernelTemplateIffLj32ELj1ELj8ELb1ELb1ELb1EEEvllPKT_S5_PKT0_S8_PS3_S9_, .Lfunc_end154-_ZN2at6native12_GLOBAL__N_135GammaBetaBackwardCUDAKernelTemplateIffLj32ELj1ELj8ELb1ELb1ELb1EEEvllPKT_S5_PKT0_S8_PS3_S9_
                                        ; -- End function
	.section	.AMDGPU.csdata,"",@progbits
; Kernel info:
; codeLenInByte = 1056
; NumSgprs: 36
; NumVgprs: 46
; NumAgprs: 0
; TotalNumVgprs: 46
; ScratchSize: 0
; MemoryBound: 0
; FloatMode: 240
; IeeeMode: 1
; LDSByteSize: 0 bytes/workgroup (compile time only)
; SGPRBlocks: 4
; VGPRBlocks: 5
; NumSGPRsForWavesPerEU: 36
; NumVGPRsForWavesPerEU: 46
; AccumOffset: 48
; Occupancy: 8
; WaveLimiterHint : 0
; COMPUTE_PGM_RSRC2:SCRATCH_EN: 0
; COMPUTE_PGM_RSRC2:USER_SGPR: 6
; COMPUTE_PGM_RSRC2:TRAP_HANDLER: 0
; COMPUTE_PGM_RSRC2:TGID_X_EN: 1
; COMPUTE_PGM_RSRC2:TGID_Y_EN: 1
; COMPUTE_PGM_RSRC2:TGID_Z_EN: 0
; COMPUTE_PGM_RSRC2:TIDIG_COMP_CNT: 1
; COMPUTE_PGM_RSRC3_GFX90A:ACCUM_OFFSET: 11
; COMPUTE_PGM_RSRC3_GFX90A:TG_SPLIT: 0
	.section	.text._ZN2at6native12_GLOBAL__N_135GammaBetaBackwardCUDAKernelTemplateIffLj32ELj1ELj8ELb1ELb0ELb1EEEvllPKT_S5_PKT0_S8_PS3_S9_,"axG",@progbits,_ZN2at6native12_GLOBAL__N_135GammaBetaBackwardCUDAKernelTemplateIffLj32ELj1ELj8ELb1ELb0ELb1EEEvllPKT_S5_PKT0_S8_PS3_S9_,comdat
	.globl	_ZN2at6native12_GLOBAL__N_135GammaBetaBackwardCUDAKernelTemplateIffLj32ELj1ELj8ELb1ELb0ELb1EEEvllPKT_S5_PKT0_S8_PS3_S9_ ; -- Begin function _ZN2at6native12_GLOBAL__N_135GammaBetaBackwardCUDAKernelTemplateIffLj32ELj1ELj8ELb1ELb0ELb1EEEvllPKT_S5_PKT0_S8_PS3_S9_
	.p2align	8
	.type	_ZN2at6native12_GLOBAL__N_135GammaBetaBackwardCUDAKernelTemplateIffLj32ELj1ELj8ELb1ELb0ELb1EEEvllPKT_S5_PKT0_S8_PS3_S9_,@function
_ZN2at6native12_GLOBAL__N_135GammaBetaBackwardCUDAKernelTemplateIffLj32ELj1ELj8ELb1ELb0ELb1EEEvllPKT_S5_PKT0_S8_PS3_S9_: ; @_ZN2at6native12_GLOBAL__N_135GammaBetaBackwardCUDAKernelTemplateIffLj32ELj1ELj8ELb1ELb0ELb1EEEvllPKT_S5_PKT0_S8_PS3_S9_
; %bb.0:
	s_load_dwordx8 s[12:19], s[4:5], 0x0
	s_load_dwordx2 s[28:29], s[4:5], 0x28
	s_mov_b32 s8, s7
	s_lshl_b32 s7, s6, 5
	s_or_b32 s30, s7, 31
	s_mov_b32 s31, 0
	s_waitcnt lgkmcnt(0)
	v_pk_mov_b32 v[2:3], s[14:15], s[14:15] op_sel:[0,1]
	v_cmp_ge_i64_e32 vcc, s[30:31], v[2:3]
	s_lshl_b32 s30, s8, 3
	v_pk_mov_b32 v[2:3], s[12:13], s[12:13] op_sel:[0,1]
	v_cmp_lt_i64_e64 s[0:1], s[30:31], v[2:3]
	v_cndmask_b32_e64 v1, 0, 1, s[0:1]
	v_cmp_ne_u32_e64 s[0:1], 1, v1
	s_cbranch_vccz .LBB155_49
; %bb.1:
	s_and_b64 vcc, exec, s[0:1]
	v_mov_b32_e32 v4, 0
	s_cbranch_vccnz .LBB155_50
; %bb.2:
	v_and_b32_e32 v61, 0x3ff, v0
	v_bfe_u32 v64, v0, 10, 10
	v_add_u32_e32 v2, s7, v61
	v_mov_b32_e32 v3, 0
	v_lshlrev_b32_e32 v26, 3, v64
	v_cmp_gt_i64_e64 s[2:3], s[14:15], v[2:3]
	v_lshlrev_b64 v[28:29], 2, v[2:3]
	v_mov_b32_e32 v2, s31
	v_add_co_u32_e32 v6, vcc, s30, v26
	v_addc_co_u32_e32 v2, vcc, 0, v2, vcc
	v_add_co_u32_e32 v4, vcc, 7, v6
	v_addc_co_u32_e32 v5, vcc, 0, v2, vcc
	v_mul_lo_u32 v7, s15, v4
	v_mul_lo_u32 v8, s14, v5
	v_mad_u64_u32 v[4:5], s[10:11], s14, v4, 0
	s_load_dword s9, s[4:5], 0x44
	v_add3_u32 v5, v5, v8, v7
	v_lshlrev_b64 v[4:5], 2, v[4:5]
	v_mov_b32_e32 v7, s17
	v_add_co_u32_e32 v30, vcc, s16, v4
	v_addc_co_u32_e32 v27, vcc, v7, v5, vcc
	s_add_u32 s34, s4, 64
	v_mov_b32_e32 v8, s19
	v_add_co_u32_e32 v32, vcc, s18, v4
	s_addc_u32 s35, s5, 0
	s_waitcnt lgkmcnt(0)
	s_lshl_b32 s9, s9, 3
	v_addc_co_u32_e32 v31, vcc, v8, v5, vcc
	s_mul_i32 s10, s15, s9
	s_mul_hi_u32 s11, s14, s9
	v_add_co_u32_e32 v4, vcc, 6, v6
	s_add_i32 s11, s11, s10
	s_mul_i32 s10, s14, s9
	v_addc_co_u32_e32 v5, vcc, 0, v2, vcc
	s_lshl_b64 s[38:39], s[10:11], 2
	v_mul_lo_u32 v9, s15, v4
	v_mul_lo_u32 v10, s14, v5
	v_mad_u64_u32 v[4:5], s[10:11], s14, v4, 0
	v_add3_u32 v5, v5, v10, v9
	v_lshlrev_b64 v[4:5], 2, v[4:5]
	v_add_co_u32_e32 v34, vcc, s16, v4
	v_addc_co_u32_e32 v33, vcc, v7, v5, vcc
	v_add_co_u32_e32 v36, vcc, s18, v4
	v_addc_co_u32_e32 v35, vcc, v8, v5, vcc
	v_add_co_u32_e32 v4, vcc, 5, v6
	v_addc_co_u32_e32 v5, vcc, 0, v2, vcc
	v_mul_lo_u32 v9, s15, v4
	v_mul_lo_u32 v10, s14, v5
	v_mad_u64_u32 v[4:5], s[10:11], s14, v4, 0
	v_add3_u32 v5, v5, v10, v9
	v_lshlrev_b64 v[4:5], 2, v[4:5]
	v_add_co_u32_e32 v38, vcc, s16, v4
	v_addc_co_u32_e32 v37, vcc, v7, v5, vcc
	v_add_co_u32_e32 v40, vcc, s18, v4
	v_addc_co_u32_e32 v39, vcc, v8, v5, vcc
	v_add_co_u32_e32 v4, vcc, 4, v6
	v_addc_co_u32_e32 v5, vcc, 0, v2, vcc
	;; [unrolled: 11-line block ×4, first 2 shown]
	v_mul_lo_u32 v9, s15, v4
	v_mul_lo_u32 v10, s14, v5
	v_mad_u64_u32 v[4:5], s[10:11], s14, v4, 0
	v_add3_u32 v5, v5, v10, v9
	v_lshlrev_b64 v[4:5], 2, v[4:5]
	v_add_co_u32_e32 v50, vcc, s16, v4
	v_addc_co_u32_e32 v49, vcc, v7, v5, vcc
	v_add_co_u32_e32 v52, vcc, s18, v4
	v_addc_co_u32_e32 v51, vcc, v8, v5, vcc
	v_pk_mov_b32 v[4:5], s[14:15], s[14:15] op_sel:[0,1]
	v_mad_u64_u32 v[4:5], s[10:11], s14, v6, v[4:5]
	v_mul_lo_u32 v2, s14, v2
	v_mul_lo_u32 v9, s15, v6
	v_add3_u32 v5, v9, v5, v2
	v_lshlrev_b64 v[4:5], 2, v[4:5]
	v_add_co_u32_e32 v54, vcc, s16, v4
	v_addc_co_u32_e32 v53, vcc, v7, v5, vcc
	v_add_co_u32_e32 v56, vcc, s18, v4
	v_addc_co_u32_e32 v55, vcc, v8, v5, vcc
	v_mad_u64_u32 v[4:5], s[10:11], s14, v6, 0
	v_add3_u32 v5, v5, v2, v9
	v_lshlrev_b64 v[4:5], 2, v[4:5]
	v_add_co_u32_e32 v58, vcc, s16, v4
	v_mbcnt_lo_u32_b32 v2, -1, 0
	v_addc_co_u32_e32 v57, vcc, v7, v5, vcc
	v_mbcnt_hi_u32_b32 v2, -1, v2
	s_mov_b32 s20, 0
	v_add_co_u32_e32 v60, vcc, s18, v4
	v_lshlrev_b32_e32 v2, 2, v2
	v_mov_b32_e32 v1, v3
	s_mov_b32 s33, s20
	s_mov_b64 s[36:37], 7
	v_addc_co_u32_e32 v59, vcc, v8, v5, vcc
	v_and_b32_e32 v65, 0x100, v2
	s_mov_b64 s[40:41], s[30:31]
	v_mov_b32_e32 v66, 0
.LBB155_3:                              ; =>This Inner Loop Header: Depth=1
	s_add_u32 s10, s30, s36
	s_addc_u32 s11, 0, s37
	v_pk_mov_b32 v[4:5], s[12:13], s[12:13] op_sel:[0,1]
	v_cmp_ge_i64_e32 vcc, s[10:11], v[4:5]
	v_mov_b32_e32 v2, s31
	v_add_co_u32_e64 v62, s[10:11], s30, v26
	v_addc_co_u32_e64 v63, s[10:11], v2, v1, s[10:11]
	s_cbranch_vccz .LBB155_25
; %bb.4:                                ;   in Loop: Header=BB155_3 Depth=1
	s_load_dword s10, s[34:35], 0xc
	v_mov_b32_e32 v67, 0
	s_waitcnt lgkmcnt(0)
	s_and_b32 s10, s10, 0xffff
	v_mad_u32_u24 v2, v64, s10, v61
	v_and_b32_e32 v2, 63, v2
	v_cmp_gt_u32_e32 vcc, 8, v2
	s_and_saveexec_b64 s[10:11], vcc
	s_cbranch_execz .LBB155_8
; %bb.5:                                ;   in Loop: Header=BB155_3 Depth=1
	v_add_co_u32_e32 v4, vcc, v62, v2
	v_addc_co_u32_e32 v5, vcc, 0, v63, vcc
	v_cmp_gt_i64_e32 vcc, s[12:13], v[4:5]
	v_mov_b32_e32 v67, 0
	s_and_saveexec_b64 s[22:23], vcc
	s_cbranch_execz .LBB155_7
; %bb.6:                                ;   in Loop: Header=BB155_3 Depth=1
	v_lshlrev_b64 v[4:5], 2, v[4:5]
	v_mov_b32_e32 v2, s29
	v_add_co_u32_e32 v4, vcc, s28, v4
	v_addc_co_u32_e32 v5, vcc, v2, v5, vcc
	global_load_dword v67, v[4:5], off
.LBB155_7:                              ;   in Loop: Header=BB155_3 Depth=1
	s_or_b64 exec, exec, s[22:23]
.LBB155_8:                              ;   in Loop: Header=BB155_3 Depth=1
	s_or_b64 exec, exec, s[10:11]
	s_mov_b32 s21, s20
	s_mov_b32 s22, s20
	;; [unrolled: 1-line block ×7, first 2 shown]
	v_pk_mov_b32 v[10:11], s[20:21], s[20:21] op_sel:[0,1]
	v_pk_mov_b32 v[16:17], s[26:27], s[26:27] op_sel:[0,1]
	v_cmp_gt_i64_e32 vcc, s[12:13], v[62:63]
	v_pk_mov_b32 v[12:13], s[22:23], s[22:23] op_sel:[0,1]
	v_pk_mov_b32 v[14:15], s[24:25], s[24:25] op_sel:[0,1]
	;; [unrolled: 1-line block ×3, first 2 shown]
	s_and_b64 s[42:43], s[2:3], vcc
	v_pk_mov_b32 v[22:23], v[14:15], v[14:15] op_sel:[0,1]
	v_pk_mov_b32 v[20:21], v[12:13], v[12:13] op_sel:[0,1]
	;; [unrolled: 1-line block ×3, first 2 shown]
	s_and_saveexec_b64 s[10:11], s[42:43]
	s_cbranch_execz .LBB155_10
; %bb.9:                                ;   in Loop: Header=BB155_3 Depth=1
	v_add_co_u32_e32 v4, vcc, v58, v28
	v_addc_co_u32_e32 v5, vcc, v57, v29, vcc
	global_load_dword v2, v[4:5], off
	v_add_co_u32_e32 v4, vcc, v60, v28
	v_addc_co_u32_e32 v5, vcc, v59, v29, vcc
	global_load_dword v10, v[4:5], off
	v_mov_b32_e32 v8, v3
	v_mov_b32_e32 v9, v3
	;; [unrolled: 1-line block ×6, first 2 shown]
	s_waitcnt vmcnt(1)
	v_pk_mov_b32 v[24:25], v[8:9], v[8:9] op_sel:[0,1]
	v_mov_b32_e32 v11, v3
	v_mov_b32_e32 v12, v3
	v_mov_b32_e32 v13, v3
	v_mov_b32_e32 v14, v3
	v_mov_b32_e32 v15, v3
	v_mov_b32_e32 v16, v3
	v_mov_b32_e32 v17, v3
	v_pk_mov_b32 v[22:23], v[6:7], v[6:7] op_sel:[0,1]
	v_pk_mov_b32 v[20:21], v[4:5], v[4:5] op_sel:[0,1]
	;; [unrolled: 1-line block ×3, first 2 shown]
.LBB155_10:                             ;   in Loop: Header=BB155_3 Depth=1
	s_or_b64 exec, exec, s[10:11]
	v_add_co_u32_e32 v4, vcc, 1, v62
	v_addc_co_u32_e32 v5, vcc, 0, v63, vcc
	v_cmp_gt_i64_e32 vcc, s[12:13], v[4:5]
	s_and_b64 s[22:23], s[2:3], vcc
	s_and_saveexec_b64 s[10:11], s[22:23]
	s_cbranch_execz .LBB155_12
; %bb.11:                               ;   in Loop: Header=BB155_3 Depth=1
	v_add_co_u32_e32 v4, vcc, v54, v28
	v_addc_co_u32_e32 v5, vcc, v53, v29, vcc
	global_load_dword v19, v[4:5], off
	v_add_co_u32_e32 v4, vcc, v56, v28
	v_addc_co_u32_e32 v5, vcc, v55, v29, vcc
	global_load_dword v11, v[4:5], off
.LBB155_12:                             ;   in Loop: Header=BB155_3 Depth=1
	s_or_b64 exec, exec, s[10:11]
	v_add_co_u32_e32 v4, vcc, 2, v62
	v_addc_co_u32_e32 v5, vcc, 0, v63, vcc
	v_cmp_gt_i64_e32 vcc, s[12:13], v[4:5]
	s_and_b64 s[22:23], s[2:3], vcc
	s_and_saveexec_b64 s[10:11], s[22:23]
	s_cbranch_execz .LBB155_14
; %bb.13:                               ;   in Loop: Header=BB155_3 Depth=1
	v_add_co_u32_e32 v4, vcc, v50, v28
	v_addc_co_u32_e32 v5, vcc, v49, v29, vcc
	global_load_dword v20, v[4:5], off
	v_add_co_u32_e32 v4, vcc, v52, v28
	v_addc_co_u32_e32 v5, vcc, v51, v29, vcc
	global_load_dword v12, v[4:5], off
.LBB155_14:                             ;   in Loop: Header=BB155_3 Depth=1
	;; [unrolled: 15-line block ×7, first 2 shown]
	s_or_b64 exec, exec, s[10:11]
	s_waitcnt vmcnt(0)
	ds_bpermute_b32 v4, v65, v67 offset:4
	ds_bpermute_b32 v5, v65, v67 offset:8
	ds_bpermute_b32 v2, v65, v67
	v_mul_f32_e32 v8, v10, v18
	v_pk_mul_f32 v[10:11], v[10:11], v[18:19]
	v_pk_mul_f32 v[12:13], v[12:13], v[20:21]
	v_mov_b32_e32 v10, v11
	v_mov_b32_e32 v11, v12
	s_waitcnt lgkmcnt(1)
	v_pk_mul_f32 v[4:5], v[10:11], v[4:5]
	ds_bpermute_b32 v10, v65, v67 offset:12
	ds_bpermute_b32 v11, v65, v67 offset:16
	s_waitcnt lgkmcnt(2)
	v_fma_f32 v2, v8, v2, v66
	v_pk_mul_f32 v[8:9], v[14:15], v[22:23]
	v_add_f32_e32 v2, v2, v4
	v_add_f32_e32 v2, v2, v5
	v_mov_b32_e32 v4, v13
	v_mov_b32_e32 v5, v8
	s_waitcnt lgkmcnt(0)
	v_pk_mul_f32 v[4:5], v[4:5], v[10:11]
	ds_bpermute_b32 v10, v65, v67 offset:20
	ds_bpermute_b32 v11, v65, v67 offset:24
	v_pk_mul_f32 v[6:7], v[16:17], v[24:25]
	v_add_f32_e32 v2, v2, v4
	v_add_f32_e32 v7, v2, v5
	ds_bpermute_b32 v2, v65, v67 offset:28
	v_mov_b32_e32 v4, v9
	v_mov_b32_e32 v5, v6
	s_waitcnt lgkmcnt(1)
	v_pk_mul_f32 v[4:5], v[4:5], v[10:11]
	v_add_f32_e32 v4, v7, v4
	v_add_f32_e32 v4, v4, v5
	s_branch .LBB155_40
.LBB155_25:                             ;   in Loop: Header=BB155_3 Depth=1
                                        ; implicit-def: $vgpr4
                                        ; implicit-def: $vgpr10_vgpr11_vgpr12_vgpr13_vgpr14_vgpr15_vgpr16_vgpr17
                                        ; implicit-def: $vgpr18_vgpr19_vgpr20_vgpr21_vgpr22_vgpr23_vgpr24_vgpr25
                                        ; implicit-def: $vgpr2
	s_cbranch_execz .LBB155_40
; %bb.26:                               ;   in Loop: Header=BB155_3 Depth=1
	s_load_dword s10, s[34:35], 0x0
	v_mov_b32_e32 v67, 0
	s_waitcnt lgkmcnt(0)
	s_cmp_lt_u32 s6, s10
	s_cselect_b32 s10, 12, 18
	s_add_u32 s10, s34, s10
	s_addc_u32 s11, s35, 0
	global_load_ushort v2, v3, s[10:11]
	s_waitcnt vmcnt(0)
	v_mad_u32_u24 v2, v64, v2, v61
	v_and_b32_e32 v2, 63, v2
	v_cmp_gt_u32_e32 vcc, 8, v2
	s_and_saveexec_b64 s[10:11], vcc
	s_cbranch_execz .LBB155_30
; %bb.27:                               ;   in Loop: Header=BB155_3 Depth=1
	v_add_co_u32_e32 v4, vcc, v62, v2
	v_addc_co_u32_e32 v5, vcc, 0, v63, vcc
	v_cmp_gt_i64_e32 vcc, s[12:13], v[4:5]
	v_mov_b32_e32 v67, 0
	s_and_saveexec_b64 s[22:23], vcc
	s_cbranch_execz .LBB155_29
; %bb.28:                               ;   in Loop: Header=BB155_3 Depth=1
	v_lshlrev_b64 v[4:5], 2, v[4:5]
	v_mov_b32_e32 v2, s29
	v_add_co_u32_e32 v4, vcc, s28, v4
	v_addc_co_u32_e32 v5, vcc, v2, v5, vcc
	global_load_dword v67, v[4:5], off
.LBB155_29:                             ;   in Loop: Header=BB155_3 Depth=1
	s_or_b64 exec, exec, s[22:23]
.LBB155_30:                             ;   in Loop: Header=BB155_3 Depth=1
	s_or_b64 exec, exec, s[10:11]
	s_mov_b32 s21, s20
	s_mov_b32 s22, s20
	;; [unrolled: 1-line block ×7, first 2 shown]
	v_pk_mov_b32 v[10:11], s[20:21], s[20:21] op_sel:[0,1]
	v_pk_mov_b32 v[16:17], s[26:27], s[26:27] op_sel:[0,1]
	;; [unrolled: 1-line block ×8, first 2 shown]
	s_and_saveexec_b64 s[10:11], s[2:3]
	s_cbranch_execnz .LBB155_42
; %bb.31:                               ;   in Loop: Header=BB155_3 Depth=1
	s_or_b64 exec, exec, s[10:11]
	s_and_saveexec_b64 s[10:11], s[2:3]
	s_cbranch_execnz .LBB155_43
.LBB155_32:                             ;   in Loop: Header=BB155_3 Depth=1
	s_or_b64 exec, exec, s[10:11]
	s_and_saveexec_b64 s[10:11], s[2:3]
	s_cbranch_execnz .LBB155_44
.LBB155_33:                             ;   in Loop: Header=BB155_3 Depth=1
	s_or_b64 exec, exec, s[10:11]
	s_and_saveexec_b64 s[10:11], s[2:3]
	s_cbranch_execnz .LBB155_45
.LBB155_34:                             ;   in Loop: Header=BB155_3 Depth=1
	s_or_b64 exec, exec, s[10:11]
	s_and_saveexec_b64 s[10:11], s[2:3]
	s_cbranch_execnz .LBB155_46
.LBB155_35:                             ;   in Loop: Header=BB155_3 Depth=1
	s_or_b64 exec, exec, s[10:11]
	s_and_saveexec_b64 s[10:11], s[2:3]
	s_cbranch_execnz .LBB155_47
.LBB155_36:                             ;   in Loop: Header=BB155_3 Depth=1
	s_or_b64 exec, exec, s[10:11]
	s_and_saveexec_b64 s[10:11], s[2:3]
	s_cbranch_execnz .LBB155_48
.LBB155_37:                             ;   in Loop: Header=BB155_3 Depth=1
	s_or_b64 exec, exec, s[10:11]
	s_and_saveexec_b64 s[10:11], s[2:3]
	s_cbranch_execz .LBB155_39
.LBB155_38:                             ;   in Loop: Header=BB155_3 Depth=1
	v_add_co_u32_e32 v4, vcc, v30, v28
	v_addc_co_u32_e32 v5, vcc, v27, v29, vcc
	global_load_dword v25, v[4:5], off
	v_add_co_u32_e32 v4, vcc, v32, v28
	v_addc_co_u32_e32 v5, vcc, v31, v29, vcc
	global_load_dword v17, v[4:5], off
.LBB155_39:                             ;   in Loop: Header=BB155_3 Depth=1
	s_or_b64 exec, exec, s[10:11]
	s_waitcnt vmcnt(0)
	ds_bpermute_b32 v4, v65, v67 offset:4
	ds_bpermute_b32 v5, v65, v67 offset:8
	ds_bpermute_b32 v2, v65, v67
	v_mul_f32_e32 v8, v10, v18
	v_pk_mul_f32 v[10:11], v[10:11], v[18:19]
	v_pk_mul_f32 v[12:13], v[12:13], v[20:21]
	v_mov_b32_e32 v10, v11
	v_mov_b32_e32 v11, v12
	s_waitcnt lgkmcnt(1)
	v_pk_mul_f32 v[4:5], v[10:11], v[4:5]
	ds_bpermute_b32 v10, v65, v67 offset:12
	ds_bpermute_b32 v11, v65, v67 offset:16
	s_waitcnt lgkmcnt(2)
	v_fmac_f32_e32 v66, v8, v2
	v_pk_mul_f32 v[8:9], v[14:15], v[22:23]
	v_add_f32_e32 v2, v66, v4
	v_add_f32_e32 v2, v2, v5
	v_mov_b32_e32 v4, v13
	v_mov_b32_e32 v5, v8
	s_waitcnt lgkmcnt(0)
	v_pk_mul_f32 v[4:5], v[4:5], v[10:11]
	ds_bpermute_b32 v10, v65, v67 offset:20
	ds_bpermute_b32 v11, v65, v67 offset:24
	v_pk_mul_f32 v[6:7], v[16:17], v[24:25]
	v_add_f32_e32 v2, v2, v4
	v_add_f32_e32 v7, v2, v5
	v_mov_b32_e32 v4, v9
	v_mov_b32_e32 v5, v6
	s_waitcnt lgkmcnt(0)
	v_pk_mul_f32 v[4:5], v[4:5], v[10:11]
	v_add_f32_e32 v4, v7, v4
	ds_bpermute_b32 v2, v65, v67 offset:28
	v_add_f32_e32 v4, v4, v5
.LBB155_40:                             ;   in Loop: Header=BB155_3 Depth=1
	v_mul_f32_e32 v5, v25, v17
	s_waitcnt lgkmcnt(0)
	v_fmac_f32_e32 v4, v5, v2
	v_mov_b32_e32 v2, s39
	v_add_co_u32_e32 v30, vcc, s38, v30
	v_addc_co_u32_e32 v27, vcc, v27, v2, vcc
	v_add_co_u32_e32 v32, vcc, s38, v32
	v_addc_co_u32_e32 v31, vcc, v31, v2, vcc
	;; [unrolled: 2-line block ×14, first 2 shown]
	v_mov_b32_e32 v5, s33
	v_add_co_u32_e32 v26, vcc, s9, v26
	v_addc_co_u32_e32 v1, vcc, v1, v5, vcc
	v_add_co_u32_e32 v58, vcc, s38, v58
	v_addc_co_u32_e32 v57, vcc, v57, v2, vcc
	s_add_u32 s40, s40, s9
	v_add_co_u32_e32 v60, vcc, s38, v60
	s_addc_u32 s41, s41, 0
	v_addc_co_u32_e32 v59, vcc, v59, v2, vcc
	v_pk_mov_b32 v[6:7], s[12:13], s[12:13] op_sel:[0,1]
	s_add_u32 s36, s36, s9
	v_cmp_lt_i64_e32 vcc, s[40:41], v[6:7]
	s_addc_u32 s37, s37, 0
	s_cbranch_vccz .LBB155_50
; %bb.41:                               ;   in Loop: Header=BB155_3 Depth=1
	v_mov_b32_e32 v66, v4
	s_branch .LBB155_3
.LBB155_42:                             ;   in Loop: Header=BB155_3 Depth=1
	v_add_co_u32_e32 v4, vcc, v58, v28
	v_addc_co_u32_e32 v5, vcc, v57, v29, vcc
	global_load_dword v2, v[4:5], off
	v_add_co_u32_e32 v4, vcc, v60, v28
	v_addc_co_u32_e32 v5, vcc, v59, v29, vcc
	global_load_dword v10, v[4:5], off
	v_mov_b32_e32 v8, v3
	v_mov_b32_e32 v9, v3
	;; [unrolled: 1-line block ×6, first 2 shown]
	s_waitcnt vmcnt(1)
	v_pk_mov_b32 v[24:25], v[8:9], v[8:9] op_sel:[0,1]
	v_mov_b32_e32 v11, v3
	v_mov_b32_e32 v12, v3
	;; [unrolled: 1-line block ×7, first 2 shown]
	v_pk_mov_b32 v[22:23], v[6:7], v[6:7] op_sel:[0,1]
	v_pk_mov_b32 v[20:21], v[4:5], v[4:5] op_sel:[0,1]
	;; [unrolled: 1-line block ×3, first 2 shown]
	s_or_b64 exec, exec, s[10:11]
	s_and_saveexec_b64 s[10:11], s[2:3]
	s_cbranch_execz .LBB155_32
.LBB155_43:                             ;   in Loop: Header=BB155_3 Depth=1
	v_add_co_u32_e32 v4, vcc, v54, v28
	v_addc_co_u32_e32 v5, vcc, v53, v29, vcc
	global_load_dword v19, v[4:5], off
	v_add_co_u32_e32 v4, vcc, v56, v28
	v_addc_co_u32_e32 v5, vcc, v55, v29, vcc
	global_load_dword v11, v[4:5], off
	s_or_b64 exec, exec, s[10:11]
	s_and_saveexec_b64 s[10:11], s[2:3]
	s_cbranch_execz .LBB155_33
.LBB155_44:                             ;   in Loop: Header=BB155_3 Depth=1
	v_add_co_u32_e32 v4, vcc, v50, v28
	v_addc_co_u32_e32 v5, vcc, v49, v29, vcc
	global_load_dword v20, v[4:5], off
	v_add_co_u32_e32 v4, vcc, v52, v28
	v_addc_co_u32_e32 v5, vcc, v51, v29, vcc
	global_load_dword v12, v[4:5], off
	s_or_b64 exec, exec, s[10:11]
	s_and_saveexec_b64 s[10:11], s[2:3]
	s_cbranch_execz .LBB155_34
.LBB155_45:                             ;   in Loop: Header=BB155_3 Depth=1
	v_add_co_u32_e32 v4, vcc, v46, v28
	v_addc_co_u32_e32 v5, vcc, v45, v29, vcc
	global_load_dword v21, v[4:5], off
	v_add_co_u32_e32 v4, vcc, v48, v28
	v_addc_co_u32_e32 v5, vcc, v47, v29, vcc
	global_load_dword v13, v[4:5], off
	s_or_b64 exec, exec, s[10:11]
	s_and_saveexec_b64 s[10:11], s[2:3]
	s_cbranch_execz .LBB155_35
.LBB155_46:                             ;   in Loop: Header=BB155_3 Depth=1
	v_add_co_u32_e32 v4, vcc, v42, v28
	v_addc_co_u32_e32 v5, vcc, v41, v29, vcc
	global_load_dword v22, v[4:5], off
	v_add_co_u32_e32 v4, vcc, v44, v28
	v_addc_co_u32_e32 v5, vcc, v43, v29, vcc
	global_load_dword v14, v[4:5], off
	s_or_b64 exec, exec, s[10:11]
	s_and_saveexec_b64 s[10:11], s[2:3]
	s_cbranch_execz .LBB155_36
.LBB155_47:                             ;   in Loop: Header=BB155_3 Depth=1
	v_add_co_u32_e32 v4, vcc, v38, v28
	v_addc_co_u32_e32 v5, vcc, v37, v29, vcc
	global_load_dword v23, v[4:5], off
	v_add_co_u32_e32 v4, vcc, v40, v28
	v_addc_co_u32_e32 v5, vcc, v39, v29, vcc
	global_load_dword v15, v[4:5], off
	s_or_b64 exec, exec, s[10:11]
	s_and_saveexec_b64 s[10:11], s[2:3]
	s_cbranch_execz .LBB155_37
.LBB155_48:                             ;   in Loop: Header=BB155_3 Depth=1
	v_add_co_u32_e32 v4, vcc, v34, v28
	v_addc_co_u32_e32 v5, vcc, v33, v29, vcc
	global_load_dword v24, v[4:5], off
	v_add_co_u32_e32 v4, vcc, v36, v28
	v_addc_co_u32_e32 v5, vcc, v35, v29, vcc
	global_load_dword v16, v[4:5], off
	s_or_b64 exec, exec, s[10:11]
	s_and_saveexec_b64 s[10:11], s[2:3]
	s_cbranch_execnz .LBB155_38
	s_branch .LBB155_39
.LBB155_49:
                                        ; implicit-def: $vgpr4
	s_load_dwordx2 s[2:3], s[4:5], 0x30
	s_branch .LBB155_51
.LBB155_50:
	s_load_dwordx2 s[2:3], s[4:5], 0x30
	s_cbranch_execnz .LBB155_83
.LBB155_51:
	s_and_b64 vcc, exec, s[0:1]
	v_mov_b32_e32 v4, 0
	s_cbranch_vccnz .LBB155_83
; %bb.52:
	v_bfe_u32 v87, v0, 10, 10
	s_add_u32 s10, s4, 64
	s_addc_u32 s11, s5, 0
	v_lshlrev_b32_e32 v1, 5, v87
	s_lshl_b64 s[0:1], s[30:31], 2
	v_mov_b32_e32 v2, s1
	v_add_co_u32_e32 v1, vcc, s0, v1
	v_addc_co_u32_e32 v4, vcc, 0, v2, vcc
	v_add_co_u32_e32 v6, vcc, 4, v1
	v_addc_co_u32_e32 v5, vcc, 0, v4, vcc
	v_add_co_u32_e32 v9, vcc, 8, v1
	v_mul_lo_u32 v7, s14, v5
	v_addc_co_u32_e32 v5, vcc, 0, v4, vcc
	v_add_co_u32_e32 v12, vcc, 12, v1
	v_mul_lo_u32 v10, s14, v5
	;; [unrolled: 3-line block ×5, first 2 shown]
	v_addc_co_u32_e32 v5, vcc, 0, v4, vcc
	v_add_co_u32_e32 v24, vcc, 28, v1
	v_lshlrev_b32_e32 v26, 3, v87
	v_addc_co_u32_e32 v1, vcc, 0, v4, vcc
	v_mul_lo_u32 v25, s14, v1
	v_mov_b32_e32 v1, s31
	v_add_co_u32_e32 v43, vcc, s30, v26
	v_pk_mov_b32 v[2:3], s[16:17], s[16:17] op_sel:[0,1]
	v_addc_co_u32_e32 v59, vcc, 0, v1, vcc
	v_mad_u64_u32 v[28:29], s[0:1], s14, v6, v[2:3]
	v_mad_u64_u32 v[30:31], s[0:1], s14, v9, v[2:3]
	;; [unrolled: 1-line block ×7, first 2 shown]
	v_mul_lo_u32 v60, s15, v43
	v_mul_lo_u32 v61, s14, v59
	v_mad_u64_u32 v[2:3], s[0:1], s14, v43, 0
	v_add3_u32 v3, v3, v61, v60
	v_lshlrev_b64 v[2:3], 2, v[2:3]
	v_mul_lo_u32 v22, s14, v5
	v_mov_b32_e32 v81, s17
	v_add_co_u32_e32 v42, vcc, s16, v2
	v_pk_mov_b32 v[4:5], s[18:19], s[18:19] op_sel:[0,1]
	v_mul_lo_u32 v17, s15, v15
	v_addc_co_u32_e32 v1, vcc, v81, v3, vcc
	v_mad_u64_u32 v[50:51], s[0:1], s14, v15, v[4:5]
	v_add3_u32 v35, v17, v35, v16
	v_mul_lo_u32 v27, s15, v24
	v_add3_u32 v51, v17, v51, v16
	v_mad_u64_u32 v[56:57], s[0:1], s14, v24, v[4:5]
	v_mov_b32_e32 v16, s19
	v_add_co_u32_e32 v58, vcc, s18, v2
	v_add3_u32 v41, v27, v41, v25
	v_add3_u32 v57, v27, v57, v25
	v_addc_co_u32_e32 v27, vcc, v16, v3, vcc
	v_add_co_u32_e32 v2, vcc, 7, v43
	v_addc_co_u32_e32 v3, vcc, 0, v59, vcc
	v_mad_u64_u32 v[44:45], s[0:1], s14, v6, v[4:5]
	v_mad_u64_u32 v[46:47], s[0:1], s14, v9, v[4:5]
	;; [unrolled: 1-line block ×5, first 2 shown]
	v_mul_lo_u32 v4, s15, v2
	v_mul_lo_u32 v5, s14, v3
	v_mad_u64_u32 v[2:3], s[0:1], s14, v2, 0
	v_add3_u32 v3, v3, v5, v4
	v_add_co_u32_e32 v4, vcc, 6, v43
	v_mul_lo_u32 v8, s15, v6
	v_addc_co_u32_e32 v5, vcc, 0, v59, vcc
	v_add3_u32 v29, v8, v29, v7
	v_add3_u32 v45, v8, v45, v7
	v_mul_lo_u32 v6, s15, v4
	v_mul_lo_u32 v7, s14, v5
	v_mad_u64_u32 v[4:5], s[0:1], s14, v4, 0
	v_add3_u32 v5, v5, v7, v6
	v_add_co_u32_e32 v6, vcc, 5, v43
	v_addc_co_u32_e32 v7, vcc, 0, v59, vcc
	v_mul_lo_u32 v11, s15, v9
	v_mul_lo_u32 v8, s15, v6
	;; [unrolled: 1-line block ×3, first 2 shown]
	v_mad_u64_u32 v[6:7], s[0:1], s14, v6, 0
	v_add3_u32 v7, v7, v9, v8
	v_add_co_u32_e32 v8, vcc, 4, v43
	v_addc_co_u32_e32 v9, vcc, 0, v59, vcc
	v_add3_u32 v31, v11, v31, v10
	v_add3_u32 v47, v11, v47, v10
	v_mul_lo_u32 v10, s15, v8
	v_mul_lo_u32 v11, s14, v9
	v_mad_u64_u32 v[8:9], s[0:1], s14, v8, 0
	v_add3_u32 v9, v9, v11, v10
	v_add_co_u32_e32 v10, vcc, 3, v43
	v_mul_lo_u32 v14, s15, v12
	v_addc_co_u32_e32 v11, vcc, 0, v59, vcc
	v_add3_u32 v33, v14, v33, v13
	v_add3_u32 v49, v14, v49, v13
	v_mul_lo_u32 v12, s15, v10
	v_mul_lo_u32 v13, s14, v11
	v_mad_u64_u32 v[10:11], s[0:1], s14, v10, 0
	v_add3_u32 v11, v11, v13, v12
	v_add_co_u32_e32 v12, vcc, 2, v43
	v_addc_co_u32_e32 v13, vcc, 0, v59, vcc
	v_mul_lo_u32 v14, s15, v12
	v_mul_lo_u32 v15, s14, v13
	v_mad_u64_u32 v[12:13], s[0:1], s14, v12, 0
	v_add3_u32 v13, v13, v15, v14
	v_pk_mov_b32 v[14:15], s[14:15], s[14:15] op_sel:[0,1]
	v_lshlrev_b64 v[2:3], 2, v[2:3]
	v_mad_u64_u32 v[14:15], s[0:1], s14, v43, v[14:15]
	v_add3_u32 v15, v60, v15, v61
	v_add_co_u32_e32 v60, vcc, s16, v2
	v_addc_co_u32_e32 v43, vcc, v81, v3, vcc
	v_add_co_u32_e32 v62, vcc, s18, v2
	v_addc_co_u32_e32 v59, vcc, v16, v3, vcc
	v_lshlrev_b64 v[2:3], 2, v[4:5]
	v_add_co_u32_e32 v64, vcc, s16, v2
	v_addc_co_u32_e32 v61, vcc, v81, v3, vcc
	v_add_co_u32_e32 v66, vcc, s18, v2
	v_addc_co_u32_e32 v63, vcc, v16, v3, vcc
	v_lshlrev_b64 v[2:3], 2, v[6:7]
	;; [unrolled: 5-line block ×5, first 2 shown]
	v_add_co_u32_e32 v80, vcc, s16, v2
	v_addc_co_u32_e32 v77, vcc, v81, v3, vcc
	s_load_dword s0, s[4:5], 0x44
	v_add_co_u32_e32 v82, vcc, s18, v2
	v_addc_co_u32_e32 v79, vcc, v16, v3, vcc
	v_lshlrev_b64 v[2:3], 2, v[14:15]
	v_add_co_u32_e32 v84, vcc, s16, v2
	v_addc_co_u32_e32 v81, vcc, v81, v3, vcc
	v_and_b32_e32 v92, 0x3ff, v0
	v_add_co_u32_e32 v86, vcc, s18, v2
	v_add_u32_e32 v2, s7, v92
	s_waitcnt lgkmcnt(0)
	s_lshl_b32 s7, s0, 3
	v_mbcnt_lo_u32_b32 v4, -1, 0
	s_mul_i32 s0, s15, s7
	s_mul_hi_u32 s1, s14, s7
	v_mbcnt_hi_u32_b32 v4, -1, v4
	v_mul_lo_u32 v20, s15, v18
	v_mul_lo_u32 v23, s15, v21
	v_addc_co_u32_e32 v83, vcc, v16, v3, vcc
	s_mov_b32 s16, 0
	v_mov_b32_e32 v3, 0
	s_add_i32 s1, s1, s0
	s_mul_i32 s0, s14, s7
	v_lshlrev_b32_e32 v4, 2, v4
	v_add3_u32 v37, v20, v37, v19
	v_add3_u32 v39, v23, v39, v22
	;; [unrolled: 1-line block ×4, first 2 shown]
	s_mov_b32 s9, s16
	s_lshl_b64 s[24:25], s[0:1], 2
	s_mov_b64 s[26:27], 7
	v_and_b32_e32 v93, 0x100, v4
	s_mov_b64 s[34:35], s[30:31]
	v_mov_b32_e32 v94, 0
	v_mov_b32_e32 v85, v3
	v_lshlrev_b64 v[88:89], 2, v[2:3]
.LBB155_53:                             ; =>This Inner Loop Header: Depth=1
	s_add_u32 s0, s30, s26
	s_addc_u32 s1, 0, s27
	v_pk_mov_b32 v[4:5], s[12:13], s[12:13] op_sel:[0,1]
	v_cmp_ge_i64_e32 vcc, s[0:1], v[4:5]
	v_mov_b32_e32 v2, s31
	v_add_co_u32_e64 v90, s[0:1], s30, v26
	v_addc_co_u32_e64 v91, s[0:1], v2, v85, s[0:1]
	s_cbranch_vccz .LBB155_75
; %bb.54:                               ;   in Loop: Header=BB155_53 Depth=1
	s_load_dword s0, s[10:11], 0xc
	v_mov_b32_e32 v95, 0
	s_waitcnt lgkmcnt(0)
	s_and_b32 s0, s0, 0xffff
	v_mad_u32_u24 v2, v87, s0, v92
	v_and_b32_e32 v2, 63, v2
	v_cmp_gt_u32_e32 vcc, 8, v2
	s_and_saveexec_b64 s[0:1], vcc
	s_cbranch_execz .LBB155_58
; %bb.55:                               ;   in Loop: Header=BB155_53 Depth=1
	v_add_co_u32_e32 v4, vcc, v90, v2
	v_addc_co_u32_e32 v5, vcc, 0, v91, vcc
	v_cmp_gt_i64_e32 vcc, s[12:13], v[4:5]
	v_mov_b32_e32 v95, 0
	s_and_saveexec_b64 s[18:19], vcc
	s_cbranch_execz .LBB155_57
; %bb.56:                               ;   in Loop: Header=BB155_53 Depth=1
	v_lshlrev_b64 v[4:5], 2, v[4:5]
	v_mov_b32_e32 v2, s29
	v_add_co_u32_e32 v4, vcc, s28, v4
	v_addc_co_u32_e32 v5, vcc, v2, v5, vcc
	global_load_dword v95, v[4:5], off
.LBB155_57:                             ;   in Loop: Header=BB155_53 Depth=1
	s_or_b64 exec, exec, s[18:19]
.LBB155_58:                             ;   in Loop: Header=BB155_53 Depth=1
	s_or_b64 exec, exec, s[0:1]
	s_mov_b32 s17, s16
	s_mov_b32 s18, s16
	;; [unrolled: 1-line block ×7, first 2 shown]
	v_pk_mov_b32 v[10:11], s[16:17], s[16:17] op_sel:[0,1]
	v_pk_mov_b32 v[16:17], s[22:23], s[22:23] op_sel:[0,1]
	;; [unrolled: 1-line block ×5, first 2 shown]
	v_cmp_gt_i64_e32 vcc, s[12:13], v[90:91]
	v_pk_mov_b32 v[22:23], v[14:15], v[14:15] op_sel:[0,1]
	v_pk_mov_b32 v[20:21], v[12:13], v[12:13] op_sel:[0,1]
	;; [unrolled: 1-line block ×3, first 2 shown]
	s_and_saveexec_b64 s[0:1], vcc
	s_cbranch_execz .LBB155_60
; %bb.59:                               ;   in Loop: Header=BB155_53 Depth=1
	v_add_co_u32_e32 v4, vcc, v42, v88
	v_addc_co_u32_e32 v5, vcc, v1, v89, vcc
	global_load_dword v2, v[4:5], off
	v_add_co_u32_e32 v4, vcc, v58, v88
	v_addc_co_u32_e32 v5, vcc, v27, v89, vcc
	global_load_dword v10, v[4:5], off
	v_mov_b32_e32 v8, v3
	v_mov_b32_e32 v9, v3
	;; [unrolled: 1-line block ×6, first 2 shown]
	s_waitcnt vmcnt(1)
	v_pk_mov_b32 v[24:25], v[8:9], v[8:9] op_sel:[0,1]
	v_mov_b32_e32 v11, v3
	v_mov_b32_e32 v12, v3
	v_mov_b32_e32 v13, v3
	v_mov_b32_e32 v14, v3
	v_mov_b32_e32 v15, v3
	v_mov_b32_e32 v16, v3
	v_mov_b32_e32 v17, v3
	v_pk_mov_b32 v[22:23], v[6:7], v[6:7] op_sel:[0,1]
	v_pk_mov_b32 v[20:21], v[4:5], v[4:5] op_sel:[0,1]
	;; [unrolled: 1-line block ×3, first 2 shown]
.LBB155_60:                             ;   in Loop: Header=BB155_53 Depth=1
	s_or_b64 exec, exec, s[0:1]
	v_add_co_u32_e32 v4, vcc, 1, v90
	v_addc_co_u32_e32 v5, vcc, 0, v91, vcc
	v_cmp_gt_i64_e32 vcc, s[12:13], v[4:5]
	s_and_saveexec_b64 s[0:1], vcc
	s_cbranch_execz .LBB155_62
; %bb.61:                               ;   in Loop: Header=BB155_53 Depth=1
	v_add_co_u32_e32 v4, vcc, v84, v88
	v_addc_co_u32_e32 v5, vcc, v81, v89, vcc
	global_load_dword v19, v[4:5], off
	v_add_co_u32_e32 v4, vcc, v86, v88
	v_addc_co_u32_e32 v5, vcc, v83, v89, vcc
	global_load_dword v11, v[4:5], off
.LBB155_62:                             ;   in Loop: Header=BB155_53 Depth=1
	s_or_b64 exec, exec, s[0:1]
	v_add_co_u32_e32 v4, vcc, 2, v90
	v_addc_co_u32_e32 v5, vcc, 0, v91, vcc
	v_cmp_gt_i64_e32 vcc, s[12:13], v[4:5]
	s_and_saveexec_b64 s[0:1], vcc
	s_cbranch_execz .LBB155_64
; %bb.63:                               ;   in Loop: Header=BB155_53 Depth=1
	v_add_co_u32_e32 v4, vcc, v80, v88
	v_addc_co_u32_e32 v5, vcc, v77, v89, vcc
	global_load_dword v20, v[4:5], off
	v_add_co_u32_e32 v4, vcc, v82, v88
	v_addc_co_u32_e32 v5, vcc, v79, v89, vcc
	global_load_dword v12, v[4:5], off
.LBB155_64:                             ;   in Loop: Header=BB155_53 Depth=1
	;; [unrolled: 14-line block ×7, first 2 shown]
	s_or_b64 exec, exec, s[0:1]
	s_waitcnt vmcnt(0)
	ds_bpermute_b32 v4, v93, v95
	ds_bpermute_b32 v5, v93, v95 offset:4
	v_pk_mul_f32 v[8:9], v[14:15], v[22:23]
	ds_bpermute_b32 v14, v93, v95 offset:8
	ds_bpermute_b32 v15, v93, v95 offset:12
	v_pk_mul_f32 v[10:11], v[10:11], v[18:19]
	s_waitcnt lgkmcnt(2)
	v_pk_mul_f32 v[4:5], v[10:11], v[4:5]
	ds_bpermute_b32 v10, v93, v95 offset:16
	ds_bpermute_b32 v11, v93, v95 offset:20
	v_pk_mul_f32 v[12:13], v[12:13], v[20:21]
	v_add_f32_e32 v2, v94, v4
	v_add_f32_e32 v2, v2, v5
	s_waitcnt lgkmcnt(2)
	v_pk_mul_f32 v[4:5], v[12:13], v[14:15]
	ds_bpermute_b32 v12, v93, v95 offset:24
	ds_bpermute_b32 v13, v93, v95 offset:28
	v_add_f32_e32 v2, v2, v4
	v_add_f32_e32 v2, v2, v5
	s_waitcnt lgkmcnt(2)
	v_pk_mul_f32 v[4:5], v[8:9], v[10:11]
	v_pk_mul_f32 v[6:7], v[16:17], v[24:25]
	v_add_f32_e32 v2, v2, v4
	v_add_f32_e32 v2, v2, v5
	s_waitcnt lgkmcnt(0)
	v_pk_mul_f32 v[4:5], v[6:7], v[12:13]
	v_add_f32_e32 v2, v2, v4
	v_add_f32_e32 v4, v2, v5
	s_branch .LBB155_81
.LBB155_75:                             ;   in Loop: Header=BB155_53 Depth=1
                                        ; implicit-def: $vgpr4
	s_cbranch_execz .LBB155_81
; %bb.76:                               ;   in Loop: Header=BB155_53 Depth=1
	s_load_dword s0, s[10:11], 0x0
	s_waitcnt lgkmcnt(0)
	s_cmp_lt_u32 s6, s0
	s_cselect_b32 s0, 12, 18
	s_add_u32 s0, s10, s0
	s_addc_u32 s1, s11, 0
	global_load_ushort v2, v3, s[0:1]
	s_waitcnt vmcnt(0)
	v_mad_u32_u24 v2, v87, v2, v92
	v_and_b32_e32 v4, 63, v2
	v_cmp_gt_u32_e32 vcc, 8, v4
	v_mov_b32_e32 v2, 0
	s_and_saveexec_b64 s[0:1], vcc
	s_cbranch_execz .LBB155_80
; %bb.77:                               ;   in Loop: Header=BB155_53 Depth=1
	v_add_co_u32_e32 v4, vcc, v90, v4
	v_addc_co_u32_e32 v5, vcc, 0, v91, vcc
	v_cmp_gt_i64_e32 vcc, s[12:13], v[4:5]
	v_mov_b32_e32 v2, 0
	s_and_saveexec_b64 s[18:19], vcc
	s_cbranch_execz .LBB155_79
; %bb.78:                               ;   in Loop: Header=BB155_53 Depth=1
	v_lshlrev_b64 v[4:5], 2, v[4:5]
	v_mov_b32_e32 v2, s29
	v_add_co_u32_e32 v4, vcc, s28, v4
	v_addc_co_u32_e32 v5, vcc, v2, v5, vcc
	global_load_dword v2, v[4:5], off
.LBB155_79:                             ;   in Loop: Header=BB155_53 Depth=1
	s_or_b64 exec, exec, s[18:19]
.LBB155_80:                             ;   in Loop: Header=BB155_53 Depth=1
	s_or_b64 exec, exec, s[0:1]
	v_add_co_u32_e32 v4, vcc, v42, v88
	v_addc_co_u32_e32 v5, vcc, v1, v89, vcc
	v_add_co_u32_e32 v6, vcc, v58, v88
	v_addc_co_u32_e32 v7, vcc, v27, v89, vcc
	;; [unrolled: 2-line block ×3, first 2 shown]
	global_load_dword v4, v[4:5], off
	s_nop 0
	global_load_dword v5, v[8:9], off
	v_add_co_u32_e32 v8, vcc, v44, v88
	v_addc_co_u32_e32 v9, vcc, v45, v89, vcc
	global_load_dword v6, v[6:7], off
	s_nop 0
	global_load_dword v7, v[8:9], off
	v_add_co_u32_e32 v8, vcc, v30, v88
	v_addc_co_u32_e32 v9, vcc, v31, v89, vcc
	v_add_co_u32_e32 v10, vcc, v46, v88
	v_addc_co_u32_e32 v11, vcc, v47, v89, vcc
	;; [unrolled: 2-line block ×3, first 2 shown]
	global_load_dword v8, v[8:9], off
	s_waitcnt vmcnt(1)
	v_pk_mul_f32 v[4:5], v[4:5], v[6:7]
	global_load_dword v9, v[12:13], off
	v_add_co_u32_e32 v12, vcc, v48, v88
	v_addc_co_u32_e32 v13, vcc, v49, v89, vcc
	global_load_dword v10, v[10:11], off
	ds_bpermute_b32 v6, v93, v2 offset:8
	global_load_dword v11, v[12:13], off
	v_add_co_u32_e32 v12, vcc, v34, v88
	v_addc_co_u32_e32 v13, vcc, v35, v89, vcc
	v_add_co_u32_e32 v14, vcc, v50, v88
	v_addc_co_u32_e32 v15, vcc, v51, v89, vcc
	;; [unrolled: 2-line block ×3, first 2 shown]
	global_load_dword v12, v[12:13], off
	ds_bpermute_b32 v7, v93, v2 offset:12
	global_load_dword v13, v[16:17], off
	v_add_co_u32_e32 v16, vcc, v52, v88
	v_addc_co_u32_e32 v17, vcc, v53, v89, vcc
	global_load_dword v14, v[14:15], off
	s_nop 0
	global_load_dword v15, v[16:17], off
	v_add_co_u32_e32 v16, vcc, v38, v88
	v_addc_co_u32_e32 v17, vcc, v39, v89, vcc
	v_add_co_u32_e32 v18, vcc, v54, v88
	v_addc_co_u32_e32 v19, vcc, v55, v89, vcc
	;; [unrolled: 2-line block ×3, first 2 shown]
	global_load_dword v16, v[16:17], off
	s_nop 0
	global_load_dword v17, v[20:21], off
	v_add_co_u32_e32 v20, vcc, v56, v88
	v_addc_co_u32_e32 v21, vcc, v57, v89, vcc
	global_load_dword v18, v[18:19], off
	s_nop 0
	global_load_dword v19, v[20:21], off
	ds_bpermute_b32 v20, v93, v2
	ds_bpermute_b32 v21, v93, v2 offset:4
	s_waitcnt lgkmcnt(0)
	v_pk_mul_f32 v[4:5], v[4:5], v[20:21]
	v_add_f32_e32 v4, v94, v4
	v_add_f32_e32 v20, v4, v5
	s_waitcnt vmcnt(8)
	v_pk_mul_f32 v[4:5], v[8:9], v[10:11]
	v_pk_mul_f32 v[4:5], v[4:5], v[6:7]
	ds_bpermute_b32 v6, v93, v2 offset:16
	ds_bpermute_b32 v7, v93, v2 offset:20
	v_add_f32_e32 v4, v20, v4
	ds_bpermute_b32 v8, v93, v2 offset:24
	ds_bpermute_b32 v9, v93, v2 offset:28
	v_add_f32_e32 v10, v4, v5
	s_waitcnt vmcnt(4)
	v_pk_mul_f32 v[4:5], v[12:13], v[14:15]
	s_waitcnt lgkmcnt(2)
	v_pk_mul_f32 v[4:5], v[4:5], v[6:7]
	v_add_f32_e32 v2, v10, v4
	v_add_f32_e32 v2, v2, v5
	s_waitcnt vmcnt(0)
	v_pk_mul_f32 v[4:5], v[16:17], v[18:19]
	s_waitcnt lgkmcnt(0)
	v_pk_mul_f32 v[4:5], v[4:5], v[8:9]
	v_add_f32_e32 v2, v2, v4
	v_add_f32_e32 v4, v2, v5
.LBB155_81:                             ;   in Loop: Header=BB155_53 Depth=1
	v_mov_b32_e32 v2, s9
	v_add_co_u32_e64 v26, s[0:1], s7, v26
	v_addc_co_u32_e64 v85, s[0:1], v85, v2, s[0:1]
	v_mov_b32_e32 v2, s25
	v_add_co_u32_e64 v28, s[0:1], s24, v28
	v_addc_co_u32_e64 v29, s[0:1], v29, v2, s[0:1]
	v_add_co_u32_e64 v30, s[0:1], s24, v30
	v_addc_co_u32_e64 v31, s[0:1], v31, v2, s[0:1]
	;; [unrolled: 2-line block ×28, first 2 shown]
	s_add_u32 s34, s34, s7
	v_add_co_u32_e64 v84, s[0:1], s24, v84
	s_addc_u32 s35, s35, 0
	v_pk_mov_b32 v[6:7], s[12:13], s[12:13] op_sel:[0,1]
	v_addc_co_u32_e64 v81, s[0:1], v81, v2, s[0:1]
	v_cmp_ge_i64_e32 vcc, s[34:35], v[6:7]
	v_add_co_u32_e64 v86, s[0:1], s24, v86
	s_add_u32 s26, s26, s7
	v_addc_co_u32_e64 v83, s[0:1], v83, v2, s[0:1]
	s_addc_u32 s27, s27, 0
	s_cbranch_vccnz .LBB155_83
; %bb.82:                               ;   in Loop: Header=BB155_53 Depth=1
	v_mov_b32_e32 v94, v4
	s_branch .LBB155_53
.LBB155_83:
	s_mov_b32 s7, 0
	s_lshl_b64 s[0:1], s[6:7], 5
	v_and_b32_e32 v1, 0x3ff, v0
	v_or_b32_e32 v2, s0, v1
	v_mov_b32_e32 v3, s1
	s_waitcnt lgkmcnt(0)
	s_cmp_lg_u64 s[2:3], 0
	v_cmp_gt_i64_e32 vcc, s[14:15], v[2:3]
	s_cselect_b64 s[0:1], -1, 0
	s_and_b64 s[0:1], vcc, s[0:1]
	s_and_saveexec_b64 s[6:7], s[0:1]
	s_cbranch_execz .LBB155_85
; %bb.84:
	s_load_dword s0, s[4:5], 0x4c
	v_bfe_u32 v0, v0, 10, 10
	v_mov_b32_e32 v1, 0
	v_mov_b32_e32 v5, s8
	s_waitcnt lgkmcnt(0)
	s_lshr_b32 s0, s0, 16
	v_mad_u64_u32 v[0:1], s[0:1], s0, v5, v[0:1]
	v_mul_lo_u32 v5, v1, s14
	v_mul_lo_u32 v6, v0, s15
	v_mad_u64_u32 v[0:1], s[0:1], v0, s14, 0
	v_add3_u32 v1, v1, v6, v5
	v_lshlrev_b64 v[0:1], 2, v[0:1]
	v_mov_b32_e32 v5, s3
	v_add_co_u32_e32 v6, vcc, s2, v0
	v_addc_co_u32_e32 v5, vcc, v5, v1, vcc
	v_lshlrev_b64 v[0:1], 2, v[2:3]
	v_add_co_u32_e32 v0, vcc, v6, v0
	v_addc_co_u32_e32 v1, vcc, v5, v1, vcc
	global_store_dword v[0:1], v4, off
.LBB155_85:
	s_endpgm
	.section	.rodata,"a",@progbits
	.p2align	6, 0x0
	.amdhsa_kernel _ZN2at6native12_GLOBAL__N_135GammaBetaBackwardCUDAKernelTemplateIffLj32ELj1ELj8ELb1ELb0ELb1EEEvllPKT_S5_PKT0_S8_PS3_S9_
		.amdhsa_group_segment_fixed_size 0
		.amdhsa_private_segment_fixed_size 0
		.amdhsa_kernarg_size 320
		.amdhsa_user_sgpr_count 6
		.amdhsa_user_sgpr_private_segment_buffer 1
		.amdhsa_user_sgpr_dispatch_ptr 0
		.amdhsa_user_sgpr_queue_ptr 0
		.amdhsa_user_sgpr_kernarg_segment_ptr 1
		.amdhsa_user_sgpr_dispatch_id 0
		.amdhsa_user_sgpr_flat_scratch_init 0
		.amdhsa_user_sgpr_kernarg_preload_length 0
		.amdhsa_user_sgpr_kernarg_preload_offset 0
		.amdhsa_user_sgpr_private_segment_size 0
		.amdhsa_uses_dynamic_stack 0
		.amdhsa_system_sgpr_private_segment_wavefront_offset 0
		.amdhsa_system_sgpr_workgroup_id_x 1
		.amdhsa_system_sgpr_workgroup_id_y 1
		.amdhsa_system_sgpr_workgroup_id_z 0
		.amdhsa_system_sgpr_workgroup_info 0
		.amdhsa_system_vgpr_workitem_id 1
		.amdhsa_next_free_vgpr 96
		.amdhsa_next_free_sgpr 44
		.amdhsa_accum_offset 96
		.amdhsa_reserve_vcc 1
		.amdhsa_reserve_flat_scratch 0
		.amdhsa_float_round_mode_32 0
		.amdhsa_float_round_mode_16_64 0
		.amdhsa_float_denorm_mode_32 3
		.amdhsa_float_denorm_mode_16_64 3
		.amdhsa_dx10_clamp 1
		.amdhsa_ieee_mode 1
		.amdhsa_fp16_overflow 0
		.amdhsa_tg_split 0
		.amdhsa_exception_fp_ieee_invalid_op 0
		.amdhsa_exception_fp_denorm_src 0
		.amdhsa_exception_fp_ieee_div_zero 0
		.amdhsa_exception_fp_ieee_overflow 0
		.amdhsa_exception_fp_ieee_underflow 0
		.amdhsa_exception_fp_ieee_inexact 0
		.amdhsa_exception_int_div_zero 0
	.end_amdhsa_kernel
	.section	.text._ZN2at6native12_GLOBAL__N_135GammaBetaBackwardCUDAKernelTemplateIffLj32ELj1ELj8ELb1ELb0ELb1EEEvllPKT_S5_PKT0_S8_PS3_S9_,"axG",@progbits,_ZN2at6native12_GLOBAL__N_135GammaBetaBackwardCUDAKernelTemplateIffLj32ELj1ELj8ELb1ELb0ELb1EEEvllPKT_S5_PKT0_S8_PS3_S9_,comdat
.Lfunc_end155:
	.size	_ZN2at6native12_GLOBAL__N_135GammaBetaBackwardCUDAKernelTemplateIffLj32ELj1ELj8ELb1ELb0ELb1EEEvllPKT_S5_PKT0_S8_PS3_S9_, .Lfunc_end155-_ZN2at6native12_GLOBAL__N_135GammaBetaBackwardCUDAKernelTemplateIffLj32ELj1ELj8ELb1ELb0ELb1EEEvllPKT_S5_PKT0_S8_PS3_S9_
                                        ; -- End function
	.section	.AMDGPU.csdata,"",@progbits
; Kernel info:
; codeLenInByte = 6272
; NumSgprs: 48
; NumVgprs: 96
; NumAgprs: 0
; TotalNumVgprs: 96
; ScratchSize: 0
; MemoryBound: 0
; FloatMode: 240
; IeeeMode: 1
; LDSByteSize: 0 bytes/workgroup (compile time only)
; SGPRBlocks: 5
; VGPRBlocks: 11
; NumSGPRsForWavesPerEU: 48
; NumVGPRsForWavesPerEU: 96
; AccumOffset: 96
; Occupancy: 5
; WaveLimiterHint : 0
; COMPUTE_PGM_RSRC2:SCRATCH_EN: 0
; COMPUTE_PGM_RSRC2:USER_SGPR: 6
; COMPUTE_PGM_RSRC2:TRAP_HANDLER: 0
; COMPUTE_PGM_RSRC2:TGID_X_EN: 1
; COMPUTE_PGM_RSRC2:TGID_Y_EN: 1
; COMPUTE_PGM_RSRC2:TGID_Z_EN: 0
; COMPUTE_PGM_RSRC2:TIDIG_COMP_CNT: 1
; COMPUTE_PGM_RSRC3_GFX90A:ACCUM_OFFSET: 23
; COMPUTE_PGM_RSRC3_GFX90A:TG_SPLIT: 0
	.section	.text._ZN2at6native12_GLOBAL__N_135GammaBetaBackwardCUDAKernelTemplateIffLj32ELj8ELj64ELb0ELb1ELb1EEEvllPKT_S5_PKT0_S8_PS3_S9_,"axG",@progbits,_ZN2at6native12_GLOBAL__N_135GammaBetaBackwardCUDAKernelTemplateIffLj32ELj8ELj64ELb0ELb1ELb1EEEvllPKT_S5_PKT0_S8_PS3_S9_,comdat
	.globl	_ZN2at6native12_GLOBAL__N_135GammaBetaBackwardCUDAKernelTemplateIffLj32ELj8ELj64ELb0ELb1ELb1EEEvllPKT_S5_PKT0_S8_PS3_S9_ ; -- Begin function _ZN2at6native12_GLOBAL__N_135GammaBetaBackwardCUDAKernelTemplateIffLj32ELj8ELj64ELb0ELb1ELb1EEEvllPKT_S5_PKT0_S8_PS3_S9_
	.p2align	8
	.type	_ZN2at6native12_GLOBAL__N_135GammaBetaBackwardCUDAKernelTemplateIffLj32ELj8ELj64ELb0ELb1ELb1EEEvllPKT_S5_PKT0_S8_PS3_S9_,@function
_ZN2at6native12_GLOBAL__N_135GammaBetaBackwardCUDAKernelTemplateIffLj32ELj8ELj64ELb0ELb1ELb1EEEvllPKT_S5_PKT0_S8_PS3_S9_: ; @_ZN2at6native12_GLOBAL__N_135GammaBetaBackwardCUDAKernelTemplateIffLj32ELj8ELj64ELb0ELb1ELb1EEEvllPKT_S5_PKT0_S8_PS3_S9_
; %bb.0:
	s_load_dwordx4 s[8:11], s[4:5], 0x0
	s_lshl_b32 s16, s7, 6
	s_mov_b32 s17, 0
	v_bfe_u32 v11, v0, 10, 10
	s_waitcnt lgkmcnt(0)
	v_pk_mov_b32 v[2:3], s[8:9], s[8:9] op_sel:[0,1]
	v_cmp_lt_i64_e32 vcc, s[16:17], v[2:3]
	s_cbranch_vccnz .LBB156_2
; %bb.1:
	s_mov_b64 s[0:1], 0
	v_bfe_u32 v2, v0, 10, 10
	s_branch .LBB156_3
.LBB156_2:
	s_mov_b64 s[0:1], -1
                                        ; implicit-def: $vgpr2
.LBB156_3:
	s_load_dwordx2 s[2:3], s[4:5], 0x30
	v_and_b32_e32 v6, 0x3ff, v0
	s_andn2_b64 vcc, exec, s[0:1]
	v_mov_b32_e32 v1, s17
	v_mbcnt_lo_u32_b32 v10, -1, 0
	s_cbranch_vccnz .LBB156_11
; %bb.4:
	s_load_dword s0, s[4:5], 0x4c
	s_load_dword s7, s[4:5], 0x44
	s_load_dwordx4 s[12:15], s[4:5], 0x10
	s_load_dwordx2 s[18:19], s[4:5], 0x28
	v_mbcnt_hi_u32_b32 v4, -1, v10
	v_lshlrev_b32_e32 v2, 3, v11
	s_waitcnt lgkmcnt(0)
	s_and_b32 s0, s0, 0xffff
	v_lshlrev_b32_e32 v4, 2, v4
	v_mad_u32_u24 v0, v11, s0, v6
	v_and_b32_e32 v12, 0x100, v4
	v_mov_b32_e32 v4, s17
	v_add_co_u32_e32 v7, vcc, s16, v2
	v_and_b32_e32 v3, 63, v0
	v_addc_co_u32_e32 v8, vcc, 0, v4, vcc
	v_add_co_u32_e32 v2, vcc, v7, v3
	v_cmp_gt_u32_e64 s[0:1], 8, v3
	v_addc_co_u32_e32 v3, vcc, 0, v8, vcc
	v_lshlrev_b64 v[4:5], 2, v[2:3]
	v_mov_b32_e32 v9, s19
	v_add_co_u32_e32 v4, vcc, s18, v4
	s_lshl_b32 s4, s7, 6
	v_addc_co_u32_e32 v5, vcc, v9, v5, vcc
	v_mul_lo_u32 v20, s11, v7
	v_mul_lo_u32 v21, s10, v8
	v_mad_u64_u32 v[8:9], s[20:21], s10, v7, 0
	v_mov_b32_e32 v1, 0
	v_lshl_add_u32 v0, s6, 5, v6
	v_add3_u32 v9, v9, v21, v20
	s_mul_i32 s7, s11, s4
	s_mul_hi_u32 s20, s10, s4
	s_mov_b32 s5, 0
	v_lshlrev_b64 v[8:9], 2, v[8:9]
	v_lshlrev_b64 v[20:21], 2, v[0:1]
	s_add_i32 s21, s20, s7
	s_mul_i32 s20, s10, s4
	s_lshl_b64 s[18:19], s[4:5], 2
	v_add_co_u32_e32 v0, vcc, v8, v20
	s_lshl_b64 s[20:21], s[20:21], 2
	s_lshl_b64 s[10:11], s[10:11], 2
	v_or_b32_e32 v13, 4, v12
	v_or_b32_e32 v14, 8, v12
	;; [unrolled: 1-line block ×7, first 2 shown]
	v_addc_co_u32_e32 v7, vcc, v9, v21, vcc
	v_mov_b32_e32 v20, s13
	v_mov_b32_e32 v21, s15
	v_mov_b32_e32 v22, s11
	v_mov_b32_e32 v23, s19
	v_mov_b32_e32 v24, s5
	v_mov_b32_e32 v25, s21
	v_pk_mov_b32 v[8:9], s[8:9], s[8:9] op_sel:[0,1]
	s_branch .LBB156_7
.LBB156_5:                              ;   in Loop: Header=BB156_7 Depth=1
	s_or_b64 exec, exec, s[24:25]
.LBB156_6:                              ;   in Loop: Header=BB156_7 Depth=1
	s_or_b64 exec, exec, s[22:23]
	v_add_co_u32_e32 v28, vcc, s12, v0
	v_addc_co_u32_e32 v29, vcc, v20, v7, vcc
	v_add_co_u32_e32 v32, vcc, s14, v0
	v_addc_co_u32_e32 v33, vcc, v21, v7, vcc
	global_load_dword v30, v[28:29], off
	v_add_co_u32_e32 v28, vcc, s10, v28
	v_addc_co_u32_e32 v29, vcc, v29, v22, vcc
	global_load_dword v34, v[32:33], off
	;; [unrolled: 3-line block ×15, first 2 shown]
	global_load_dword v47, v[28:29], off
	s_waitcnt vmcnt(16)
	ds_bpermute_b32 v28, v12, v26
	ds_bpermute_b32 v29, v13, v26
	;; [unrolled: 1-line block ×4, first 2 shown]
	v_add_co_u32_e32 v4, vcc, s18, v4
	v_addc_co_u32_e32 v5, vcc, v5, v23, vcc
	v_add_co_u32_e32 v2, vcc, s4, v2
	v_addc_co_u32_e32 v3, vcc, v3, v24, vcc
	s_add_u32 s16, s16, s4
	v_add_co_u32_e32 v0, vcc, s20, v0
	s_addc_u32 s17, s17, 0
	v_addc_co_u32_e32 v7, vcc, v7, v25, vcc
	v_cmp_lt_i64_e32 vcc, s[16:17], v[8:9]
	s_and_b64 vcc, exec, vcc
	s_waitcnt vmcnt(12)
	v_pk_mul_f32 v[30:31], v[30:31], v[34:35]
	s_waitcnt lgkmcnt(2)
	v_pk_mul_f32 v[28:29], v[30:31], v[28:29]
	v_add_f32_e32 v1, v1, v28
	ds_bpermute_b32 v30, v16, v26
	ds_bpermute_b32 v31, v17, v26
	v_add_f32_e32 v1, v1, v29
	s_waitcnt vmcnt(8)
	v_pk_mul_f32 v[28:29], v[36:37], v[38:39]
	s_waitcnt lgkmcnt(2)
	v_pk_mul_f32 v[28:29], v[28:29], v[32:33]
	v_add_f32_e32 v1, v1, v28
	ds_bpermute_b32 v32, v18, v26
	ds_bpermute_b32 v33, v19, v26
	v_add_f32_e32 v1, v1, v29
	s_waitcnt vmcnt(4)
	v_pk_mul_f32 v[28:29], v[40:41], v[42:43]
	s_waitcnt lgkmcnt(2)
	v_pk_mul_f32 v[26:27], v[28:29], v[30:31]
	v_add_f32_e32 v1, v1, v26
	v_add_f32_e32 v1, v1, v27
	s_waitcnt vmcnt(0)
	v_pk_mul_f32 v[26:27], v[44:45], v[46:47]
	s_waitcnt lgkmcnt(0)
	v_pk_mul_f32 v[26:27], v[26:27], v[32:33]
	v_add_f32_e32 v1, v1, v26
	v_add_f32_e32 v1, v1, v27
	s_cbranch_vccz .LBB156_10
.LBB156_7:                              ; =>This Inner Loop Header: Depth=1
	v_mov_b32_e32 v26, 0
	s_and_saveexec_b64 s[22:23], s[0:1]
	s_cbranch_execz .LBB156_6
; %bb.8:                                ;   in Loop: Header=BB156_7 Depth=1
	v_cmp_gt_i64_e32 vcc, s[8:9], v[2:3]
	v_mov_b32_e32 v26, 0
	s_and_saveexec_b64 s[24:25], vcc
	s_cbranch_execz .LBB156_5
; %bb.9:                                ;   in Loop: Header=BB156_7 Depth=1
	global_load_dword v26, v[4:5], off
	s_branch .LBB156_5
.LBB156_10:
	v_mov_b32_e32 v2, v11
.LBB156_11:
	v_mad_u32_u24 v0, v2, 33, v6
	v_lshl_add_u32 v3, v0, 2, 0
	v_sub_u32_e32 v0, v0, v2
	s_movk_i32 s0, 0x800
	s_mov_b32 s7, 0
	ds_write_b32 v3, v1
	v_mov_b32_e32 v1, 0
	v_cmp_gt_u32_e32 vcc, s0, v0
	ds_write_b32 v3, v1 offset:1056
	s_waitcnt lgkmcnt(0)
	s_barrier
	s_and_saveexec_b64 s[0:1], vcc
	s_cbranch_execz .LBB156_18
; %bb.12:
	v_mbcnt_hi_u32_b32 v4, -1, v10
	v_and_b32_e32 v2, 64, v4
	s_cmp_lg_u64 s[2:3], 0
	v_add_u32_e32 v5, 64, v2
	v_cmp_eq_u32_e64 s[0:1], 0, v6
	s_cselect_b64 s[8:9], -1, 0
	v_xor_b32_e32 v2, 4, v4
	s_and_b64 s[8:9], s[0:1], s[8:9]
	v_cmp_lt_i32_e64 s[0:1], v2, v5
	v_xor_b32_e32 v3, 2, v4
	v_cndmask_b32_e64 v2, v4, v2, s[0:1]
	v_cmp_lt_i32_e64 s[0:1], v3, v5
	v_xor_b32_e32 v6, 1, v4
	v_cndmask_b32_e64 v3, v4, v3, s[0:1]
	v_cmp_lt_i32_e64 s[0:1], v6, v5
	v_cndmask_b32_e64 v4, v4, v6, s[0:1]
	s_lshl_b64 s[0:1], s[6:7], 7
	v_lshrrev_b32_e32 v1, 6, v0
	v_and_b32_e32 v0, 63, v0
	s_add_u32 s0, s2, s0
	v_cmp_gt_u32_e32 vcc, 8, v0
	v_mul_u32_u24_e32 v0, 0x84, v0
	v_lshlrev_b32_e32 v7, 2, v1
	s_addc_u32 s1, s3, s1
	v_add3_u32 v5, v0, v7, 0
	v_add_u32_e32 v6, -4, v1
	v_mov_b32_e32 v1, s1
	v_add_co_u32_e64 v0, s[0:1], s0, v7
	s_mov_b64 s[4:5], 0
	v_lshlrev_b32_e32 v2, 2, v2
	v_lshlrev_b32_e32 v3, 2, v3
	;; [unrolled: 1-line block ×3, first 2 shown]
	v_addc_co_u32_e64 v1, s[0:1], 0, v1, s[0:1]
                                        ; implicit-def: $vgpr7
	s_branch .LBB156_14
.LBB156_13:                             ;   in Loop: Header=BB156_14 Depth=1
	s_or_b64 exec, exec, s[0:1]
	v_add_u32_e32 v6, 4, v6
	v_cmp_lt_u32_e64 s[0:1], 27, v6
	s_or_b64 s[4:5], s[0:1], s[4:5]
	v_add_co_u32_e64 v0, s[0:1], 16, v0
	v_add_u32_e32 v5, 16, v5
	v_addc_co_u32_e64 v1, s[0:1], 0, v1, s[0:1]
	s_andn2_b64 exec, exec, s[4:5]
	s_cbranch_execz .LBB156_18
.LBB156_14:                             ; =>This Inner Loop Header: Depth=1
	s_and_saveexec_b64 s[0:1], vcc
	s_cbranch_execz .LBB156_16
; %bb.15:                               ;   in Loop: Header=BB156_14 Depth=1
	ds_read_b32 v7, v5
.LBB156_16:                             ;   in Loop: Header=BB156_14 Depth=1
	s_or_b64 exec, exec, s[0:1]
	s_waitcnt lgkmcnt(0)
	ds_bpermute_b32 v8, v2, v7
	s_waitcnt lgkmcnt(0)
	v_add_f32_e32 v7, v7, v8
	ds_bpermute_b32 v8, v3, v7
	s_waitcnt lgkmcnt(0)
	v_add_f32_e32 v7, v7, v8
	;; [unrolled: 3-line block ×3, first 2 shown]
	s_and_saveexec_b64 s[0:1], s[8:9]
	s_cbranch_execz .LBB156_13
; %bb.17:                               ;   in Loop: Header=BB156_14 Depth=1
	global_store_dword v[0:1], v7, off
	s_branch .LBB156_13
.LBB156_18:
	s_endpgm
	.section	.rodata,"a",@progbits
	.p2align	6, 0x0
	.amdhsa_kernel _ZN2at6native12_GLOBAL__N_135GammaBetaBackwardCUDAKernelTemplateIffLj32ELj8ELj64ELb0ELb1ELb1EEEvllPKT_S5_PKT0_S8_PS3_S9_
		.amdhsa_group_segment_fixed_size 0
		.amdhsa_private_segment_fixed_size 0
		.amdhsa_kernarg_size 320
		.amdhsa_user_sgpr_count 6
		.amdhsa_user_sgpr_private_segment_buffer 1
		.amdhsa_user_sgpr_dispatch_ptr 0
		.amdhsa_user_sgpr_queue_ptr 0
		.amdhsa_user_sgpr_kernarg_segment_ptr 1
		.amdhsa_user_sgpr_dispatch_id 0
		.amdhsa_user_sgpr_flat_scratch_init 0
		.amdhsa_user_sgpr_kernarg_preload_length 0
		.amdhsa_user_sgpr_kernarg_preload_offset 0
		.amdhsa_user_sgpr_private_segment_size 0
		.amdhsa_uses_dynamic_stack 0
		.amdhsa_system_sgpr_private_segment_wavefront_offset 0
		.amdhsa_system_sgpr_workgroup_id_x 1
		.amdhsa_system_sgpr_workgroup_id_y 1
		.amdhsa_system_sgpr_workgroup_id_z 0
		.amdhsa_system_sgpr_workgroup_info 0
		.amdhsa_system_vgpr_workitem_id 1
		.amdhsa_next_free_vgpr 48
		.amdhsa_next_free_sgpr 26
		.amdhsa_accum_offset 48
		.amdhsa_reserve_vcc 1
		.amdhsa_reserve_flat_scratch 0
		.amdhsa_float_round_mode_32 0
		.amdhsa_float_round_mode_16_64 0
		.amdhsa_float_denorm_mode_32 3
		.amdhsa_float_denorm_mode_16_64 3
		.amdhsa_dx10_clamp 1
		.amdhsa_ieee_mode 1
		.amdhsa_fp16_overflow 0
		.amdhsa_tg_split 0
		.amdhsa_exception_fp_ieee_invalid_op 0
		.amdhsa_exception_fp_denorm_src 0
		.amdhsa_exception_fp_ieee_div_zero 0
		.amdhsa_exception_fp_ieee_overflow 0
		.amdhsa_exception_fp_ieee_underflow 0
		.amdhsa_exception_fp_ieee_inexact 0
		.amdhsa_exception_int_div_zero 0
	.end_amdhsa_kernel
	.section	.text._ZN2at6native12_GLOBAL__N_135GammaBetaBackwardCUDAKernelTemplateIffLj32ELj8ELj64ELb0ELb1ELb1EEEvllPKT_S5_PKT0_S8_PS3_S9_,"axG",@progbits,_ZN2at6native12_GLOBAL__N_135GammaBetaBackwardCUDAKernelTemplateIffLj32ELj8ELj64ELb0ELb1ELb1EEEvllPKT_S5_PKT0_S8_PS3_S9_,comdat
.Lfunc_end156:
	.size	_ZN2at6native12_GLOBAL__N_135GammaBetaBackwardCUDAKernelTemplateIffLj32ELj8ELj64ELb0ELb1ELb1EEEvllPKT_S5_PKT0_S8_PS3_S9_, .Lfunc_end156-_ZN2at6native12_GLOBAL__N_135GammaBetaBackwardCUDAKernelTemplateIffLj32ELj8ELj64ELb0ELb1ELb1EEEvllPKT_S5_PKT0_S8_PS3_S9_
                                        ; -- End function
	.section	.AMDGPU.csdata,"",@progbits
; Kernel info:
; codeLenInByte = 1340
; NumSgprs: 30
; NumVgprs: 48
; NumAgprs: 0
; TotalNumVgprs: 48
; ScratchSize: 0
; MemoryBound: 0
; FloatMode: 240
; IeeeMode: 1
; LDSByteSize: 0 bytes/workgroup (compile time only)
; SGPRBlocks: 3
; VGPRBlocks: 5
; NumSGPRsForWavesPerEU: 30
; NumVGPRsForWavesPerEU: 48
; AccumOffset: 48
; Occupancy: 8
; WaveLimiterHint : 0
; COMPUTE_PGM_RSRC2:SCRATCH_EN: 0
; COMPUTE_PGM_RSRC2:USER_SGPR: 6
; COMPUTE_PGM_RSRC2:TRAP_HANDLER: 0
; COMPUTE_PGM_RSRC2:TGID_X_EN: 1
; COMPUTE_PGM_RSRC2:TGID_Y_EN: 1
; COMPUTE_PGM_RSRC2:TGID_Z_EN: 0
; COMPUTE_PGM_RSRC2:TIDIG_COMP_CNT: 1
; COMPUTE_PGM_RSRC3_GFX90A:ACCUM_OFFSET: 11
; COMPUTE_PGM_RSRC3_GFX90A:TG_SPLIT: 0
	.section	.text._ZN2at6native12_GLOBAL__N_135GammaBetaBackwardCUDAKernelTemplateIffLj32ELj8ELj64ELb0ELb0ELb1EEEvllPKT_S5_PKT0_S8_PS3_S9_,"axG",@progbits,_ZN2at6native12_GLOBAL__N_135GammaBetaBackwardCUDAKernelTemplateIffLj32ELj8ELj64ELb0ELb0ELb1EEEvllPKT_S5_PKT0_S8_PS3_S9_,comdat
	.globl	_ZN2at6native12_GLOBAL__N_135GammaBetaBackwardCUDAKernelTemplateIffLj32ELj8ELj64ELb0ELb0ELb1EEEvllPKT_S5_PKT0_S8_PS3_S9_ ; -- Begin function _ZN2at6native12_GLOBAL__N_135GammaBetaBackwardCUDAKernelTemplateIffLj32ELj8ELj64ELb0ELb0ELb1EEEvllPKT_S5_PKT0_S8_PS3_S9_
	.p2align	8
	.type	_ZN2at6native12_GLOBAL__N_135GammaBetaBackwardCUDAKernelTemplateIffLj32ELj8ELj64ELb0ELb0ELb1EEEvllPKT_S5_PKT0_S8_PS3_S9_,@function
_ZN2at6native12_GLOBAL__N_135GammaBetaBackwardCUDAKernelTemplateIffLj32ELj8ELj64ELb0ELb0ELb1EEEvllPKT_S5_PKT0_S8_PS3_S9_: ; @_ZN2at6native12_GLOBAL__N_135GammaBetaBackwardCUDAKernelTemplateIffLj32ELj8ELj64ELb0ELb0ELb1EEEvllPKT_S5_PKT0_S8_PS3_S9_
; %bb.0:
	s_load_dwordx8 s[12:19], s[4:5], 0x0
	s_load_dwordx2 s[10:11], s[4:5], 0x28
	s_lshl_b32 s33, s6, 5
	s_or_b32 s28, s33, 31
	s_mov_b32 s29, 0
	s_waitcnt lgkmcnt(0)
	v_pk_mov_b32 v[2:3], s[14:15], s[14:15] op_sel:[0,1]
	v_cmp_ge_i64_e32 vcc, s[28:29], v[2:3]
	s_lshl_b32 s28, s7, 6
	v_pk_mov_b32 v[2:3], s[12:13], s[12:13] op_sel:[0,1]
	v_cmp_lt_i64_e64 s[0:1], s[28:29], v[2:3]
	v_cndmask_b32_e64 v1, 0, 1, s[0:1]
	v_cmp_ne_u32_e64 s[0:1], 1, v1
	s_cbranch_vccz .LBB157_49
; %bb.1:
	s_and_b64 vcc, exec, s[0:1]
	v_mov_b32_e32 v2, 0
	s_cbranch_vccnz .LBB157_50
; %bb.2:
	v_and_b32_e32 v59, 0x3ff, v0
	v_bfe_u32 v61, v0, 10, 10
	v_add_u32_e32 v2, s33, v59
	v_mov_b32_e32 v3, 0
	v_lshlrev_b32_e32 v26, 3, v61
	v_cmp_gt_i64_e64 s[2:3], s[14:15], v[2:3]
	v_lshlrev_b64 v[28:29], 2, v[2:3]
	v_mov_b32_e32 v1, s29
	v_add_co_u32_e32 v2, vcc, s28, v26
	v_addc_co_u32_e32 v6, vcc, 0, v1, vcc
	v_add_co_u32_e32 v1, vcc, 7, v2
	v_addc_co_u32_e32 v4, vcc, 0, v6, vcc
	v_mul_lo_u32 v7, s15, v1
	v_mul_lo_u32 v8, s14, v4
	v_mad_u64_u32 v[4:5], s[8:9], s14, v1, 0
	s_load_dword s7, s[4:5], 0x44
	v_add3_u32 v5, v5, v8, v7
	v_lshlrev_b64 v[4:5], 2, v[4:5]
	v_mov_b32_e32 v7, s17
	v_add_co_u32_e32 v30, vcc, s16, v4
	v_addc_co_u32_e32 v1, vcc, v7, v5, vcc
	s_add_u32 s30, s4, 64
	v_mov_b32_e32 v8, s19
	v_add_co_u32_e32 v32, vcc, s18, v4
	s_addc_u32 s31, s5, 0
	s_waitcnt lgkmcnt(0)
	s_lshl_b32 s7, s7, 6
	v_addc_co_u32_e32 v27, vcc, v8, v5, vcc
	s_mul_i32 s8, s15, s7
	s_mul_hi_u32 s9, s14, s7
	v_add_co_u32_e32 v4, vcc, 6, v2
	s_add_i32 s9, s9, s8
	s_mul_i32 s8, s14, s7
	v_addc_co_u32_e32 v5, vcc, 0, v6, vcc
	s_lshl_b64 s[34:35], s[8:9], 2
	v_mul_lo_u32 v9, s15, v4
	v_mul_lo_u32 v10, s14, v5
	v_mad_u64_u32 v[4:5], s[8:9], s14, v4, 0
	v_add3_u32 v5, v5, v10, v9
	v_lshlrev_b64 v[4:5], 2, v[4:5]
	v_add_co_u32_e32 v34, vcc, s16, v4
	v_addc_co_u32_e32 v31, vcc, v7, v5, vcc
	v_add_co_u32_e32 v36, vcc, s18, v4
	v_addc_co_u32_e32 v33, vcc, v8, v5, vcc
	v_add_co_u32_e32 v4, vcc, 5, v2
	v_addc_co_u32_e32 v5, vcc, 0, v6, vcc
	v_mul_lo_u32 v9, s15, v4
	v_mul_lo_u32 v10, s14, v5
	v_mad_u64_u32 v[4:5], s[8:9], s14, v4, 0
	v_add3_u32 v5, v5, v10, v9
	v_lshlrev_b64 v[4:5], 2, v[4:5]
	v_add_co_u32_e32 v38, vcc, s16, v4
	v_addc_co_u32_e32 v35, vcc, v7, v5, vcc
	v_add_co_u32_e32 v40, vcc, s18, v4
	v_addc_co_u32_e32 v37, vcc, v8, v5, vcc
	v_add_co_u32_e32 v4, vcc, 4, v2
	v_addc_co_u32_e32 v5, vcc, 0, v6, vcc
	;; [unrolled: 11-line block ×4, first 2 shown]
	v_mul_lo_u32 v9, s15, v4
	v_mul_lo_u32 v10, s14, v5
	v_mad_u64_u32 v[4:5], s[8:9], s14, v4, 0
	v_add3_u32 v5, v5, v10, v9
	v_lshlrev_b64 v[4:5], 2, v[4:5]
	v_add_co_u32_e32 v50, vcc, s16, v4
	v_addc_co_u32_e32 v47, vcc, v7, v5, vcc
	v_add_co_u32_e32 v52, vcc, s18, v4
	v_addc_co_u32_e32 v49, vcc, v8, v5, vcc
	v_pk_mov_b32 v[4:5], s[14:15], s[14:15] op_sel:[0,1]
	v_mad_u64_u32 v[4:5], s[8:9], s14, v2, v[4:5]
	v_mul_lo_u32 v6, s14, v6
	v_mul_lo_u32 v9, s15, v2
	v_add3_u32 v5, v9, v5, v6
	v_lshlrev_b64 v[4:5], 2, v[4:5]
	v_add_co_u32_e32 v54, vcc, s16, v4
	v_addc_co_u32_e32 v51, vcc, v7, v5, vcc
	v_add_co_u32_e32 v56, vcc, s18, v4
	v_addc_co_u32_e32 v53, vcc, v8, v5, vcc
	v_mad_u64_u32 v[4:5], s[8:9], s14, v2, 0
	v_add3_u32 v5, v5, v6, v9
	v_lshlrev_b64 v[4:5], 2, v[4:5]
	v_add_co_u32_e32 v58, vcc, s16, v4
	v_mbcnt_lo_u32_b32 v2, -1, 0
	v_addc_co_u32_e32 v55, vcc, v7, v5, vcc
	v_mbcnt_hi_u32_b32 v2, -1, v2
	s_add_u32 s36, s28, 63
	v_add_co_u32_e32 v60, vcc, s18, v4
	v_lshlrev_b32_e32 v2, 2, v2
	s_mov_b32 s20, 0
	s_addc_u32 s37, 0, 0
	v_addc_co_u32_e32 v57, vcc, v8, v5, vcc
	v_and_b32_e32 v62, 0x100, v2
	s_mov_b64 s[38:39], s[28:29]
	v_mov_b32_e32 v63, 0
.LBB157_3:                              ; =>This Inner Loop Header: Depth=1
	v_pk_mov_b32 v[4:5], s[12:13], s[12:13] op_sel:[0,1]
	v_cmp_ge_i64_e32 vcc, s[36:37], v[4:5]
	v_mov_b32_e32 v2, s37
	v_add_co_u32_e64 v64, s[8:9], s36, v26
	v_addc_co_u32_e64 v65, s[8:9], 0, v2, s[8:9]
	s_cbranch_vccz .LBB157_25
; %bb.4:                                ;   in Loop: Header=BB157_3 Depth=1
	s_load_dword s8, s[30:31], 0xc
	v_mov_b32_e32 v66, 0
	s_waitcnt lgkmcnt(0)
	s_and_b32 s8, s8, 0xffff
	v_mad_u32_u24 v2, v61, s8, v59
	v_and_b32_e32 v2, 63, v2
	v_cmp_gt_u32_e32 vcc, 8, v2
	s_and_saveexec_b64 s[8:9], vcc
	s_cbranch_execz .LBB157_8
; %bb.5:                                ;   in Loop: Header=BB157_3 Depth=1
	v_add_co_u32_e32 v2, vcc, v64, v2
	v_addc_co_u32_e32 v5, vcc, 0, v65, vcc
	v_add_co_u32_e32 v4, vcc, 0xffffffc1, v2
	v_addc_co_u32_e32 v5, vcc, -1, v5, vcc
	v_cmp_gt_i64_e32 vcc, s[12:13], v[4:5]
	v_mov_b32_e32 v66, 0
	s_and_saveexec_b64 s[22:23], vcc
	s_cbranch_execz .LBB157_7
; %bb.6:                                ;   in Loop: Header=BB157_3 Depth=1
	v_lshlrev_b64 v[4:5], 2, v[4:5]
	v_mov_b32_e32 v2, s11
	v_add_co_u32_e32 v4, vcc, s10, v4
	v_addc_co_u32_e32 v5, vcc, v2, v5, vcc
	global_load_dword v66, v[4:5], off
.LBB157_7:                              ;   in Loop: Header=BB157_3 Depth=1
	s_or_b64 exec, exec, s[22:23]
.LBB157_8:                              ;   in Loop: Header=BB157_3 Depth=1
	s_or_b64 exec, exec, s[8:9]
	s_mov_b32 s21, s20
	v_add_co_u32_e32 v4, vcc, 0xffffffc1, v64
	s_mov_b32 s22, s20
	s_mov_b32 s23, s20
	s_mov_b32 s24, s20
	s_mov_b32 s25, s20
	s_mov_b32 s26, s20
	s_mov_b32 s27, s20
	v_pk_mov_b32 v[10:11], s[20:21], s[20:21] op_sel:[0,1]
	v_addc_co_u32_e32 v5, vcc, -1, v65, vcc
	v_pk_mov_b32 v[16:17], s[26:27], s[26:27] op_sel:[0,1]
	v_cmp_gt_i64_e32 vcc, s[12:13], v[4:5]
	v_pk_mov_b32 v[12:13], s[22:23], s[22:23] op_sel:[0,1]
	v_pk_mov_b32 v[14:15], s[24:25], s[24:25] op_sel:[0,1]
	;; [unrolled: 1-line block ×3, first 2 shown]
	s_and_b64 s[40:41], s[2:3], vcc
	v_pk_mov_b32 v[22:23], v[14:15], v[14:15] op_sel:[0,1]
	v_pk_mov_b32 v[20:21], v[12:13], v[12:13] op_sel:[0,1]
	v_pk_mov_b32 v[18:19], v[10:11], v[10:11] op_sel:[0,1]
	s_and_saveexec_b64 s[8:9], s[40:41]
	s_cbranch_execz .LBB157_10
; %bb.9:                                ;   in Loop: Header=BB157_3 Depth=1
	v_add_co_u32_e32 v4, vcc, v58, v28
	v_addc_co_u32_e32 v5, vcc, v55, v29, vcc
	global_load_dword v2, v[4:5], off
	v_add_co_u32_e32 v4, vcc, v60, v28
	v_addc_co_u32_e32 v5, vcc, v57, v29, vcc
	global_load_dword v10, v[4:5], off
	v_mov_b32_e32 v8, v3
	v_mov_b32_e32 v9, v3
	;; [unrolled: 1-line block ×6, first 2 shown]
	s_waitcnt vmcnt(1)
	v_pk_mov_b32 v[24:25], v[8:9], v[8:9] op_sel:[0,1]
	v_mov_b32_e32 v11, v3
	v_mov_b32_e32 v12, v3
	v_mov_b32_e32 v13, v3
	v_mov_b32_e32 v14, v3
	v_mov_b32_e32 v15, v3
	v_mov_b32_e32 v16, v3
	v_mov_b32_e32 v17, v3
	v_pk_mov_b32 v[22:23], v[6:7], v[6:7] op_sel:[0,1]
	v_pk_mov_b32 v[20:21], v[4:5], v[4:5] op_sel:[0,1]
	;; [unrolled: 1-line block ×3, first 2 shown]
.LBB157_10:                             ;   in Loop: Header=BB157_3 Depth=1
	s_or_b64 exec, exec, s[8:9]
	v_add_co_u32_e32 v4, vcc, 0xffffffc2, v64
	v_addc_co_u32_e32 v5, vcc, -1, v65, vcc
	v_cmp_gt_i64_e32 vcc, s[12:13], v[4:5]
	s_and_b64 s[22:23], s[2:3], vcc
	s_and_saveexec_b64 s[8:9], s[22:23]
	s_cbranch_execz .LBB157_12
; %bb.11:                               ;   in Loop: Header=BB157_3 Depth=1
	v_add_co_u32_e32 v4, vcc, v54, v28
	v_addc_co_u32_e32 v5, vcc, v51, v29, vcc
	global_load_dword v19, v[4:5], off
	v_add_co_u32_e32 v4, vcc, v56, v28
	v_addc_co_u32_e32 v5, vcc, v53, v29, vcc
	global_load_dword v11, v[4:5], off
.LBB157_12:                             ;   in Loop: Header=BB157_3 Depth=1
	s_or_b64 exec, exec, s[8:9]
	v_add_co_u32_e32 v4, vcc, 0xffffffc3, v64
	v_addc_co_u32_e32 v5, vcc, -1, v65, vcc
	v_cmp_gt_i64_e32 vcc, s[12:13], v[4:5]
	s_and_b64 s[22:23], s[2:3], vcc
	s_and_saveexec_b64 s[8:9], s[22:23]
	s_cbranch_execz .LBB157_14
; %bb.13:                               ;   in Loop: Header=BB157_3 Depth=1
	v_add_co_u32_e32 v4, vcc, v50, v28
	v_addc_co_u32_e32 v5, vcc, v47, v29, vcc
	global_load_dword v20, v[4:5], off
	v_add_co_u32_e32 v4, vcc, v52, v28
	v_addc_co_u32_e32 v5, vcc, v49, v29, vcc
	global_load_dword v12, v[4:5], off
.LBB157_14:                             ;   in Loop: Header=BB157_3 Depth=1
	;; [unrolled: 15-line block ×7, first 2 shown]
	s_or_b64 exec, exec, s[8:9]
	s_waitcnt vmcnt(0)
	ds_bpermute_b32 v4, v62, v66 offset:4
	ds_bpermute_b32 v5, v62, v66 offset:8
	ds_bpermute_b32 v2, v62, v66
	v_mul_f32_e32 v8, v10, v18
	v_pk_mul_f32 v[10:11], v[10:11], v[18:19]
	v_pk_mul_f32 v[12:13], v[12:13], v[20:21]
	v_mov_b32_e32 v10, v11
	v_mov_b32_e32 v11, v12
	s_waitcnt lgkmcnt(1)
	v_pk_mul_f32 v[4:5], v[10:11], v[4:5]
	ds_bpermute_b32 v10, v62, v66 offset:12
	ds_bpermute_b32 v11, v62, v66 offset:16
	s_waitcnt lgkmcnt(2)
	v_fma_f32 v2, v8, v2, v63
	v_pk_mul_f32 v[8:9], v[14:15], v[22:23]
	v_add_f32_e32 v2, v2, v4
	v_add_f32_e32 v2, v2, v5
	v_mov_b32_e32 v4, v13
	v_mov_b32_e32 v5, v8
	s_waitcnt lgkmcnt(0)
	v_pk_mul_f32 v[4:5], v[4:5], v[10:11]
	ds_bpermute_b32 v10, v62, v66 offset:20
	ds_bpermute_b32 v11, v62, v66 offset:24
	v_pk_mul_f32 v[6:7], v[16:17], v[24:25]
	v_add_f32_e32 v2, v2, v4
	ds_bpermute_b32 v4, v62, v66 offset:28
	v_mov_b32_e32 v8, v9
	v_mov_b32_e32 v9, v6
	v_add_f32_e32 v2, v2, v5
	s_waitcnt lgkmcnt(1)
	v_pk_mul_f32 v[6:7], v[8:9], v[10:11]
	v_add_f32_e32 v2, v2, v6
	v_add_f32_e32 v2, v2, v7
	s_branch .LBB157_40
.LBB157_25:                             ;   in Loop: Header=BB157_3 Depth=1
                                        ; implicit-def: $vgpr2
                                        ; implicit-def: $vgpr10_vgpr11_vgpr12_vgpr13_vgpr14_vgpr15_vgpr16_vgpr17
                                        ; implicit-def: $vgpr18_vgpr19_vgpr20_vgpr21_vgpr22_vgpr23_vgpr24_vgpr25
                                        ; implicit-def: $vgpr4
	s_cbranch_execz .LBB157_40
; %bb.26:                               ;   in Loop: Header=BB157_3 Depth=1
	s_load_dword s8, s[30:31], 0x0
	v_mov_b32_e32 v66, 0
	s_waitcnt lgkmcnt(0)
	s_cmp_lt_u32 s6, s8
	s_cselect_b32 s8, 12, 18
	s_add_u32 s8, s30, s8
	s_addc_u32 s9, s31, 0
	global_load_ushort v2, v3, s[8:9]
	s_waitcnt vmcnt(0)
	v_mad_u32_u24 v2, v61, v2, v59
	v_and_b32_e32 v2, 63, v2
	v_cmp_gt_u32_e32 vcc, 8, v2
	s_and_saveexec_b64 s[8:9], vcc
	s_cbranch_execz .LBB157_30
; %bb.27:                               ;   in Loop: Header=BB157_3 Depth=1
	v_add_co_u32_e32 v2, vcc, v64, v2
	v_addc_co_u32_e32 v5, vcc, 0, v65, vcc
	v_add_co_u32_e32 v4, vcc, 0xffffffc1, v2
	v_addc_co_u32_e32 v5, vcc, -1, v5, vcc
	v_cmp_gt_i64_e32 vcc, s[12:13], v[4:5]
	v_mov_b32_e32 v66, 0
	s_and_saveexec_b64 s[22:23], vcc
	s_cbranch_execz .LBB157_29
; %bb.28:                               ;   in Loop: Header=BB157_3 Depth=1
	v_lshlrev_b64 v[4:5], 2, v[4:5]
	v_mov_b32_e32 v2, s11
	v_add_co_u32_e32 v4, vcc, s10, v4
	v_addc_co_u32_e32 v5, vcc, v2, v5, vcc
	global_load_dword v66, v[4:5], off
.LBB157_29:                             ;   in Loop: Header=BB157_3 Depth=1
	s_or_b64 exec, exec, s[22:23]
.LBB157_30:                             ;   in Loop: Header=BB157_3 Depth=1
	s_or_b64 exec, exec, s[8:9]
	s_mov_b32 s21, s20
	s_mov_b32 s22, s20
	;; [unrolled: 1-line block ×7, first 2 shown]
	v_pk_mov_b32 v[10:11], s[20:21], s[20:21] op_sel:[0,1]
	v_pk_mov_b32 v[16:17], s[26:27], s[26:27] op_sel:[0,1]
	;; [unrolled: 1-line block ×8, first 2 shown]
	s_and_saveexec_b64 s[8:9], s[2:3]
	s_cbranch_execnz .LBB157_42
; %bb.31:                               ;   in Loop: Header=BB157_3 Depth=1
	s_or_b64 exec, exec, s[8:9]
	s_and_saveexec_b64 s[8:9], s[2:3]
	s_cbranch_execnz .LBB157_43
.LBB157_32:                             ;   in Loop: Header=BB157_3 Depth=1
	s_or_b64 exec, exec, s[8:9]
	s_and_saveexec_b64 s[8:9], s[2:3]
	s_cbranch_execnz .LBB157_44
.LBB157_33:                             ;   in Loop: Header=BB157_3 Depth=1
	s_or_b64 exec, exec, s[8:9]
	s_and_saveexec_b64 s[8:9], s[2:3]
	s_cbranch_execnz .LBB157_45
.LBB157_34:                             ;   in Loop: Header=BB157_3 Depth=1
	s_or_b64 exec, exec, s[8:9]
	s_and_saveexec_b64 s[8:9], s[2:3]
	s_cbranch_execnz .LBB157_46
.LBB157_35:                             ;   in Loop: Header=BB157_3 Depth=1
	s_or_b64 exec, exec, s[8:9]
	s_and_saveexec_b64 s[8:9], s[2:3]
	s_cbranch_execnz .LBB157_47
.LBB157_36:                             ;   in Loop: Header=BB157_3 Depth=1
	s_or_b64 exec, exec, s[8:9]
	s_and_saveexec_b64 s[8:9], s[2:3]
	s_cbranch_execnz .LBB157_48
.LBB157_37:                             ;   in Loop: Header=BB157_3 Depth=1
	s_or_b64 exec, exec, s[8:9]
	s_and_saveexec_b64 s[8:9], s[2:3]
	s_cbranch_execz .LBB157_39
.LBB157_38:                             ;   in Loop: Header=BB157_3 Depth=1
	v_add_co_u32_e32 v4, vcc, v30, v28
	v_addc_co_u32_e32 v5, vcc, v1, v29, vcc
	global_load_dword v25, v[4:5], off
	v_add_co_u32_e32 v4, vcc, v32, v28
	v_addc_co_u32_e32 v5, vcc, v27, v29, vcc
	global_load_dword v17, v[4:5], off
.LBB157_39:                             ;   in Loop: Header=BB157_3 Depth=1
	s_or_b64 exec, exec, s[8:9]
	s_waitcnt vmcnt(0)
	ds_bpermute_b32 v4, v62, v66 offset:4
	ds_bpermute_b32 v5, v62, v66 offset:8
	ds_bpermute_b32 v2, v62, v66
	v_mul_f32_e32 v8, v10, v18
	v_pk_mul_f32 v[10:11], v[10:11], v[18:19]
	v_pk_mul_f32 v[12:13], v[12:13], v[20:21]
	v_mov_b32_e32 v10, v11
	v_mov_b32_e32 v11, v12
	s_waitcnt lgkmcnt(1)
	v_pk_mul_f32 v[4:5], v[10:11], v[4:5]
	ds_bpermute_b32 v10, v62, v66 offset:12
	ds_bpermute_b32 v11, v62, v66 offset:16
	s_waitcnt lgkmcnt(2)
	v_fmac_f32_e32 v63, v8, v2
	v_pk_mul_f32 v[8:9], v[14:15], v[22:23]
	v_add_f32_e32 v2, v63, v4
	v_add_f32_e32 v2, v2, v5
	v_mov_b32_e32 v4, v13
	v_mov_b32_e32 v5, v8
	s_waitcnt lgkmcnt(0)
	v_pk_mul_f32 v[4:5], v[4:5], v[10:11]
	ds_bpermute_b32 v10, v62, v66 offset:20
	ds_bpermute_b32 v11, v62, v66 offset:24
	v_pk_mul_f32 v[6:7], v[16:17], v[24:25]
	v_add_f32_e32 v2, v2, v4
	v_mov_b32_e32 v8, v9
	v_mov_b32_e32 v9, v6
	v_add_f32_e32 v2, v2, v5
	s_waitcnt lgkmcnt(0)
	v_pk_mul_f32 v[6:7], v[8:9], v[10:11]
	v_add_f32_e32 v2, v2, v6
	ds_bpermute_b32 v4, v62, v66 offset:28
	v_add_f32_e32 v2, v2, v7
.LBB157_40:                             ;   in Loop: Header=BB157_3 Depth=1
	v_mul_f32_e32 v5, v25, v17
	s_waitcnt lgkmcnt(0)
	v_fmac_f32_e32 v2, v5, v4
	v_mov_b32_e32 v4, s35
	v_add_co_u32_e32 v30, vcc, s34, v30
	v_addc_co_u32_e32 v1, vcc, v1, v4, vcc
	v_add_co_u32_e32 v32, vcc, s34, v32
	v_addc_co_u32_e32 v27, vcc, v27, v4, vcc
	;; [unrolled: 2-line block ×15, first 2 shown]
	s_add_u32 s38, s38, s7
	v_add_co_u32_e32 v60, vcc, s34, v60
	s_addc_u32 s39, s39, 0
	v_addc_co_u32_e32 v57, vcc, v57, v4, vcc
	v_pk_mov_b32 v[4:5], s[12:13], s[12:13] op_sel:[0,1]
	s_add_u32 s36, s36, s7
	v_cmp_lt_i64_e32 vcc, s[38:39], v[4:5]
	s_addc_u32 s37, s37, 0
	s_cbranch_vccz .LBB157_50
; %bb.41:                               ;   in Loop: Header=BB157_3 Depth=1
	v_mov_b32_e32 v63, v2
	s_branch .LBB157_3
.LBB157_42:                             ;   in Loop: Header=BB157_3 Depth=1
	v_add_co_u32_e32 v4, vcc, v58, v28
	v_addc_co_u32_e32 v5, vcc, v55, v29, vcc
	global_load_dword v2, v[4:5], off
	v_add_co_u32_e32 v4, vcc, v60, v28
	v_addc_co_u32_e32 v5, vcc, v57, v29, vcc
	global_load_dword v10, v[4:5], off
	v_mov_b32_e32 v8, v3
	v_mov_b32_e32 v9, v3
	;; [unrolled: 1-line block ×6, first 2 shown]
	s_waitcnt vmcnt(1)
	v_pk_mov_b32 v[24:25], v[8:9], v[8:9] op_sel:[0,1]
	v_mov_b32_e32 v11, v3
	v_mov_b32_e32 v12, v3
	;; [unrolled: 1-line block ×7, first 2 shown]
	v_pk_mov_b32 v[22:23], v[6:7], v[6:7] op_sel:[0,1]
	v_pk_mov_b32 v[20:21], v[4:5], v[4:5] op_sel:[0,1]
	v_pk_mov_b32 v[18:19], v[2:3], v[2:3] op_sel:[0,1]
	s_or_b64 exec, exec, s[8:9]
	s_and_saveexec_b64 s[8:9], s[2:3]
	s_cbranch_execz .LBB157_32
.LBB157_43:                             ;   in Loop: Header=BB157_3 Depth=1
	v_add_co_u32_e32 v4, vcc, v54, v28
	v_addc_co_u32_e32 v5, vcc, v51, v29, vcc
	global_load_dword v19, v[4:5], off
	v_add_co_u32_e32 v4, vcc, v56, v28
	v_addc_co_u32_e32 v5, vcc, v53, v29, vcc
	global_load_dword v11, v[4:5], off
	s_or_b64 exec, exec, s[8:9]
	s_and_saveexec_b64 s[8:9], s[2:3]
	s_cbranch_execz .LBB157_33
.LBB157_44:                             ;   in Loop: Header=BB157_3 Depth=1
	v_add_co_u32_e32 v4, vcc, v50, v28
	v_addc_co_u32_e32 v5, vcc, v47, v29, vcc
	global_load_dword v20, v[4:5], off
	v_add_co_u32_e32 v4, vcc, v52, v28
	v_addc_co_u32_e32 v5, vcc, v49, v29, vcc
	global_load_dword v12, v[4:5], off
	s_or_b64 exec, exec, s[8:9]
	s_and_saveexec_b64 s[8:9], s[2:3]
	s_cbranch_execz .LBB157_34
.LBB157_45:                             ;   in Loop: Header=BB157_3 Depth=1
	v_add_co_u32_e32 v4, vcc, v46, v28
	v_addc_co_u32_e32 v5, vcc, v43, v29, vcc
	global_load_dword v21, v[4:5], off
	v_add_co_u32_e32 v4, vcc, v48, v28
	v_addc_co_u32_e32 v5, vcc, v45, v29, vcc
	global_load_dword v13, v[4:5], off
	s_or_b64 exec, exec, s[8:9]
	s_and_saveexec_b64 s[8:9], s[2:3]
	s_cbranch_execz .LBB157_35
.LBB157_46:                             ;   in Loop: Header=BB157_3 Depth=1
	v_add_co_u32_e32 v4, vcc, v42, v28
	v_addc_co_u32_e32 v5, vcc, v39, v29, vcc
	global_load_dword v22, v[4:5], off
	v_add_co_u32_e32 v4, vcc, v44, v28
	v_addc_co_u32_e32 v5, vcc, v41, v29, vcc
	global_load_dword v14, v[4:5], off
	s_or_b64 exec, exec, s[8:9]
	s_and_saveexec_b64 s[8:9], s[2:3]
	s_cbranch_execz .LBB157_36
.LBB157_47:                             ;   in Loop: Header=BB157_3 Depth=1
	v_add_co_u32_e32 v4, vcc, v38, v28
	v_addc_co_u32_e32 v5, vcc, v35, v29, vcc
	global_load_dword v23, v[4:5], off
	v_add_co_u32_e32 v4, vcc, v40, v28
	v_addc_co_u32_e32 v5, vcc, v37, v29, vcc
	global_load_dword v15, v[4:5], off
	s_or_b64 exec, exec, s[8:9]
	s_and_saveexec_b64 s[8:9], s[2:3]
	s_cbranch_execz .LBB157_37
.LBB157_48:                             ;   in Loop: Header=BB157_3 Depth=1
	v_add_co_u32_e32 v4, vcc, v34, v28
	v_addc_co_u32_e32 v5, vcc, v31, v29, vcc
	global_load_dword v24, v[4:5], off
	v_add_co_u32_e32 v4, vcc, v36, v28
	v_addc_co_u32_e32 v5, vcc, v33, v29, vcc
	global_load_dword v16, v[4:5], off
	s_or_b64 exec, exec, s[8:9]
	s_and_saveexec_b64 s[8:9], s[2:3]
	s_cbranch_execnz .LBB157_38
	s_branch .LBB157_39
.LBB157_49:
                                        ; implicit-def: $vgpr2
	s_branch .LBB157_51
.LBB157_50:
	s_cbranch_execnz .LBB157_83
.LBB157_51:
	s_and_b64 vcc, exec, s[0:1]
	v_mov_b32_e32 v2, 0
	s_cbranch_vccnz .LBB157_83
; %bb.52:
	s_load_dword s0, s[4:5], 0x44
	s_add_u32 s2, s4, 64
	s_addc_u32 s3, s5, 0
	v_bfe_u32 v85, v0, 10, 10
	v_lshlrev_b32_e32 v1, 5, v85
	s_waitcnt lgkmcnt(0)
	s_lshl_b32 s7, s0, 6
	s_add_u32 s8, s28, 63
	s_addc_u32 s9, 0, 0
	s_lshl_b64 s[0:1], s[28:29], 2
	v_mov_b32_e32 v2, s1
	v_add_co_u32_e32 v1, vcc, s0, v1
	v_addc_co_u32_e32 v4, vcc, 0, v2, vcc
	v_add_co_u32_e32 v6, vcc, 4, v1
	v_addc_co_u32_e32 v5, vcc, 0, v4, vcc
	v_add_co_u32_e32 v9, vcc, 8, v1
	v_mul_lo_u32 v7, s14, v5
	v_addc_co_u32_e32 v5, vcc, 0, v4, vcc
	v_add_co_u32_e32 v12, vcc, 12, v1
	v_mul_lo_u32 v10, s14, v5
	;; [unrolled: 3-line block ×5, first 2 shown]
	v_addc_co_u32_e32 v5, vcc, 0, v4, vcc
	v_add_co_u32_e32 v24, vcc, 28, v1
	v_lshlrev_b32_e32 v26, 3, v85
	v_addc_co_u32_e32 v1, vcc, 0, v4, vcc
	v_mul_lo_u32 v25, s14, v1
	v_mov_b32_e32 v1, s29
	v_add_co_u32_e32 v43, vcc, s28, v26
	v_pk_mov_b32 v[2:3], s[16:17], s[16:17] op_sel:[0,1]
	v_addc_co_u32_e32 v59, vcc, 0, v1, vcc
	v_mad_u64_u32 v[28:29], s[0:1], s14, v6, v[2:3]
	v_mad_u64_u32 v[30:31], s[0:1], s14, v9, v[2:3]
	;; [unrolled: 1-line block ×7, first 2 shown]
	v_mul_lo_u32 v60, s15, v43
	v_mul_lo_u32 v61, s14, v59
	v_mad_u64_u32 v[2:3], s[0:1], s14, v43, 0
	v_add3_u32 v3, v3, v61, v60
	v_lshlrev_b64 v[2:3], 2, v[2:3]
	v_mul_lo_u32 v22, s14, v5
	v_mov_b32_e32 v81, s17
	v_add_co_u32_e32 v42, vcc, s16, v2
	v_pk_mov_b32 v[4:5], s[18:19], s[18:19] op_sel:[0,1]
	v_mul_lo_u32 v17, s15, v15
	v_addc_co_u32_e32 v1, vcc, v81, v3, vcc
	v_mad_u64_u32 v[50:51], s[0:1], s14, v15, v[4:5]
	v_add3_u32 v35, v17, v35, v16
	v_mul_lo_u32 v27, s15, v24
	v_add3_u32 v51, v17, v51, v16
	v_mad_u64_u32 v[56:57], s[0:1], s14, v24, v[4:5]
	v_mov_b32_e32 v16, s19
	v_add_co_u32_e32 v58, vcc, s18, v2
	v_add3_u32 v41, v27, v41, v25
	v_add3_u32 v57, v27, v57, v25
	v_addc_co_u32_e32 v27, vcc, v16, v3, vcc
	v_add_co_u32_e32 v2, vcc, 7, v43
	v_addc_co_u32_e32 v3, vcc, 0, v59, vcc
	v_mad_u64_u32 v[44:45], s[0:1], s14, v6, v[4:5]
	v_mad_u64_u32 v[46:47], s[0:1], s14, v9, v[4:5]
	;; [unrolled: 1-line block ×5, first 2 shown]
	v_mul_lo_u32 v4, s15, v2
	v_mul_lo_u32 v5, s14, v3
	v_mad_u64_u32 v[2:3], s[0:1], s14, v2, 0
	v_add3_u32 v3, v3, v5, v4
	v_add_co_u32_e32 v4, vcc, 6, v43
	v_mul_lo_u32 v8, s15, v6
	v_addc_co_u32_e32 v5, vcc, 0, v59, vcc
	v_add3_u32 v29, v8, v29, v7
	v_add3_u32 v45, v8, v45, v7
	v_mul_lo_u32 v6, s15, v4
	v_mul_lo_u32 v7, s14, v5
	v_mad_u64_u32 v[4:5], s[0:1], s14, v4, 0
	v_add3_u32 v5, v5, v7, v6
	v_add_co_u32_e32 v6, vcc, 5, v43
	v_addc_co_u32_e32 v7, vcc, 0, v59, vcc
	v_mul_lo_u32 v11, s15, v9
	v_mul_lo_u32 v8, s15, v6
	;; [unrolled: 1-line block ×3, first 2 shown]
	v_mad_u64_u32 v[6:7], s[0:1], s14, v6, 0
	v_add3_u32 v7, v7, v9, v8
	v_add_co_u32_e32 v8, vcc, 4, v43
	v_addc_co_u32_e32 v9, vcc, 0, v59, vcc
	v_add3_u32 v31, v11, v31, v10
	v_add3_u32 v47, v11, v47, v10
	v_mul_lo_u32 v10, s15, v8
	v_mul_lo_u32 v11, s14, v9
	v_mad_u64_u32 v[8:9], s[0:1], s14, v8, 0
	v_add3_u32 v9, v9, v11, v10
	v_add_co_u32_e32 v10, vcc, 3, v43
	v_mul_lo_u32 v14, s15, v12
	v_addc_co_u32_e32 v11, vcc, 0, v59, vcc
	v_add3_u32 v33, v14, v33, v13
	v_add3_u32 v49, v14, v49, v13
	v_mul_lo_u32 v12, s15, v10
	v_mul_lo_u32 v13, s14, v11
	v_mad_u64_u32 v[10:11], s[0:1], s14, v10, 0
	v_add3_u32 v11, v11, v13, v12
	v_add_co_u32_e32 v12, vcc, 2, v43
	v_addc_co_u32_e32 v13, vcc, 0, v59, vcc
	v_mul_lo_u32 v14, s15, v12
	v_mul_lo_u32 v15, s14, v13
	v_mad_u64_u32 v[12:13], s[0:1], s14, v12, 0
	v_add3_u32 v13, v13, v15, v14
	v_pk_mov_b32 v[14:15], s[14:15], s[14:15] op_sel:[0,1]
	v_lshlrev_b64 v[2:3], 2, v[2:3]
	v_mad_u64_u32 v[14:15], s[0:1], s14, v43, v[14:15]
	v_add3_u32 v15, v60, v15, v61
	v_add_co_u32_e32 v60, vcc, s16, v2
	v_addc_co_u32_e32 v43, vcc, v81, v3, vcc
	v_add_co_u32_e32 v62, vcc, s18, v2
	v_addc_co_u32_e32 v59, vcc, v16, v3, vcc
	v_lshlrev_b64 v[2:3], 2, v[4:5]
	v_add_co_u32_e32 v64, vcc, s16, v2
	v_addc_co_u32_e32 v61, vcc, v81, v3, vcc
	v_add_co_u32_e32 v66, vcc, s18, v2
	v_addc_co_u32_e32 v63, vcc, v16, v3, vcc
	v_lshlrev_b64 v[2:3], 2, v[6:7]
	;; [unrolled: 5-line block ×6, first 2 shown]
	v_add_co_u32_e32 v84, vcc, s16, v2
	v_addc_co_u32_e32 v81, vcc, v81, v3, vcc
	v_mbcnt_lo_u32_b32 v4, -1, 0
	v_add_co_u32_e32 v86, vcc, s18, v2
	v_and_b32_e32 v87, 0x3ff, v0
	s_mul_i32 s0, s15, s7
	s_mul_hi_u32 s1, s14, s7
	v_mbcnt_hi_u32_b32 v4, -1, v4
	v_mul_lo_u32 v20, s15, v18
	v_mul_lo_u32 v23, s15, v21
	v_addc_co_u32_e32 v83, vcc, v16, v3, vcc
	v_add_u32_e32 v2, s33, v87
	v_mov_b32_e32 v3, 0
	s_add_i32 s1, s1, s0
	s_mul_i32 s0, s14, s7
	v_lshlrev_b32_e32 v4, 2, v4
	v_add3_u32 v37, v20, v37, v19
	v_add3_u32 v39, v23, v39, v22
	;; [unrolled: 1-line block ×4, first 2 shown]
	s_mov_b32 s16, 0
	s_lshl_b64 s[24:25], s[0:1], 2
	v_and_b32_e32 v90, 0x100, v4
	v_mov_b32_e32 v91, 0
	v_lshlrev_b64 v[88:89], 2, v[2:3]
.LBB157_53:                             ; =>This Inner Loop Header: Depth=1
	v_pk_mov_b32 v[4:5], s[12:13], s[12:13] op_sel:[0,1]
	v_cmp_ge_i64_e32 vcc, s[8:9], v[4:5]
	v_mov_b32_e32 v2, s9
	v_add_co_u32_e64 v92, s[0:1], s8, v26
	v_addc_co_u32_e64 v93, s[0:1], 0, v2, s[0:1]
	s_cbranch_vccz .LBB157_75
; %bb.54:                               ;   in Loop: Header=BB157_53 Depth=1
	s_load_dword s0, s[2:3], 0xc
	v_mov_b32_e32 v94, 0
	s_waitcnt lgkmcnt(0)
	s_and_b32 s0, s0, 0xffff
	v_mad_u32_u24 v2, v85, s0, v87
	v_and_b32_e32 v2, 63, v2
	v_cmp_gt_u32_e32 vcc, 8, v2
	s_and_saveexec_b64 s[0:1], vcc
	s_cbranch_execz .LBB157_58
; %bb.55:                               ;   in Loop: Header=BB157_53 Depth=1
	v_add_co_u32_e32 v2, vcc, v92, v2
	v_addc_co_u32_e32 v5, vcc, 0, v93, vcc
	v_add_co_u32_e32 v4, vcc, 0xffffffc1, v2
	v_addc_co_u32_e32 v5, vcc, -1, v5, vcc
	v_cmp_gt_i64_e32 vcc, s[12:13], v[4:5]
	v_mov_b32_e32 v94, 0
	s_and_saveexec_b64 s[18:19], vcc
	s_cbranch_execz .LBB157_57
; %bb.56:                               ;   in Loop: Header=BB157_53 Depth=1
	v_lshlrev_b64 v[4:5], 2, v[4:5]
	v_mov_b32_e32 v2, s11
	v_add_co_u32_e32 v4, vcc, s10, v4
	v_addc_co_u32_e32 v5, vcc, v2, v5, vcc
	global_load_dword v94, v[4:5], off
.LBB157_57:                             ;   in Loop: Header=BB157_53 Depth=1
	s_or_b64 exec, exec, s[18:19]
.LBB157_58:                             ;   in Loop: Header=BB157_53 Depth=1
	s_or_b64 exec, exec, s[0:1]
	s_mov_b32 s17, s16
	s_mov_b32 s18, s16
	;; [unrolled: 1-line block ×7, first 2 shown]
	v_pk_mov_b32 v[10:11], s[16:17], s[16:17] op_sel:[0,1]
	v_add_co_u32_e32 v4, vcc, 0xffffffc1, v92
	v_pk_mov_b32 v[16:17], s[22:23], s[22:23] op_sel:[0,1]
	v_addc_co_u32_e32 v5, vcc, -1, v93, vcc
	v_pk_mov_b32 v[12:13], s[18:19], s[18:19] op_sel:[0,1]
	v_pk_mov_b32 v[14:15], s[20:21], s[20:21] op_sel:[0,1]
	;; [unrolled: 1-line block ×3, first 2 shown]
	v_cmp_gt_i64_e32 vcc, s[12:13], v[4:5]
	v_pk_mov_b32 v[22:23], v[14:15], v[14:15] op_sel:[0,1]
	v_pk_mov_b32 v[20:21], v[12:13], v[12:13] op_sel:[0,1]
	;; [unrolled: 1-line block ×3, first 2 shown]
	s_and_saveexec_b64 s[0:1], vcc
	s_cbranch_execz .LBB157_60
; %bb.59:                               ;   in Loop: Header=BB157_53 Depth=1
	v_add_co_u32_e32 v4, vcc, v42, v88
	v_addc_co_u32_e32 v5, vcc, v1, v89, vcc
	global_load_dword v2, v[4:5], off
	v_add_co_u32_e32 v4, vcc, v58, v88
	v_addc_co_u32_e32 v5, vcc, v27, v89, vcc
	global_load_dword v10, v[4:5], off
	v_mov_b32_e32 v8, v3
	v_mov_b32_e32 v9, v3
	;; [unrolled: 1-line block ×6, first 2 shown]
	s_waitcnt vmcnt(1)
	v_pk_mov_b32 v[24:25], v[8:9], v[8:9] op_sel:[0,1]
	v_mov_b32_e32 v11, v3
	v_mov_b32_e32 v12, v3
	v_mov_b32_e32 v13, v3
	v_mov_b32_e32 v14, v3
	v_mov_b32_e32 v15, v3
	v_mov_b32_e32 v16, v3
	v_mov_b32_e32 v17, v3
	v_pk_mov_b32 v[22:23], v[6:7], v[6:7] op_sel:[0,1]
	v_pk_mov_b32 v[20:21], v[4:5], v[4:5] op_sel:[0,1]
	;; [unrolled: 1-line block ×3, first 2 shown]
.LBB157_60:                             ;   in Loop: Header=BB157_53 Depth=1
	s_or_b64 exec, exec, s[0:1]
	v_add_co_u32_e32 v4, vcc, 0xffffffc2, v92
	v_addc_co_u32_e32 v5, vcc, -1, v93, vcc
	v_cmp_gt_i64_e32 vcc, s[12:13], v[4:5]
	s_and_saveexec_b64 s[0:1], vcc
	s_cbranch_execz .LBB157_62
; %bb.61:                               ;   in Loop: Header=BB157_53 Depth=1
	v_add_co_u32_e32 v4, vcc, v84, v88
	v_addc_co_u32_e32 v5, vcc, v81, v89, vcc
	global_load_dword v19, v[4:5], off
	v_add_co_u32_e32 v4, vcc, v86, v88
	v_addc_co_u32_e32 v5, vcc, v83, v89, vcc
	global_load_dword v11, v[4:5], off
.LBB157_62:                             ;   in Loop: Header=BB157_53 Depth=1
	s_or_b64 exec, exec, s[0:1]
	v_add_co_u32_e32 v4, vcc, 0xffffffc3, v92
	v_addc_co_u32_e32 v5, vcc, -1, v93, vcc
	v_cmp_gt_i64_e32 vcc, s[12:13], v[4:5]
	s_and_saveexec_b64 s[0:1], vcc
	s_cbranch_execz .LBB157_64
; %bb.63:                               ;   in Loop: Header=BB157_53 Depth=1
	v_add_co_u32_e32 v4, vcc, v80, v88
	v_addc_co_u32_e32 v5, vcc, v77, v89, vcc
	global_load_dword v20, v[4:5], off
	v_add_co_u32_e32 v4, vcc, v82, v88
	v_addc_co_u32_e32 v5, vcc, v79, v89, vcc
	global_load_dword v12, v[4:5], off
.LBB157_64:                             ;   in Loop: Header=BB157_53 Depth=1
	;; [unrolled: 14-line block ×7, first 2 shown]
	s_or_b64 exec, exec, s[0:1]
	s_waitcnt vmcnt(0)
	ds_bpermute_b32 v4, v90, v94
	ds_bpermute_b32 v5, v90, v94 offset:4
	v_pk_mul_f32 v[8:9], v[14:15], v[22:23]
	ds_bpermute_b32 v14, v90, v94 offset:8
	ds_bpermute_b32 v15, v90, v94 offset:12
	v_pk_mul_f32 v[10:11], v[10:11], v[18:19]
	s_waitcnt lgkmcnt(2)
	v_pk_mul_f32 v[4:5], v[10:11], v[4:5]
	ds_bpermute_b32 v10, v90, v94 offset:16
	ds_bpermute_b32 v11, v90, v94 offset:20
	v_pk_mul_f32 v[12:13], v[12:13], v[20:21]
	v_add_f32_e32 v2, v91, v4
	v_add_f32_e32 v2, v2, v5
	s_waitcnt lgkmcnt(2)
	v_pk_mul_f32 v[4:5], v[12:13], v[14:15]
	ds_bpermute_b32 v12, v90, v94 offset:24
	ds_bpermute_b32 v13, v90, v94 offset:28
	v_add_f32_e32 v2, v2, v4
	v_add_f32_e32 v2, v2, v5
	s_waitcnt lgkmcnt(2)
	v_pk_mul_f32 v[4:5], v[8:9], v[10:11]
	v_pk_mul_f32 v[6:7], v[16:17], v[24:25]
	v_add_f32_e32 v2, v2, v4
	v_add_f32_e32 v2, v2, v5
	s_waitcnt lgkmcnt(0)
	v_pk_mul_f32 v[4:5], v[6:7], v[12:13]
	v_add_f32_e32 v2, v2, v4
	v_add_f32_e32 v2, v2, v5
	s_branch .LBB157_81
.LBB157_75:                             ;   in Loop: Header=BB157_53 Depth=1
                                        ; implicit-def: $vgpr2
	s_cbranch_execz .LBB157_81
; %bb.76:                               ;   in Loop: Header=BB157_53 Depth=1
	s_load_dword s0, s[2:3], 0x0
	s_waitcnt lgkmcnt(0)
	s_cmp_lt_u32 s6, s0
	s_cselect_b32 s0, 12, 18
	s_add_u32 s0, s2, s0
	s_addc_u32 s1, s3, 0
	global_load_ushort v2, v3, s[0:1]
	s_waitcnt vmcnt(0)
	v_mad_u32_u24 v2, v85, v2, v87
	v_and_b32_e32 v4, 63, v2
	v_cmp_gt_u32_e32 vcc, 8, v4
	v_mov_b32_e32 v2, 0
	s_and_saveexec_b64 s[0:1], vcc
	s_cbranch_execz .LBB157_80
; %bb.77:                               ;   in Loop: Header=BB157_53 Depth=1
	v_add_co_u32_e32 v2, vcc, v92, v4
	v_addc_co_u32_e32 v5, vcc, 0, v93, vcc
	v_add_co_u32_e32 v4, vcc, 0xffffffc1, v2
	v_addc_co_u32_e32 v5, vcc, -1, v5, vcc
	v_cmp_gt_i64_e32 vcc, s[12:13], v[4:5]
	v_mov_b32_e32 v2, 0
	s_and_saveexec_b64 s[18:19], vcc
	s_cbranch_execz .LBB157_79
; %bb.78:                               ;   in Loop: Header=BB157_53 Depth=1
	v_lshlrev_b64 v[4:5], 2, v[4:5]
	v_mov_b32_e32 v2, s11
	v_add_co_u32_e32 v4, vcc, s10, v4
	v_addc_co_u32_e32 v5, vcc, v2, v5, vcc
	global_load_dword v2, v[4:5], off
.LBB157_79:                             ;   in Loop: Header=BB157_53 Depth=1
	s_or_b64 exec, exec, s[18:19]
.LBB157_80:                             ;   in Loop: Header=BB157_53 Depth=1
	s_or_b64 exec, exec, s[0:1]
	v_add_co_u32_e32 v4, vcc, v42, v88
	v_addc_co_u32_e32 v5, vcc, v1, v89, vcc
	v_add_co_u32_e32 v6, vcc, v58, v88
	v_addc_co_u32_e32 v7, vcc, v27, v89, vcc
	;; [unrolled: 2-line block ×3, first 2 shown]
	global_load_dword v4, v[4:5], off
	s_nop 0
	global_load_dword v5, v[8:9], off
	v_add_co_u32_e32 v8, vcc, v44, v88
	v_addc_co_u32_e32 v9, vcc, v45, v89, vcc
	global_load_dword v6, v[6:7], off
	s_nop 0
	global_load_dword v7, v[8:9], off
	v_add_co_u32_e32 v8, vcc, v30, v88
	v_addc_co_u32_e32 v9, vcc, v31, v89, vcc
	v_add_co_u32_e32 v10, vcc, v46, v88
	v_addc_co_u32_e32 v11, vcc, v47, v89, vcc
	;; [unrolled: 2-line block ×3, first 2 shown]
	global_load_dword v8, v[8:9], off
	s_waitcnt vmcnt(1)
	v_pk_mul_f32 v[4:5], v[4:5], v[6:7]
	global_load_dword v9, v[12:13], off
	v_add_co_u32_e32 v12, vcc, v48, v88
	v_addc_co_u32_e32 v13, vcc, v49, v89, vcc
	global_load_dword v10, v[10:11], off
	ds_bpermute_b32 v6, v90, v2 offset:8
	global_load_dword v11, v[12:13], off
	v_add_co_u32_e32 v12, vcc, v34, v88
	v_addc_co_u32_e32 v13, vcc, v35, v89, vcc
	v_add_co_u32_e32 v14, vcc, v50, v88
	v_addc_co_u32_e32 v15, vcc, v51, v89, vcc
	;; [unrolled: 2-line block ×3, first 2 shown]
	global_load_dword v12, v[12:13], off
	ds_bpermute_b32 v7, v90, v2 offset:12
	global_load_dword v13, v[16:17], off
	v_add_co_u32_e32 v16, vcc, v52, v88
	v_addc_co_u32_e32 v17, vcc, v53, v89, vcc
	global_load_dword v14, v[14:15], off
	s_nop 0
	global_load_dword v15, v[16:17], off
	v_add_co_u32_e32 v16, vcc, v38, v88
	v_addc_co_u32_e32 v17, vcc, v39, v89, vcc
	v_add_co_u32_e32 v18, vcc, v54, v88
	v_addc_co_u32_e32 v19, vcc, v55, v89, vcc
	;; [unrolled: 2-line block ×3, first 2 shown]
	global_load_dword v16, v[16:17], off
	s_nop 0
	global_load_dword v17, v[20:21], off
	v_add_co_u32_e32 v20, vcc, v56, v88
	v_addc_co_u32_e32 v21, vcc, v57, v89, vcc
	global_load_dword v18, v[18:19], off
	s_nop 0
	global_load_dword v19, v[20:21], off
	ds_bpermute_b32 v20, v90, v2
	ds_bpermute_b32 v21, v90, v2 offset:4
	s_waitcnt lgkmcnt(0)
	v_pk_mul_f32 v[4:5], v[4:5], v[20:21]
	v_add_f32_e32 v4, v91, v4
	v_add_f32_e32 v20, v4, v5
	s_waitcnt vmcnt(8)
	v_pk_mul_f32 v[4:5], v[8:9], v[10:11]
	v_pk_mul_f32 v[4:5], v[4:5], v[6:7]
	ds_bpermute_b32 v6, v90, v2 offset:16
	ds_bpermute_b32 v7, v90, v2 offset:20
	v_add_f32_e32 v4, v20, v4
	ds_bpermute_b32 v8, v90, v2 offset:24
	ds_bpermute_b32 v9, v90, v2 offset:28
	v_add_f32_e32 v10, v4, v5
	s_waitcnt vmcnt(4)
	v_pk_mul_f32 v[4:5], v[12:13], v[14:15]
	s_waitcnt lgkmcnt(2)
	v_pk_mul_f32 v[4:5], v[4:5], v[6:7]
	v_add_f32_e32 v2, v10, v4
	v_add_f32_e32 v2, v2, v5
	s_waitcnt vmcnt(0)
	v_pk_mul_f32 v[4:5], v[16:17], v[18:19]
	s_waitcnt lgkmcnt(0)
	v_pk_mul_f32 v[4:5], v[4:5], v[8:9]
	v_add_f32_e32 v2, v2, v4
	v_add_f32_e32 v2, v2, v5
.LBB157_81:                             ;   in Loop: Header=BB157_53 Depth=1
	s_add_u32 s28, s28, s7
	s_addc_u32 s29, s29, 0
	v_pk_mov_b32 v[4:5], s[12:13], s[12:13] op_sel:[0,1]
	v_cmp_ge_i64_e32 vcc, s[28:29], v[4:5]
	v_mov_b32_e32 v4, s25
	v_add_co_u32_e64 v28, s[0:1], s24, v28
	v_addc_co_u32_e64 v29, s[0:1], v29, v4, s[0:1]
	v_add_co_u32_e64 v30, s[0:1], s24, v30
	v_addc_co_u32_e64 v31, s[0:1], v31, v4, s[0:1]
	;; [unrolled: 2-line block ×29, first 2 shown]
	v_add_co_u32_e64 v86, s[0:1], s24, v86
	s_add_u32 s8, s8, s7
	v_addc_co_u32_e64 v83, s[0:1], v83, v4, s[0:1]
	s_addc_u32 s9, s9, 0
	s_cbranch_vccnz .LBB157_83
; %bb.82:                               ;   in Loop: Header=BB157_53 Depth=1
	v_mov_b32_e32 v91, v2
	s_branch .LBB157_53
.LBB157_83:
	v_and_b32_e32 v3, 0x3ff, v0
	v_bfe_u32 v0, v0, 10, 10
	v_mad_u32_u24 v4, v0, 33, v3
	v_lshl_add_u32 v5, v4, 2, 0
	ds_write_b32 v5, v2
	v_sub_u32_e32 v2, v4, v0
	s_movk_i32 s0, 0x800
	s_mov_b32 s7, 0
	v_mov_b32_e32 v1, 0
	v_cmp_gt_u32_e32 vcc, s0, v2
	ds_write_b32 v5, v1 offset:1056
	s_waitcnt lgkmcnt(0)
	s_barrier
	s_and_saveexec_b64 s[0:1], vcc
	s_cbranch_execz .LBB157_90
; %bb.84:
	v_mbcnt_lo_u32_b32 v4, -1, 0
	v_mbcnt_hi_u32_b32 v6, -1, v4
	v_and_b32_e32 v4, 64, v6
	v_add_u32_e32 v7, 64, v4
	v_cmp_ne_u32_e64 s[0:1], 0, v3
	v_xor_b32_e32 v3, 4, v6
	v_cmp_lt_i32_e64 s[2:3], v3, v7
	s_load_dwordx2 s[12:13], s[4:5], 0x30
	v_cndmask_b32_e64 v3, v6, v3, s[2:3]
	v_lshlrev_b32_e32 v4, 2, v3
	v_xor_b32_e32 v3, 2, v6
	v_cmp_lt_i32_e64 s[2:3], v3, v7
	v_cndmask_b32_e64 v3, v6, v3, s[2:3]
	s_lshl_b64 s[4:5], s[6:7], 5
	v_lshlrev_b32_e32 v5, 2, v3
	v_xor_b32_e32 v3, 1, v6
	s_waitcnt lgkmcnt(0)
	s_cmp_eq_u64 s[12:13], 0
	v_cmp_lt_i32_e64 s[2:3], v3, v7
	s_cselect_b64 s[10:11], -1, 0
	v_cndmask_b32_e64 v3, v6, v3, s[2:3]
	s_lshl_b64 s[2:3], s[6:7], 7
	v_lshrrev_b32_e32 v0, 6, v2
	v_and_b32_e32 v2, 63, v2
	s_add_u32 s2, s12, s2
	v_cmp_gt_u32_e32 vcc, 8, v2
	v_mul_u32_u24_e32 v2, 0x84, v2
	v_lshlrev_b32_e32 v6, 2, v3
	v_lshlrev_b32_e32 v3, 2, v0
	s_addc_u32 s3, s13, s3
	v_add3_u32 v7, v2, v3, 0
	v_mov_b32_e32 v8, s3
	v_add_co_u32_e64 v2, s[2:3], s2, v3
	s_mov_b64 s[8:9], 0
	v_addc_co_u32_e64 v3, s[2:3], 0, v8, s[2:3]
	v_mov_b32_e32 v8, s5
                                        ; implicit-def: $vgpr9
	s_branch .LBB157_86
.LBB157_85:                             ;   in Loop: Header=BB157_86 Depth=1
	s_or_b64 exec, exec, s[2:3]
	v_add_co_u32_e64 v0, s[2:3], 4, v0
	v_addc_co_u32_e64 v1, s[2:3], 0, v1, s[2:3]
	v_add_u32_e32 v10, -4, v0
	v_cmp_lt_u32_e64 s[2:3], 27, v10
	s_or_b64 s[8:9], s[2:3], s[8:9]
	v_add_co_u32_e64 v2, s[2:3], 16, v2
	v_add_u32_e32 v7, 16, v7
	v_addc_co_u32_e64 v3, s[2:3], 0, v3, s[2:3]
	s_andn2_b64 exec, exec, s[8:9]
	s_cbranch_execz .LBB157_90
.LBB157_86:                             ; =>This Inner Loop Header: Depth=1
	s_and_saveexec_b64 s[2:3], vcc
	s_cbranch_execz .LBB157_88
; %bb.87:                               ;   in Loop: Header=BB157_86 Depth=1
	ds_read_b32 v9, v7
.LBB157_88:                             ;   in Loop: Header=BB157_86 Depth=1
	s_or_b64 exec, exec, s[2:3]
	s_waitcnt lgkmcnt(0)
	ds_bpermute_b32 v10, v4, v9
	s_waitcnt lgkmcnt(0)
	v_add_f32_e32 v9, v9, v10
	ds_bpermute_b32 v10, v5, v9
	s_waitcnt lgkmcnt(0)
	v_add_f32_e32 v9, v9, v10
	ds_bpermute_b32 v12, v6, v9
	v_add_co_u32_e64 v10, s[2:3], s4, v0
	v_addc_co_u32_e64 v11, s[2:3], v8, v1, s[2:3]
	v_cmp_le_i64_e64 s[2:3], s[14:15], v[10:11]
	s_or_b64 s[2:3], s[0:1], s[2:3]
	s_or_b64 s[2:3], s[10:11], s[2:3]
	s_waitcnt lgkmcnt(0)
	v_add_f32_e32 v9, v9, v12
	s_xor_b64 s[6:7], s[2:3], -1
	s_and_saveexec_b64 s[2:3], s[6:7]
	s_cbranch_execz .LBB157_85
; %bb.89:                               ;   in Loop: Header=BB157_86 Depth=1
	global_store_dword v[2:3], v9, off
	s_branch .LBB157_85
.LBB157_90:
	s_endpgm
	.section	.rodata,"a",@progbits
	.p2align	6, 0x0
	.amdhsa_kernel _ZN2at6native12_GLOBAL__N_135GammaBetaBackwardCUDAKernelTemplateIffLj32ELj8ELj64ELb0ELb0ELb1EEEvllPKT_S5_PKT0_S8_PS3_S9_
		.amdhsa_group_segment_fixed_size 0
		.amdhsa_private_segment_fixed_size 0
		.amdhsa_kernarg_size 320
		.amdhsa_user_sgpr_count 6
		.amdhsa_user_sgpr_private_segment_buffer 1
		.amdhsa_user_sgpr_dispatch_ptr 0
		.amdhsa_user_sgpr_queue_ptr 0
		.amdhsa_user_sgpr_kernarg_segment_ptr 1
		.amdhsa_user_sgpr_dispatch_id 0
		.amdhsa_user_sgpr_flat_scratch_init 0
		.amdhsa_user_sgpr_kernarg_preload_length 0
		.amdhsa_user_sgpr_kernarg_preload_offset 0
		.amdhsa_user_sgpr_private_segment_size 0
		.amdhsa_uses_dynamic_stack 0
		.amdhsa_system_sgpr_private_segment_wavefront_offset 0
		.amdhsa_system_sgpr_workgroup_id_x 1
		.amdhsa_system_sgpr_workgroup_id_y 1
		.amdhsa_system_sgpr_workgroup_id_z 0
		.amdhsa_system_sgpr_workgroup_info 0
		.amdhsa_system_vgpr_workitem_id 1
		.amdhsa_next_free_vgpr 95
		.amdhsa_next_free_sgpr 42
		.amdhsa_accum_offset 96
		.amdhsa_reserve_vcc 1
		.amdhsa_reserve_flat_scratch 0
		.amdhsa_float_round_mode_32 0
		.amdhsa_float_round_mode_16_64 0
		.amdhsa_float_denorm_mode_32 3
		.amdhsa_float_denorm_mode_16_64 3
		.amdhsa_dx10_clamp 1
		.amdhsa_ieee_mode 1
		.amdhsa_fp16_overflow 0
		.amdhsa_tg_split 0
		.amdhsa_exception_fp_ieee_invalid_op 0
		.amdhsa_exception_fp_denorm_src 0
		.amdhsa_exception_fp_ieee_div_zero 0
		.amdhsa_exception_fp_ieee_overflow 0
		.amdhsa_exception_fp_ieee_underflow 0
		.amdhsa_exception_fp_ieee_inexact 0
		.amdhsa_exception_int_div_zero 0
	.end_amdhsa_kernel
	.section	.text._ZN2at6native12_GLOBAL__N_135GammaBetaBackwardCUDAKernelTemplateIffLj32ELj8ELj64ELb0ELb0ELb1EEEvllPKT_S5_PKT0_S8_PS3_S9_,"axG",@progbits,_ZN2at6native12_GLOBAL__N_135GammaBetaBackwardCUDAKernelTemplateIffLj32ELj8ELj64ELb0ELb0ELb1EEEvllPKT_S5_PKT0_S8_PS3_S9_,comdat
.Lfunc_end157:
	.size	_ZN2at6native12_GLOBAL__N_135GammaBetaBackwardCUDAKernelTemplateIffLj32ELj8ELj64ELb0ELb0ELb1EEEvllPKT_S5_PKT0_S8_PS3_S9_, .Lfunc_end157-_ZN2at6native12_GLOBAL__N_135GammaBetaBackwardCUDAKernelTemplateIffLj32ELj8ELj64ELb0ELb0ELb1EEEvllPKT_S5_PKT0_S8_PS3_S9_
                                        ; -- End function
	.section	.AMDGPU.csdata,"",@progbits
; Kernel info:
; codeLenInByte = 6632
; NumSgprs: 46
; NumVgprs: 95
; NumAgprs: 0
; TotalNumVgprs: 95
; ScratchSize: 0
; MemoryBound: 0
; FloatMode: 240
; IeeeMode: 1
; LDSByteSize: 0 bytes/workgroup (compile time only)
; SGPRBlocks: 5
; VGPRBlocks: 11
; NumSGPRsForWavesPerEU: 46
; NumVGPRsForWavesPerEU: 95
; AccumOffset: 96
; Occupancy: 5
; WaveLimiterHint : 0
; COMPUTE_PGM_RSRC2:SCRATCH_EN: 0
; COMPUTE_PGM_RSRC2:USER_SGPR: 6
; COMPUTE_PGM_RSRC2:TRAP_HANDLER: 0
; COMPUTE_PGM_RSRC2:TGID_X_EN: 1
; COMPUTE_PGM_RSRC2:TGID_Y_EN: 1
; COMPUTE_PGM_RSRC2:TGID_Z_EN: 0
; COMPUTE_PGM_RSRC2:TIDIG_COMP_CNT: 1
; COMPUTE_PGM_RSRC3_GFX90A:ACCUM_OFFSET: 23
; COMPUTE_PGM_RSRC3_GFX90A:TG_SPLIT: 0
	.section	.text._ZN2at6native12_GLOBAL__N_135GammaBetaBackwardCUDAKernelTemplateIffLj32ELj16ELj128ELb0ELb1ELb1EEEvllPKT_S5_PKT0_S8_PS3_S9_,"axG",@progbits,_ZN2at6native12_GLOBAL__N_135GammaBetaBackwardCUDAKernelTemplateIffLj32ELj16ELj128ELb0ELb1ELb1EEEvllPKT_S5_PKT0_S8_PS3_S9_,comdat
	.globl	_ZN2at6native12_GLOBAL__N_135GammaBetaBackwardCUDAKernelTemplateIffLj32ELj16ELj128ELb0ELb1ELb1EEEvllPKT_S5_PKT0_S8_PS3_S9_ ; -- Begin function _ZN2at6native12_GLOBAL__N_135GammaBetaBackwardCUDAKernelTemplateIffLj32ELj16ELj128ELb0ELb1ELb1EEEvllPKT_S5_PKT0_S8_PS3_S9_
	.p2align	8
	.type	_ZN2at6native12_GLOBAL__N_135GammaBetaBackwardCUDAKernelTemplateIffLj32ELj16ELj128ELb0ELb1ELb1EEEvllPKT_S5_PKT0_S8_PS3_S9_,@function
_ZN2at6native12_GLOBAL__N_135GammaBetaBackwardCUDAKernelTemplateIffLj32ELj16ELj128ELb0ELb1ELb1EEEvllPKT_S5_PKT0_S8_PS3_S9_: ; @_ZN2at6native12_GLOBAL__N_135GammaBetaBackwardCUDAKernelTemplateIffLj32ELj16ELj128ELb0ELb1ELb1EEEvllPKT_S5_PKT0_S8_PS3_S9_
; %bb.0:
	s_load_dwordx4 s[8:11], s[4:5], 0x0
	s_lshl_b32 s16, s7, 7
	s_mov_b32 s17, 0
	v_bfe_u32 v11, v0, 10, 10
	s_waitcnt lgkmcnt(0)
	v_pk_mov_b32 v[2:3], s[8:9], s[8:9] op_sel:[0,1]
	v_cmp_lt_i64_e32 vcc, s[16:17], v[2:3]
	s_cbranch_vccnz .LBB158_2
; %bb.1:
	s_mov_b64 s[0:1], 0
	v_bfe_u32 v2, v0, 10, 10
	s_branch .LBB158_3
.LBB158_2:
	s_mov_b64 s[0:1], -1
                                        ; implicit-def: $vgpr2
.LBB158_3:
	s_load_dwordx2 s[2:3], s[4:5], 0x30
	v_and_b32_e32 v6, 0x3ff, v0
	s_andn2_b64 vcc, exec, s[0:1]
	v_mov_b32_e32 v1, s17
	v_mbcnt_lo_u32_b32 v10, -1, 0
	s_cbranch_vccnz .LBB158_11
; %bb.4:
	s_load_dword s0, s[4:5], 0x4c
	s_load_dword s7, s[4:5], 0x44
	s_load_dwordx4 s[12:15], s[4:5], 0x10
	s_load_dwordx2 s[18:19], s[4:5], 0x28
	v_mbcnt_hi_u32_b32 v4, -1, v10
	v_lshlrev_b32_e32 v2, 3, v11
	s_waitcnt lgkmcnt(0)
	s_and_b32 s0, s0, 0xffff
	v_lshlrev_b32_e32 v4, 2, v4
	v_mad_u32_u24 v0, v11, s0, v6
	v_and_b32_e32 v12, 0x100, v4
	v_mov_b32_e32 v4, s17
	v_add_co_u32_e32 v7, vcc, s16, v2
	v_and_b32_e32 v3, 63, v0
	v_addc_co_u32_e32 v8, vcc, 0, v4, vcc
	v_add_co_u32_e32 v2, vcc, v7, v3
	v_cmp_gt_u32_e64 s[0:1], 8, v3
	v_addc_co_u32_e32 v3, vcc, 0, v8, vcc
	v_lshlrev_b64 v[4:5], 2, v[2:3]
	v_mov_b32_e32 v9, s19
	v_add_co_u32_e32 v4, vcc, s18, v4
	s_lshl_b32 s4, s7, 7
	v_addc_co_u32_e32 v5, vcc, v9, v5, vcc
	v_mul_lo_u32 v20, s11, v7
	v_mul_lo_u32 v21, s10, v8
	v_mad_u64_u32 v[8:9], s[20:21], s10, v7, 0
	v_mov_b32_e32 v1, 0
	v_lshl_add_u32 v0, s6, 5, v6
	v_add3_u32 v9, v9, v21, v20
	s_mul_i32 s7, s11, s4
	s_mul_hi_u32 s20, s10, s4
	s_mov_b32 s5, 0
	v_lshlrev_b64 v[8:9], 2, v[8:9]
	v_lshlrev_b64 v[20:21], 2, v[0:1]
	s_add_i32 s21, s20, s7
	s_mul_i32 s20, s10, s4
	s_lshl_b64 s[18:19], s[4:5], 2
	v_add_co_u32_e32 v0, vcc, v8, v20
	s_lshl_b64 s[20:21], s[20:21], 2
	s_lshl_b64 s[10:11], s[10:11], 2
	v_or_b32_e32 v13, 4, v12
	v_or_b32_e32 v14, 8, v12
	;; [unrolled: 1-line block ×7, first 2 shown]
	v_addc_co_u32_e32 v7, vcc, v9, v21, vcc
	v_mov_b32_e32 v20, s13
	v_mov_b32_e32 v21, s15
	;; [unrolled: 1-line block ×6, first 2 shown]
	v_pk_mov_b32 v[8:9], s[8:9], s[8:9] op_sel:[0,1]
	s_branch .LBB158_7
.LBB158_5:                              ;   in Loop: Header=BB158_7 Depth=1
	s_or_b64 exec, exec, s[24:25]
.LBB158_6:                              ;   in Loop: Header=BB158_7 Depth=1
	s_or_b64 exec, exec, s[22:23]
	v_add_co_u32_e32 v28, vcc, s12, v0
	v_addc_co_u32_e32 v29, vcc, v20, v7, vcc
	v_add_co_u32_e32 v32, vcc, s14, v0
	v_addc_co_u32_e32 v33, vcc, v21, v7, vcc
	global_load_dword v30, v[28:29], off
	v_add_co_u32_e32 v28, vcc, s10, v28
	v_addc_co_u32_e32 v29, vcc, v29, v22, vcc
	global_load_dword v34, v[32:33], off
	;; [unrolled: 3-line block ×15, first 2 shown]
	global_load_dword v47, v[28:29], off
	s_waitcnt vmcnt(16)
	ds_bpermute_b32 v28, v12, v26
	ds_bpermute_b32 v29, v13, v26
	;; [unrolled: 1-line block ×4, first 2 shown]
	v_add_co_u32_e32 v4, vcc, s18, v4
	v_addc_co_u32_e32 v5, vcc, v5, v23, vcc
	v_add_co_u32_e32 v2, vcc, s4, v2
	v_addc_co_u32_e32 v3, vcc, v3, v24, vcc
	s_add_u32 s16, s16, s4
	v_add_co_u32_e32 v0, vcc, s20, v0
	s_addc_u32 s17, s17, 0
	v_addc_co_u32_e32 v7, vcc, v7, v25, vcc
	v_cmp_lt_i64_e32 vcc, s[16:17], v[8:9]
	s_and_b64 vcc, exec, vcc
	s_waitcnt vmcnt(12)
	v_pk_mul_f32 v[30:31], v[30:31], v[34:35]
	s_waitcnt lgkmcnt(2)
	v_pk_mul_f32 v[28:29], v[30:31], v[28:29]
	v_add_f32_e32 v1, v1, v28
	ds_bpermute_b32 v30, v16, v26
	ds_bpermute_b32 v31, v17, v26
	v_add_f32_e32 v1, v1, v29
	s_waitcnt vmcnt(8)
	v_pk_mul_f32 v[28:29], v[36:37], v[38:39]
	s_waitcnt lgkmcnt(2)
	v_pk_mul_f32 v[28:29], v[28:29], v[32:33]
	v_add_f32_e32 v1, v1, v28
	ds_bpermute_b32 v32, v18, v26
	ds_bpermute_b32 v33, v19, v26
	v_add_f32_e32 v1, v1, v29
	s_waitcnt vmcnt(4)
	v_pk_mul_f32 v[28:29], v[40:41], v[42:43]
	s_waitcnt lgkmcnt(2)
	v_pk_mul_f32 v[26:27], v[28:29], v[30:31]
	v_add_f32_e32 v1, v1, v26
	v_add_f32_e32 v1, v1, v27
	s_waitcnt vmcnt(0)
	v_pk_mul_f32 v[26:27], v[44:45], v[46:47]
	s_waitcnt lgkmcnt(0)
	v_pk_mul_f32 v[26:27], v[26:27], v[32:33]
	v_add_f32_e32 v1, v1, v26
	v_add_f32_e32 v1, v1, v27
	s_cbranch_vccz .LBB158_10
.LBB158_7:                              ; =>This Inner Loop Header: Depth=1
	v_mov_b32_e32 v26, 0
	s_and_saveexec_b64 s[22:23], s[0:1]
	s_cbranch_execz .LBB158_6
; %bb.8:                                ;   in Loop: Header=BB158_7 Depth=1
	v_cmp_gt_i64_e32 vcc, s[8:9], v[2:3]
	v_mov_b32_e32 v26, 0
	s_and_saveexec_b64 s[24:25], vcc
	s_cbranch_execz .LBB158_5
; %bb.9:                                ;   in Loop: Header=BB158_7 Depth=1
	global_load_dword v26, v[4:5], off
	s_branch .LBB158_5
.LBB158_10:
	v_mov_b32_e32 v2, v11
.LBB158_11:
	v_mad_u32_u24 v0, v2, 33, v6
	v_lshl_add_u32 v3, v0, 2, 0
	v_sub_u32_e32 v0, v0, v2
	s_movk_i32 s0, 0x800
	s_mov_b32 s7, 0
	ds_write_b32 v3, v1
	v_mov_b32_e32 v1, 0
	v_cmp_gt_u32_e32 vcc, s0, v0
	ds_write_b32 v3, v1 offset:2112
	s_waitcnt lgkmcnt(0)
	s_barrier
	s_and_saveexec_b64 s[0:1], vcc
	s_cbranch_execz .LBB158_18
; %bb.12:
	v_mbcnt_hi_u32_b32 v5, -1, v10
	v_and_b32_e32 v2, 64, v5
	s_cmp_lg_u64 s[2:3], 0
	v_add_u32_e32 v7, 64, v2
	v_cmp_eq_u32_e64 s[0:1], 0, v6
	s_cselect_b64 s[8:9], -1, 0
	v_xor_b32_e32 v2, 8, v5
	s_and_b64 s[8:9], s[0:1], s[8:9]
	v_cmp_lt_i32_e64 s[0:1], v2, v7
	v_xor_b32_e32 v3, 4, v5
	v_cndmask_b32_e64 v2, v5, v2, s[0:1]
	v_cmp_lt_i32_e64 s[0:1], v3, v7
	v_xor_b32_e32 v4, 2, v5
	v_cndmask_b32_e64 v3, v5, v3, s[0:1]
	;; [unrolled: 3-line block ×3, first 2 shown]
	v_cmp_lt_i32_e64 s[0:1], v6, v7
	v_cndmask_b32_e64 v5, v5, v6, s[0:1]
	s_lshl_b64 s[0:1], s[6:7], 7
	v_lshrrev_b32_e32 v1, 6, v0
	v_and_b32_e32 v0, 63, v0
	s_add_u32 s0, s2, s0
	v_cmp_gt_u32_e32 vcc, 16, v0
	v_mul_u32_u24_e32 v0, 0x84, v0
	v_lshlrev_b32_e32 v8, 2, v1
	s_addc_u32 s1, s3, s1
	v_add3_u32 v6, v0, v8, 0
	v_add_u32_e32 v7, -8, v1
	v_mov_b32_e32 v1, s1
	v_add_co_u32_e64 v0, s[0:1], s0, v8
	s_mov_b64 s[4:5], 0
	v_lshlrev_b32_e32 v2, 2, v2
	v_lshlrev_b32_e32 v3, 2, v3
	;; [unrolled: 1-line block ×4, first 2 shown]
	v_addc_co_u32_e64 v1, s[0:1], 0, v1, s[0:1]
                                        ; implicit-def: $vgpr8
	s_branch .LBB158_14
.LBB158_13:                             ;   in Loop: Header=BB158_14 Depth=1
	s_or_b64 exec, exec, s[0:1]
	v_add_u32_e32 v7, 8, v7
	v_cmp_lt_u32_e64 s[0:1], 23, v7
	s_or_b64 s[4:5], s[0:1], s[4:5]
	v_add_co_u32_e64 v0, s[0:1], 32, v0
	v_add_u32_e32 v6, 32, v6
	v_addc_co_u32_e64 v1, s[0:1], 0, v1, s[0:1]
	s_andn2_b64 exec, exec, s[4:5]
	s_cbranch_execz .LBB158_18
.LBB158_14:                             ; =>This Inner Loop Header: Depth=1
	s_and_saveexec_b64 s[0:1], vcc
	s_cbranch_execz .LBB158_16
; %bb.15:                               ;   in Loop: Header=BB158_14 Depth=1
	ds_read_b32 v8, v6
.LBB158_16:                             ;   in Loop: Header=BB158_14 Depth=1
	s_or_b64 exec, exec, s[0:1]
	s_waitcnt lgkmcnt(0)
	ds_bpermute_b32 v9, v2, v8
	s_waitcnt lgkmcnt(0)
	v_add_f32_e32 v8, v8, v9
	ds_bpermute_b32 v9, v3, v8
	s_waitcnt lgkmcnt(0)
	v_add_f32_e32 v8, v8, v9
	;; [unrolled: 3-line block ×4, first 2 shown]
	s_and_saveexec_b64 s[0:1], s[8:9]
	s_cbranch_execz .LBB158_13
; %bb.17:                               ;   in Loop: Header=BB158_14 Depth=1
	global_store_dword v[0:1], v8, off
	s_branch .LBB158_13
.LBB158_18:
	s_endpgm
	.section	.rodata,"a",@progbits
	.p2align	6, 0x0
	.amdhsa_kernel _ZN2at6native12_GLOBAL__N_135GammaBetaBackwardCUDAKernelTemplateIffLj32ELj16ELj128ELb0ELb1ELb1EEEvllPKT_S5_PKT0_S8_PS3_S9_
		.amdhsa_group_segment_fixed_size 0
		.amdhsa_private_segment_fixed_size 0
		.amdhsa_kernarg_size 320
		.amdhsa_user_sgpr_count 6
		.amdhsa_user_sgpr_private_segment_buffer 1
		.amdhsa_user_sgpr_dispatch_ptr 0
		.amdhsa_user_sgpr_queue_ptr 0
		.amdhsa_user_sgpr_kernarg_segment_ptr 1
		.amdhsa_user_sgpr_dispatch_id 0
		.amdhsa_user_sgpr_flat_scratch_init 0
		.amdhsa_user_sgpr_kernarg_preload_length 0
		.amdhsa_user_sgpr_kernarg_preload_offset 0
		.amdhsa_user_sgpr_private_segment_size 0
		.amdhsa_uses_dynamic_stack 0
		.amdhsa_system_sgpr_private_segment_wavefront_offset 0
		.amdhsa_system_sgpr_workgroup_id_x 1
		.amdhsa_system_sgpr_workgroup_id_y 1
		.amdhsa_system_sgpr_workgroup_id_z 0
		.amdhsa_system_sgpr_workgroup_info 0
		.amdhsa_system_vgpr_workitem_id 1
		.amdhsa_next_free_vgpr 48
		.amdhsa_next_free_sgpr 26
		.amdhsa_accum_offset 48
		.amdhsa_reserve_vcc 1
		.amdhsa_reserve_flat_scratch 0
		.amdhsa_float_round_mode_32 0
		.amdhsa_float_round_mode_16_64 0
		.amdhsa_float_denorm_mode_32 3
		.amdhsa_float_denorm_mode_16_64 3
		.amdhsa_dx10_clamp 1
		.amdhsa_ieee_mode 1
		.amdhsa_fp16_overflow 0
		.amdhsa_tg_split 0
		.amdhsa_exception_fp_ieee_invalid_op 0
		.amdhsa_exception_fp_denorm_src 0
		.amdhsa_exception_fp_ieee_div_zero 0
		.amdhsa_exception_fp_ieee_overflow 0
		.amdhsa_exception_fp_ieee_underflow 0
		.amdhsa_exception_fp_ieee_inexact 0
		.amdhsa_exception_int_div_zero 0
	.end_amdhsa_kernel
	.section	.text._ZN2at6native12_GLOBAL__N_135GammaBetaBackwardCUDAKernelTemplateIffLj32ELj16ELj128ELb0ELb1ELb1EEEvllPKT_S5_PKT0_S8_PS3_S9_,"axG",@progbits,_ZN2at6native12_GLOBAL__N_135GammaBetaBackwardCUDAKernelTemplateIffLj32ELj16ELj128ELb0ELb1ELb1EEEvllPKT_S5_PKT0_S8_PS3_S9_,comdat
.Lfunc_end158:
	.size	_ZN2at6native12_GLOBAL__N_135GammaBetaBackwardCUDAKernelTemplateIffLj32ELj16ELj128ELb0ELb1ELb1EEEvllPKT_S5_PKT0_S8_PS3_S9_, .Lfunc_end158-_ZN2at6native12_GLOBAL__N_135GammaBetaBackwardCUDAKernelTemplateIffLj32ELj16ELj128ELb0ELb1ELb1EEEvllPKT_S5_PKT0_S8_PS3_S9_
                                        ; -- End function
	.section	.AMDGPU.csdata,"",@progbits
; Kernel info:
; codeLenInByte = 1380
; NumSgprs: 30
; NumVgprs: 48
; NumAgprs: 0
; TotalNumVgprs: 48
; ScratchSize: 0
; MemoryBound: 0
; FloatMode: 240
; IeeeMode: 1
; LDSByteSize: 0 bytes/workgroup (compile time only)
; SGPRBlocks: 3
; VGPRBlocks: 5
; NumSGPRsForWavesPerEU: 30
; NumVGPRsForWavesPerEU: 48
; AccumOffset: 48
; Occupancy: 8
; WaveLimiterHint : 0
; COMPUTE_PGM_RSRC2:SCRATCH_EN: 0
; COMPUTE_PGM_RSRC2:USER_SGPR: 6
; COMPUTE_PGM_RSRC2:TRAP_HANDLER: 0
; COMPUTE_PGM_RSRC2:TGID_X_EN: 1
; COMPUTE_PGM_RSRC2:TGID_Y_EN: 1
; COMPUTE_PGM_RSRC2:TGID_Z_EN: 0
; COMPUTE_PGM_RSRC2:TIDIG_COMP_CNT: 1
; COMPUTE_PGM_RSRC3_GFX90A:ACCUM_OFFSET: 11
; COMPUTE_PGM_RSRC3_GFX90A:TG_SPLIT: 0
	.section	.text._ZN2at6native12_GLOBAL__N_135GammaBetaBackwardCUDAKernelTemplateIffLj32ELj16ELj128ELb0ELb0ELb1EEEvllPKT_S5_PKT0_S8_PS3_S9_,"axG",@progbits,_ZN2at6native12_GLOBAL__N_135GammaBetaBackwardCUDAKernelTemplateIffLj32ELj16ELj128ELb0ELb0ELb1EEEvllPKT_S5_PKT0_S8_PS3_S9_,comdat
	.globl	_ZN2at6native12_GLOBAL__N_135GammaBetaBackwardCUDAKernelTemplateIffLj32ELj16ELj128ELb0ELb0ELb1EEEvllPKT_S5_PKT0_S8_PS3_S9_ ; -- Begin function _ZN2at6native12_GLOBAL__N_135GammaBetaBackwardCUDAKernelTemplateIffLj32ELj16ELj128ELb0ELb0ELb1EEEvllPKT_S5_PKT0_S8_PS3_S9_
	.p2align	8
	.type	_ZN2at6native12_GLOBAL__N_135GammaBetaBackwardCUDAKernelTemplateIffLj32ELj16ELj128ELb0ELb0ELb1EEEvllPKT_S5_PKT0_S8_PS3_S9_,@function
_ZN2at6native12_GLOBAL__N_135GammaBetaBackwardCUDAKernelTemplateIffLj32ELj16ELj128ELb0ELb0ELb1EEEvllPKT_S5_PKT0_S8_PS3_S9_: ; @_ZN2at6native12_GLOBAL__N_135GammaBetaBackwardCUDAKernelTemplateIffLj32ELj16ELj128ELb0ELb0ELb1EEEvllPKT_S5_PKT0_S8_PS3_S9_
; %bb.0:
	s_load_dwordx8 s[12:19], s[4:5], 0x0
	s_load_dwordx2 s[10:11], s[4:5], 0x28
	s_lshl_b32 s33, s6, 5
	s_or_b32 s28, s33, 31
	s_mov_b32 s29, 0
	s_waitcnt lgkmcnt(0)
	v_pk_mov_b32 v[2:3], s[14:15], s[14:15] op_sel:[0,1]
	v_cmp_ge_i64_e32 vcc, s[28:29], v[2:3]
	s_lshl_b32 s28, s7, 7
	v_pk_mov_b32 v[2:3], s[12:13], s[12:13] op_sel:[0,1]
	v_cmp_lt_i64_e64 s[0:1], s[28:29], v[2:3]
	v_cndmask_b32_e64 v1, 0, 1, s[0:1]
	v_cmp_ne_u32_e64 s[0:1], 1, v1
	s_cbranch_vccz .LBB159_49
; %bb.1:
	s_and_b64 vcc, exec, s[0:1]
	v_mov_b32_e32 v2, 0
	s_cbranch_vccnz .LBB159_50
; %bb.2:
	v_and_b32_e32 v59, 0x3ff, v0
	v_bfe_u32 v61, v0, 10, 10
	v_add_u32_e32 v2, s33, v59
	v_mov_b32_e32 v3, 0
	v_lshlrev_b32_e32 v26, 3, v61
	v_cmp_gt_i64_e64 s[2:3], s[14:15], v[2:3]
	v_lshlrev_b64 v[28:29], 2, v[2:3]
	v_mov_b32_e32 v1, s29
	v_add_co_u32_e32 v2, vcc, s28, v26
	v_addc_co_u32_e32 v6, vcc, 0, v1, vcc
	v_add_co_u32_e32 v1, vcc, 7, v2
	v_addc_co_u32_e32 v4, vcc, 0, v6, vcc
	v_mul_lo_u32 v7, s15, v1
	v_mul_lo_u32 v8, s14, v4
	v_mad_u64_u32 v[4:5], s[8:9], s14, v1, 0
	s_load_dword s7, s[4:5], 0x44
	v_add3_u32 v5, v5, v8, v7
	v_lshlrev_b64 v[4:5], 2, v[4:5]
	v_mov_b32_e32 v7, s17
	v_add_co_u32_e32 v30, vcc, s16, v4
	v_addc_co_u32_e32 v1, vcc, v7, v5, vcc
	s_add_u32 s30, s4, 64
	v_mov_b32_e32 v8, s19
	v_add_co_u32_e32 v32, vcc, s18, v4
	s_addc_u32 s31, s5, 0
	s_waitcnt lgkmcnt(0)
	s_lshl_b32 s7, s7, 7
	v_addc_co_u32_e32 v27, vcc, v8, v5, vcc
	s_mul_i32 s8, s15, s7
	s_mul_hi_u32 s9, s14, s7
	v_add_co_u32_e32 v4, vcc, 6, v2
	s_add_i32 s9, s9, s8
	s_mul_i32 s8, s14, s7
	v_addc_co_u32_e32 v5, vcc, 0, v6, vcc
	s_lshl_b64 s[34:35], s[8:9], 2
	v_mul_lo_u32 v9, s15, v4
	v_mul_lo_u32 v10, s14, v5
	v_mad_u64_u32 v[4:5], s[8:9], s14, v4, 0
	v_add3_u32 v5, v5, v10, v9
	v_lshlrev_b64 v[4:5], 2, v[4:5]
	v_add_co_u32_e32 v34, vcc, s16, v4
	v_addc_co_u32_e32 v31, vcc, v7, v5, vcc
	v_add_co_u32_e32 v36, vcc, s18, v4
	v_addc_co_u32_e32 v33, vcc, v8, v5, vcc
	v_add_co_u32_e32 v4, vcc, 5, v2
	v_addc_co_u32_e32 v5, vcc, 0, v6, vcc
	v_mul_lo_u32 v9, s15, v4
	v_mul_lo_u32 v10, s14, v5
	v_mad_u64_u32 v[4:5], s[8:9], s14, v4, 0
	v_add3_u32 v5, v5, v10, v9
	v_lshlrev_b64 v[4:5], 2, v[4:5]
	v_add_co_u32_e32 v38, vcc, s16, v4
	v_addc_co_u32_e32 v35, vcc, v7, v5, vcc
	v_add_co_u32_e32 v40, vcc, s18, v4
	v_addc_co_u32_e32 v37, vcc, v8, v5, vcc
	v_add_co_u32_e32 v4, vcc, 4, v2
	v_addc_co_u32_e32 v5, vcc, 0, v6, vcc
	;; [unrolled: 11-line block ×4, first 2 shown]
	v_mul_lo_u32 v9, s15, v4
	v_mul_lo_u32 v10, s14, v5
	v_mad_u64_u32 v[4:5], s[8:9], s14, v4, 0
	v_add3_u32 v5, v5, v10, v9
	v_lshlrev_b64 v[4:5], 2, v[4:5]
	v_add_co_u32_e32 v50, vcc, s16, v4
	v_addc_co_u32_e32 v47, vcc, v7, v5, vcc
	v_add_co_u32_e32 v52, vcc, s18, v4
	v_addc_co_u32_e32 v49, vcc, v8, v5, vcc
	v_pk_mov_b32 v[4:5], s[14:15], s[14:15] op_sel:[0,1]
	v_mad_u64_u32 v[4:5], s[8:9], s14, v2, v[4:5]
	v_mul_lo_u32 v6, s14, v6
	v_mul_lo_u32 v9, s15, v2
	v_add3_u32 v5, v9, v5, v6
	v_lshlrev_b64 v[4:5], 2, v[4:5]
	v_add_co_u32_e32 v54, vcc, s16, v4
	v_addc_co_u32_e32 v51, vcc, v7, v5, vcc
	v_add_co_u32_e32 v56, vcc, s18, v4
	v_addc_co_u32_e32 v53, vcc, v8, v5, vcc
	v_mad_u64_u32 v[4:5], s[8:9], s14, v2, 0
	v_add3_u32 v5, v5, v6, v9
	v_lshlrev_b64 v[4:5], 2, v[4:5]
	v_add_co_u32_e32 v58, vcc, s16, v4
	v_mbcnt_lo_u32_b32 v2, -1, 0
	v_addc_co_u32_e32 v55, vcc, v7, v5, vcc
	v_mbcnt_hi_u32_b32 v2, -1, v2
	s_add_u32 s36, s28, 0x7f
	v_add_co_u32_e32 v60, vcc, s18, v4
	v_lshlrev_b32_e32 v2, 2, v2
	s_mov_b32 s20, 0
	s_addc_u32 s37, 0, 0
	v_addc_co_u32_e32 v57, vcc, v8, v5, vcc
	v_and_b32_e32 v62, 0x100, v2
	s_mov_b64 s[38:39], s[28:29]
	v_mov_b32_e32 v63, 0
.LBB159_3:                              ; =>This Inner Loop Header: Depth=1
	v_pk_mov_b32 v[4:5], s[12:13], s[12:13] op_sel:[0,1]
	v_cmp_ge_i64_e32 vcc, s[36:37], v[4:5]
	v_mov_b32_e32 v2, s37
	v_add_co_u32_e64 v64, s[8:9], s36, v26
	v_addc_co_u32_e64 v65, s[8:9], 0, v2, s[8:9]
	s_cbranch_vccz .LBB159_25
; %bb.4:                                ;   in Loop: Header=BB159_3 Depth=1
	s_load_dword s8, s[30:31], 0xc
	v_mov_b32_e32 v66, 0
	s_waitcnt lgkmcnt(0)
	s_and_b32 s8, s8, 0xffff
	v_mad_u32_u24 v2, v61, s8, v59
	v_and_b32_e32 v2, 63, v2
	v_cmp_gt_u32_e32 vcc, 8, v2
	s_and_saveexec_b64 s[8:9], vcc
	s_cbranch_execz .LBB159_8
; %bb.5:                                ;   in Loop: Header=BB159_3 Depth=1
	v_add_co_u32_e32 v2, vcc, v64, v2
	v_addc_co_u32_e32 v5, vcc, 0, v65, vcc
	v_add_co_u32_e32 v4, vcc, 0xffffff81, v2
	v_addc_co_u32_e32 v5, vcc, -1, v5, vcc
	v_cmp_gt_i64_e32 vcc, s[12:13], v[4:5]
	v_mov_b32_e32 v66, 0
	s_and_saveexec_b64 s[22:23], vcc
	s_cbranch_execz .LBB159_7
; %bb.6:                                ;   in Loop: Header=BB159_3 Depth=1
	v_lshlrev_b64 v[4:5], 2, v[4:5]
	v_mov_b32_e32 v2, s11
	v_add_co_u32_e32 v4, vcc, s10, v4
	v_addc_co_u32_e32 v5, vcc, v2, v5, vcc
	global_load_dword v66, v[4:5], off
.LBB159_7:                              ;   in Loop: Header=BB159_3 Depth=1
	s_or_b64 exec, exec, s[22:23]
.LBB159_8:                              ;   in Loop: Header=BB159_3 Depth=1
	s_or_b64 exec, exec, s[8:9]
	s_mov_b32 s21, s20
	v_add_co_u32_e32 v4, vcc, 0xffffff81, v64
	s_mov_b32 s22, s20
	s_mov_b32 s23, s20
	;; [unrolled: 1-line block ×6, first 2 shown]
	v_pk_mov_b32 v[10:11], s[20:21], s[20:21] op_sel:[0,1]
	v_addc_co_u32_e32 v5, vcc, -1, v65, vcc
	v_pk_mov_b32 v[16:17], s[26:27], s[26:27] op_sel:[0,1]
	v_cmp_gt_i64_e32 vcc, s[12:13], v[4:5]
	v_pk_mov_b32 v[12:13], s[22:23], s[22:23] op_sel:[0,1]
	v_pk_mov_b32 v[14:15], s[24:25], s[24:25] op_sel:[0,1]
	;; [unrolled: 1-line block ×3, first 2 shown]
	s_and_b64 s[40:41], s[2:3], vcc
	v_pk_mov_b32 v[22:23], v[14:15], v[14:15] op_sel:[0,1]
	v_pk_mov_b32 v[20:21], v[12:13], v[12:13] op_sel:[0,1]
	;; [unrolled: 1-line block ×3, first 2 shown]
	s_and_saveexec_b64 s[8:9], s[40:41]
	s_cbranch_execz .LBB159_10
; %bb.9:                                ;   in Loop: Header=BB159_3 Depth=1
	v_add_co_u32_e32 v4, vcc, v58, v28
	v_addc_co_u32_e32 v5, vcc, v55, v29, vcc
	global_load_dword v2, v[4:5], off
	v_add_co_u32_e32 v4, vcc, v60, v28
	v_addc_co_u32_e32 v5, vcc, v57, v29, vcc
	global_load_dword v10, v[4:5], off
	v_mov_b32_e32 v8, v3
	v_mov_b32_e32 v9, v3
	;; [unrolled: 1-line block ×6, first 2 shown]
	s_waitcnt vmcnt(1)
	v_pk_mov_b32 v[24:25], v[8:9], v[8:9] op_sel:[0,1]
	v_mov_b32_e32 v11, v3
	v_mov_b32_e32 v12, v3
	;; [unrolled: 1-line block ×7, first 2 shown]
	v_pk_mov_b32 v[22:23], v[6:7], v[6:7] op_sel:[0,1]
	v_pk_mov_b32 v[20:21], v[4:5], v[4:5] op_sel:[0,1]
	;; [unrolled: 1-line block ×3, first 2 shown]
.LBB159_10:                             ;   in Loop: Header=BB159_3 Depth=1
	s_or_b64 exec, exec, s[8:9]
	v_add_co_u32_e32 v4, vcc, 0xffffff82, v64
	v_addc_co_u32_e32 v5, vcc, -1, v65, vcc
	v_cmp_gt_i64_e32 vcc, s[12:13], v[4:5]
	s_and_b64 s[22:23], s[2:3], vcc
	s_and_saveexec_b64 s[8:9], s[22:23]
	s_cbranch_execz .LBB159_12
; %bb.11:                               ;   in Loop: Header=BB159_3 Depth=1
	v_add_co_u32_e32 v4, vcc, v54, v28
	v_addc_co_u32_e32 v5, vcc, v51, v29, vcc
	global_load_dword v19, v[4:5], off
	v_add_co_u32_e32 v4, vcc, v56, v28
	v_addc_co_u32_e32 v5, vcc, v53, v29, vcc
	global_load_dword v11, v[4:5], off
.LBB159_12:                             ;   in Loop: Header=BB159_3 Depth=1
	s_or_b64 exec, exec, s[8:9]
	v_add_co_u32_e32 v4, vcc, 0xffffff83, v64
	v_addc_co_u32_e32 v5, vcc, -1, v65, vcc
	v_cmp_gt_i64_e32 vcc, s[12:13], v[4:5]
	s_and_b64 s[22:23], s[2:3], vcc
	s_and_saveexec_b64 s[8:9], s[22:23]
	s_cbranch_execz .LBB159_14
; %bb.13:                               ;   in Loop: Header=BB159_3 Depth=1
	v_add_co_u32_e32 v4, vcc, v50, v28
	v_addc_co_u32_e32 v5, vcc, v47, v29, vcc
	global_load_dword v20, v[4:5], off
	v_add_co_u32_e32 v4, vcc, v52, v28
	v_addc_co_u32_e32 v5, vcc, v49, v29, vcc
	global_load_dword v12, v[4:5], off
.LBB159_14:                             ;   in Loop: Header=BB159_3 Depth=1
	;; [unrolled: 15-line block ×7, first 2 shown]
	s_or_b64 exec, exec, s[8:9]
	s_waitcnt vmcnt(0)
	ds_bpermute_b32 v4, v62, v66 offset:4
	ds_bpermute_b32 v5, v62, v66 offset:8
	ds_bpermute_b32 v2, v62, v66
	v_mul_f32_e32 v8, v10, v18
	v_pk_mul_f32 v[10:11], v[10:11], v[18:19]
	v_pk_mul_f32 v[12:13], v[12:13], v[20:21]
	v_mov_b32_e32 v10, v11
	v_mov_b32_e32 v11, v12
	s_waitcnt lgkmcnt(1)
	v_pk_mul_f32 v[4:5], v[10:11], v[4:5]
	ds_bpermute_b32 v10, v62, v66 offset:12
	ds_bpermute_b32 v11, v62, v66 offset:16
	s_waitcnt lgkmcnt(2)
	v_fma_f32 v2, v8, v2, v63
	v_pk_mul_f32 v[8:9], v[14:15], v[22:23]
	v_add_f32_e32 v2, v2, v4
	v_add_f32_e32 v2, v2, v5
	v_mov_b32_e32 v4, v13
	v_mov_b32_e32 v5, v8
	s_waitcnt lgkmcnt(0)
	v_pk_mul_f32 v[4:5], v[4:5], v[10:11]
	ds_bpermute_b32 v10, v62, v66 offset:20
	ds_bpermute_b32 v11, v62, v66 offset:24
	v_pk_mul_f32 v[6:7], v[16:17], v[24:25]
	v_add_f32_e32 v2, v2, v4
	ds_bpermute_b32 v4, v62, v66 offset:28
	v_mov_b32_e32 v8, v9
	v_mov_b32_e32 v9, v6
	v_add_f32_e32 v2, v2, v5
	s_waitcnt lgkmcnt(1)
	v_pk_mul_f32 v[6:7], v[8:9], v[10:11]
	v_add_f32_e32 v2, v2, v6
	v_add_f32_e32 v2, v2, v7
	s_branch .LBB159_40
.LBB159_25:                             ;   in Loop: Header=BB159_3 Depth=1
                                        ; implicit-def: $vgpr2
                                        ; implicit-def: $vgpr10_vgpr11_vgpr12_vgpr13_vgpr14_vgpr15_vgpr16_vgpr17
                                        ; implicit-def: $vgpr18_vgpr19_vgpr20_vgpr21_vgpr22_vgpr23_vgpr24_vgpr25
                                        ; implicit-def: $vgpr4
	s_cbranch_execz .LBB159_40
; %bb.26:                               ;   in Loop: Header=BB159_3 Depth=1
	s_load_dword s8, s[30:31], 0x0
	v_mov_b32_e32 v66, 0
	s_waitcnt lgkmcnt(0)
	s_cmp_lt_u32 s6, s8
	s_cselect_b32 s8, 12, 18
	s_add_u32 s8, s30, s8
	s_addc_u32 s9, s31, 0
	global_load_ushort v2, v3, s[8:9]
	s_waitcnt vmcnt(0)
	v_mad_u32_u24 v2, v61, v2, v59
	v_and_b32_e32 v2, 63, v2
	v_cmp_gt_u32_e32 vcc, 8, v2
	s_and_saveexec_b64 s[8:9], vcc
	s_cbranch_execz .LBB159_30
; %bb.27:                               ;   in Loop: Header=BB159_3 Depth=1
	v_add_co_u32_e32 v2, vcc, v64, v2
	v_addc_co_u32_e32 v5, vcc, 0, v65, vcc
	v_add_co_u32_e32 v4, vcc, 0xffffff81, v2
	v_addc_co_u32_e32 v5, vcc, -1, v5, vcc
	v_cmp_gt_i64_e32 vcc, s[12:13], v[4:5]
	v_mov_b32_e32 v66, 0
	s_and_saveexec_b64 s[22:23], vcc
	s_cbranch_execz .LBB159_29
; %bb.28:                               ;   in Loop: Header=BB159_3 Depth=1
	v_lshlrev_b64 v[4:5], 2, v[4:5]
	v_mov_b32_e32 v2, s11
	v_add_co_u32_e32 v4, vcc, s10, v4
	v_addc_co_u32_e32 v5, vcc, v2, v5, vcc
	global_load_dword v66, v[4:5], off
.LBB159_29:                             ;   in Loop: Header=BB159_3 Depth=1
	s_or_b64 exec, exec, s[22:23]
.LBB159_30:                             ;   in Loop: Header=BB159_3 Depth=1
	s_or_b64 exec, exec, s[8:9]
	s_mov_b32 s21, s20
	s_mov_b32 s22, s20
	s_mov_b32 s23, s20
	s_mov_b32 s24, s20
	s_mov_b32 s25, s20
	s_mov_b32 s26, s20
	s_mov_b32 s27, s20
	v_pk_mov_b32 v[10:11], s[20:21], s[20:21] op_sel:[0,1]
	v_pk_mov_b32 v[16:17], s[26:27], s[26:27] op_sel:[0,1]
	;; [unrolled: 1-line block ×8, first 2 shown]
	s_and_saveexec_b64 s[8:9], s[2:3]
	s_cbranch_execnz .LBB159_42
; %bb.31:                               ;   in Loop: Header=BB159_3 Depth=1
	s_or_b64 exec, exec, s[8:9]
	s_and_saveexec_b64 s[8:9], s[2:3]
	s_cbranch_execnz .LBB159_43
.LBB159_32:                             ;   in Loop: Header=BB159_3 Depth=1
	s_or_b64 exec, exec, s[8:9]
	s_and_saveexec_b64 s[8:9], s[2:3]
	s_cbranch_execnz .LBB159_44
.LBB159_33:                             ;   in Loop: Header=BB159_3 Depth=1
	s_or_b64 exec, exec, s[8:9]
	s_and_saveexec_b64 s[8:9], s[2:3]
	s_cbranch_execnz .LBB159_45
.LBB159_34:                             ;   in Loop: Header=BB159_3 Depth=1
	s_or_b64 exec, exec, s[8:9]
	s_and_saveexec_b64 s[8:9], s[2:3]
	s_cbranch_execnz .LBB159_46
.LBB159_35:                             ;   in Loop: Header=BB159_3 Depth=1
	s_or_b64 exec, exec, s[8:9]
	s_and_saveexec_b64 s[8:9], s[2:3]
	s_cbranch_execnz .LBB159_47
.LBB159_36:                             ;   in Loop: Header=BB159_3 Depth=1
	s_or_b64 exec, exec, s[8:9]
	s_and_saveexec_b64 s[8:9], s[2:3]
	s_cbranch_execnz .LBB159_48
.LBB159_37:                             ;   in Loop: Header=BB159_3 Depth=1
	s_or_b64 exec, exec, s[8:9]
	s_and_saveexec_b64 s[8:9], s[2:3]
	s_cbranch_execz .LBB159_39
.LBB159_38:                             ;   in Loop: Header=BB159_3 Depth=1
	v_add_co_u32_e32 v4, vcc, v30, v28
	v_addc_co_u32_e32 v5, vcc, v1, v29, vcc
	global_load_dword v25, v[4:5], off
	v_add_co_u32_e32 v4, vcc, v32, v28
	v_addc_co_u32_e32 v5, vcc, v27, v29, vcc
	global_load_dword v17, v[4:5], off
.LBB159_39:                             ;   in Loop: Header=BB159_3 Depth=1
	s_or_b64 exec, exec, s[8:9]
	s_waitcnt vmcnt(0)
	ds_bpermute_b32 v4, v62, v66 offset:4
	ds_bpermute_b32 v5, v62, v66 offset:8
	ds_bpermute_b32 v2, v62, v66
	v_mul_f32_e32 v8, v10, v18
	v_pk_mul_f32 v[10:11], v[10:11], v[18:19]
	v_pk_mul_f32 v[12:13], v[12:13], v[20:21]
	v_mov_b32_e32 v10, v11
	v_mov_b32_e32 v11, v12
	s_waitcnt lgkmcnt(1)
	v_pk_mul_f32 v[4:5], v[10:11], v[4:5]
	ds_bpermute_b32 v10, v62, v66 offset:12
	ds_bpermute_b32 v11, v62, v66 offset:16
	s_waitcnt lgkmcnt(2)
	v_fmac_f32_e32 v63, v8, v2
	v_pk_mul_f32 v[8:9], v[14:15], v[22:23]
	v_add_f32_e32 v2, v63, v4
	v_add_f32_e32 v2, v2, v5
	v_mov_b32_e32 v4, v13
	v_mov_b32_e32 v5, v8
	s_waitcnt lgkmcnt(0)
	v_pk_mul_f32 v[4:5], v[4:5], v[10:11]
	ds_bpermute_b32 v10, v62, v66 offset:20
	ds_bpermute_b32 v11, v62, v66 offset:24
	v_pk_mul_f32 v[6:7], v[16:17], v[24:25]
	v_add_f32_e32 v2, v2, v4
	v_mov_b32_e32 v8, v9
	v_mov_b32_e32 v9, v6
	v_add_f32_e32 v2, v2, v5
	s_waitcnt lgkmcnt(0)
	v_pk_mul_f32 v[6:7], v[8:9], v[10:11]
	v_add_f32_e32 v2, v2, v6
	ds_bpermute_b32 v4, v62, v66 offset:28
	v_add_f32_e32 v2, v2, v7
.LBB159_40:                             ;   in Loop: Header=BB159_3 Depth=1
	v_mul_f32_e32 v5, v25, v17
	s_waitcnt lgkmcnt(0)
	v_fmac_f32_e32 v2, v5, v4
	v_mov_b32_e32 v4, s35
	v_add_co_u32_e32 v30, vcc, s34, v30
	v_addc_co_u32_e32 v1, vcc, v1, v4, vcc
	v_add_co_u32_e32 v32, vcc, s34, v32
	v_addc_co_u32_e32 v27, vcc, v27, v4, vcc
	;; [unrolled: 2-line block ×15, first 2 shown]
	s_add_u32 s38, s38, s7
	v_add_co_u32_e32 v60, vcc, s34, v60
	s_addc_u32 s39, s39, 0
	v_addc_co_u32_e32 v57, vcc, v57, v4, vcc
	v_pk_mov_b32 v[4:5], s[12:13], s[12:13] op_sel:[0,1]
	s_add_u32 s36, s36, s7
	v_cmp_lt_i64_e32 vcc, s[38:39], v[4:5]
	s_addc_u32 s37, s37, 0
	s_cbranch_vccz .LBB159_50
; %bb.41:                               ;   in Loop: Header=BB159_3 Depth=1
	v_mov_b32_e32 v63, v2
	s_branch .LBB159_3
.LBB159_42:                             ;   in Loop: Header=BB159_3 Depth=1
	v_add_co_u32_e32 v4, vcc, v58, v28
	v_addc_co_u32_e32 v5, vcc, v55, v29, vcc
	global_load_dword v2, v[4:5], off
	v_add_co_u32_e32 v4, vcc, v60, v28
	v_addc_co_u32_e32 v5, vcc, v57, v29, vcc
	global_load_dword v10, v[4:5], off
	v_mov_b32_e32 v8, v3
	v_mov_b32_e32 v9, v3
	;; [unrolled: 1-line block ×6, first 2 shown]
	s_waitcnt vmcnt(1)
	v_pk_mov_b32 v[24:25], v[8:9], v[8:9] op_sel:[0,1]
	v_mov_b32_e32 v11, v3
	v_mov_b32_e32 v12, v3
	;; [unrolled: 1-line block ×7, first 2 shown]
	v_pk_mov_b32 v[22:23], v[6:7], v[6:7] op_sel:[0,1]
	v_pk_mov_b32 v[20:21], v[4:5], v[4:5] op_sel:[0,1]
	;; [unrolled: 1-line block ×3, first 2 shown]
	s_or_b64 exec, exec, s[8:9]
	s_and_saveexec_b64 s[8:9], s[2:3]
	s_cbranch_execz .LBB159_32
.LBB159_43:                             ;   in Loop: Header=BB159_3 Depth=1
	v_add_co_u32_e32 v4, vcc, v54, v28
	v_addc_co_u32_e32 v5, vcc, v51, v29, vcc
	global_load_dword v19, v[4:5], off
	v_add_co_u32_e32 v4, vcc, v56, v28
	v_addc_co_u32_e32 v5, vcc, v53, v29, vcc
	global_load_dword v11, v[4:5], off
	s_or_b64 exec, exec, s[8:9]
	s_and_saveexec_b64 s[8:9], s[2:3]
	s_cbranch_execz .LBB159_33
.LBB159_44:                             ;   in Loop: Header=BB159_3 Depth=1
	v_add_co_u32_e32 v4, vcc, v50, v28
	v_addc_co_u32_e32 v5, vcc, v47, v29, vcc
	global_load_dword v20, v[4:5], off
	v_add_co_u32_e32 v4, vcc, v52, v28
	v_addc_co_u32_e32 v5, vcc, v49, v29, vcc
	global_load_dword v12, v[4:5], off
	s_or_b64 exec, exec, s[8:9]
	s_and_saveexec_b64 s[8:9], s[2:3]
	s_cbranch_execz .LBB159_34
.LBB159_45:                             ;   in Loop: Header=BB159_3 Depth=1
	v_add_co_u32_e32 v4, vcc, v46, v28
	v_addc_co_u32_e32 v5, vcc, v43, v29, vcc
	global_load_dword v21, v[4:5], off
	v_add_co_u32_e32 v4, vcc, v48, v28
	v_addc_co_u32_e32 v5, vcc, v45, v29, vcc
	global_load_dword v13, v[4:5], off
	s_or_b64 exec, exec, s[8:9]
	s_and_saveexec_b64 s[8:9], s[2:3]
	s_cbranch_execz .LBB159_35
.LBB159_46:                             ;   in Loop: Header=BB159_3 Depth=1
	v_add_co_u32_e32 v4, vcc, v42, v28
	v_addc_co_u32_e32 v5, vcc, v39, v29, vcc
	global_load_dword v22, v[4:5], off
	v_add_co_u32_e32 v4, vcc, v44, v28
	v_addc_co_u32_e32 v5, vcc, v41, v29, vcc
	global_load_dword v14, v[4:5], off
	s_or_b64 exec, exec, s[8:9]
	s_and_saveexec_b64 s[8:9], s[2:3]
	s_cbranch_execz .LBB159_36
.LBB159_47:                             ;   in Loop: Header=BB159_3 Depth=1
	v_add_co_u32_e32 v4, vcc, v38, v28
	v_addc_co_u32_e32 v5, vcc, v35, v29, vcc
	global_load_dword v23, v[4:5], off
	v_add_co_u32_e32 v4, vcc, v40, v28
	v_addc_co_u32_e32 v5, vcc, v37, v29, vcc
	global_load_dword v15, v[4:5], off
	s_or_b64 exec, exec, s[8:9]
	s_and_saveexec_b64 s[8:9], s[2:3]
	s_cbranch_execz .LBB159_37
.LBB159_48:                             ;   in Loop: Header=BB159_3 Depth=1
	v_add_co_u32_e32 v4, vcc, v34, v28
	v_addc_co_u32_e32 v5, vcc, v31, v29, vcc
	global_load_dword v24, v[4:5], off
	v_add_co_u32_e32 v4, vcc, v36, v28
	v_addc_co_u32_e32 v5, vcc, v33, v29, vcc
	global_load_dword v16, v[4:5], off
	s_or_b64 exec, exec, s[8:9]
	s_and_saveexec_b64 s[8:9], s[2:3]
	s_cbranch_execnz .LBB159_38
	s_branch .LBB159_39
.LBB159_49:
                                        ; implicit-def: $vgpr2
	s_branch .LBB159_51
.LBB159_50:
	s_cbranch_execnz .LBB159_83
.LBB159_51:
	s_and_b64 vcc, exec, s[0:1]
	v_mov_b32_e32 v2, 0
	s_cbranch_vccnz .LBB159_83
; %bb.52:
	s_load_dword s0, s[4:5], 0x44
	s_add_u32 s2, s4, 64
	s_addc_u32 s3, s5, 0
	v_bfe_u32 v85, v0, 10, 10
	v_lshlrev_b32_e32 v1, 5, v85
	s_waitcnt lgkmcnt(0)
	s_lshl_b32 s7, s0, 7
	s_add_u32 s8, s28, 0x7f
	s_addc_u32 s9, 0, 0
	s_lshl_b64 s[0:1], s[28:29], 2
	v_mov_b32_e32 v2, s1
	v_add_co_u32_e32 v1, vcc, s0, v1
	v_addc_co_u32_e32 v4, vcc, 0, v2, vcc
	v_add_co_u32_e32 v6, vcc, 4, v1
	v_addc_co_u32_e32 v5, vcc, 0, v4, vcc
	v_add_co_u32_e32 v9, vcc, 8, v1
	v_mul_lo_u32 v7, s14, v5
	v_addc_co_u32_e32 v5, vcc, 0, v4, vcc
	v_add_co_u32_e32 v12, vcc, 12, v1
	v_mul_lo_u32 v10, s14, v5
	;; [unrolled: 3-line block ×5, first 2 shown]
	v_addc_co_u32_e32 v5, vcc, 0, v4, vcc
	v_add_co_u32_e32 v24, vcc, 28, v1
	v_lshlrev_b32_e32 v26, 3, v85
	v_addc_co_u32_e32 v1, vcc, 0, v4, vcc
	v_mul_lo_u32 v25, s14, v1
	v_mov_b32_e32 v1, s29
	v_add_co_u32_e32 v43, vcc, s28, v26
	v_pk_mov_b32 v[2:3], s[16:17], s[16:17] op_sel:[0,1]
	v_addc_co_u32_e32 v59, vcc, 0, v1, vcc
	v_mad_u64_u32 v[28:29], s[0:1], s14, v6, v[2:3]
	v_mad_u64_u32 v[30:31], s[0:1], s14, v9, v[2:3]
	;; [unrolled: 1-line block ×7, first 2 shown]
	v_mul_lo_u32 v60, s15, v43
	v_mul_lo_u32 v61, s14, v59
	v_mad_u64_u32 v[2:3], s[0:1], s14, v43, 0
	v_add3_u32 v3, v3, v61, v60
	v_lshlrev_b64 v[2:3], 2, v[2:3]
	v_mul_lo_u32 v22, s14, v5
	v_mov_b32_e32 v81, s17
	v_add_co_u32_e32 v42, vcc, s16, v2
	v_pk_mov_b32 v[4:5], s[18:19], s[18:19] op_sel:[0,1]
	v_mul_lo_u32 v17, s15, v15
	v_addc_co_u32_e32 v1, vcc, v81, v3, vcc
	v_mad_u64_u32 v[50:51], s[0:1], s14, v15, v[4:5]
	v_add3_u32 v35, v17, v35, v16
	v_mul_lo_u32 v27, s15, v24
	v_add3_u32 v51, v17, v51, v16
	v_mad_u64_u32 v[56:57], s[0:1], s14, v24, v[4:5]
	v_mov_b32_e32 v16, s19
	v_add_co_u32_e32 v58, vcc, s18, v2
	v_add3_u32 v41, v27, v41, v25
	v_add3_u32 v57, v27, v57, v25
	v_addc_co_u32_e32 v27, vcc, v16, v3, vcc
	v_add_co_u32_e32 v2, vcc, 7, v43
	v_addc_co_u32_e32 v3, vcc, 0, v59, vcc
	v_mad_u64_u32 v[44:45], s[0:1], s14, v6, v[4:5]
	v_mad_u64_u32 v[46:47], s[0:1], s14, v9, v[4:5]
	;; [unrolled: 1-line block ×5, first 2 shown]
	v_mul_lo_u32 v4, s15, v2
	v_mul_lo_u32 v5, s14, v3
	v_mad_u64_u32 v[2:3], s[0:1], s14, v2, 0
	v_add3_u32 v3, v3, v5, v4
	v_add_co_u32_e32 v4, vcc, 6, v43
	v_mul_lo_u32 v8, s15, v6
	v_addc_co_u32_e32 v5, vcc, 0, v59, vcc
	v_add3_u32 v29, v8, v29, v7
	v_add3_u32 v45, v8, v45, v7
	v_mul_lo_u32 v6, s15, v4
	v_mul_lo_u32 v7, s14, v5
	v_mad_u64_u32 v[4:5], s[0:1], s14, v4, 0
	v_add3_u32 v5, v5, v7, v6
	v_add_co_u32_e32 v6, vcc, 5, v43
	v_addc_co_u32_e32 v7, vcc, 0, v59, vcc
	v_mul_lo_u32 v11, s15, v9
	v_mul_lo_u32 v8, s15, v6
	;; [unrolled: 1-line block ×3, first 2 shown]
	v_mad_u64_u32 v[6:7], s[0:1], s14, v6, 0
	v_add3_u32 v7, v7, v9, v8
	v_add_co_u32_e32 v8, vcc, 4, v43
	v_addc_co_u32_e32 v9, vcc, 0, v59, vcc
	v_add3_u32 v31, v11, v31, v10
	v_add3_u32 v47, v11, v47, v10
	v_mul_lo_u32 v10, s15, v8
	v_mul_lo_u32 v11, s14, v9
	v_mad_u64_u32 v[8:9], s[0:1], s14, v8, 0
	v_add3_u32 v9, v9, v11, v10
	v_add_co_u32_e32 v10, vcc, 3, v43
	v_mul_lo_u32 v14, s15, v12
	v_addc_co_u32_e32 v11, vcc, 0, v59, vcc
	v_add3_u32 v33, v14, v33, v13
	v_add3_u32 v49, v14, v49, v13
	v_mul_lo_u32 v12, s15, v10
	v_mul_lo_u32 v13, s14, v11
	v_mad_u64_u32 v[10:11], s[0:1], s14, v10, 0
	v_add3_u32 v11, v11, v13, v12
	v_add_co_u32_e32 v12, vcc, 2, v43
	v_addc_co_u32_e32 v13, vcc, 0, v59, vcc
	v_mul_lo_u32 v14, s15, v12
	v_mul_lo_u32 v15, s14, v13
	v_mad_u64_u32 v[12:13], s[0:1], s14, v12, 0
	v_add3_u32 v13, v13, v15, v14
	v_pk_mov_b32 v[14:15], s[14:15], s[14:15] op_sel:[0,1]
	v_lshlrev_b64 v[2:3], 2, v[2:3]
	v_mad_u64_u32 v[14:15], s[0:1], s14, v43, v[14:15]
	v_add3_u32 v15, v60, v15, v61
	v_add_co_u32_e32 v60, vcc, s16, v2
	v_addc_co_u32_e32 v43, vcc, v81, v3, vcc
	v_add_co_u32_e32 v62, vcc, s18, v2
	v_addc_co_u32_e32 v59, vcc, v16, v3, vcc
	v_lshlrev_b64 v[2:3], 2, v[4:5]
	v_add_co_u32_e32 v64, vcc, s16, v2
	v_addc_co_u32_e32 v61, vcc, v81, v3, vcc
	v_add_co_u32_e32 v66, vcc, s18, v2
	v_addc_co_u32_e32 v63, vcc, v16, v3, vcc
	v_lshlrev_b64 v[2:3], 2, v[6:7]
	v_add_co_u32_e32 v68, vcc, s16, v2
	v_addc_co_u32_e32 v65, vcc, v81, v3, vcc
	v_add_co_u32_e32 v70, vcc, s18, v2
	v_addc_co_u32_e32 v67, vcc, v16, v3, vcc
	v_lshlrev_b64 v[2:3], 2, v[8:9]
	v_add_co_u32_e32 v72, vcc, s16, v2
	v_addc_co_u32_e32 v69, vcc, v81, v3, vcc
	v_add_co_u32_e32 v74, vcc, s18, v2
	v_addc_co_u32_e32 v71, vcc, v16, v3, vcc
	v_lshlrev_b64 v[2:3], 2, v[10:11]
	v_add_co_u32_e32 v76, vcc, s16, v2
	v_addc_co_u32_e32 v73, vcc, v81, v3, vcc
	v_add_co_u32_e32 v78, vcc, s18, v2
	v_addc_co_u32_e32 v75, vcc, v16, v3, vcc
	v_lshlrev_b64 v[2:3], 2, v[12:13]
	v_add_co_u32_e32 v80, vcc, s16, v2
	v_addc_co_u32_e32 v77, vcc, v81, v3, vcc
	v_add_co_u32_e32 v82, vcc, s18, v2
	v_addc_co_u32_e32 v79, vcc, v16, v3, vcc
	v_lshlrev_b64 v[2:3], 2, v[14:15]
	v_add_co_u32_e32 v84, vcc, s16, v2
	v_addc_co_u32_e32 v81, vcc, v81, v3, vcc
	v_mbcnt_lo_u32_b32 v4, -1, 0
	v_add_co_u32_e32 v86, vcc, s18, v2
	v_and_b32_e32 v87, 0x3ff, v0
	s_mul_i32 s0, s15, s7
	s_mul_hi_u32 s1, s14, s7
	v_mbcnt_hi_u32_b32 v4, -1, v4
	v_mul_lo_u32 v20, s15, v18
	v_mul_lo_u32 v23, s15, v21
	v_addc_co_u32_e32 v83, vcc, v16, v3, vcc
	v_add_u32_e32 v2, s33, v87
	v_mov_b32_e32 v3, 0
	s_add_i32 s1, s1, s0
	s_mul_i32 s0, s14, s7
	v_lshlrev_b32_e32 v4, 2, v4
	v_add3_u32 v37, v20, v37, v19
	v_add3_u32 v39, v23, v39, v22
	;; [unrolled: 1-line block ×4, first 2 shown]
	s_mov_b32 s16, 0
	s_lshl_b64 s[24:25], s[0:1], 2
	v_and_b32_e32 v90, 0x100, v4
	v_mov_b32_e32 v91, 0
	v_lshlrev_b64 v[88:89], 2, v[2:3]
.LBB159_53:                             ; =>This Inner Loop Header: Depth=1
	v_pk_mov_b32 v[4:5], s[12:13], s[12:13] op_sel:[0,1]
	v_cmp_ge_i64_e32 vcc, s[8:9], v[4:5]
	v_mov_b32_e32 v2, s9
	v_add_co_u32_e64 v92, s[0:1], s8, v26
	v_addc_co_u32_e64 v93, s[0:1], 0, v2, s[0:1]
	s_cbranch_vccz .LBB159_75
; %bb.54:                               ;   in Loop: Header=BB159_53 Depth=1
	s_load_dword s0, s[2:3], 0xc
	v_mov_b32_e32 v94, 0
	s_waitcnt lgkmcnt(0)
	s_and_b32 s0, s0, 0xffff
	v_mad_u32_u24 v2, v85, s0, v87
	v_and_b32_e32 v2, 63, v2
	v_cmp_gt_u32_e32 vcc, 8, v2
	s_and_saveexec_b64 s[0:1], vcc
	s_cbranch_execz .LBB159_58
; %bb.55:                               ;   in Loop: Header=BB159_53 Depth=1
	v_add_co_u32_e32 v2, vcc, v92, v2
	v_addc_co_u32_e32 v5, vcc, 0, v93, vcc
	v_add_co_u32_e32 v4, vcc, 0xffffff81, v2
	v_addc_co_u32_e32 v5, vcc, -1, v5, vcc
	v_cmp_gt_i64_e32 vcc, s[12:13], v[4:5]
	v_mov_b32_e32 v94, 0
	s_and_saveexec_b64 s[18:19], vcc
	s_cbranch_execz .LBB159_57
; %bb.56:                               ;   in Loop: Header=BB159_53 Depth=1
	v_lshlrev_b64 v[4:5], 2, v[4:5]
	v_mov_b32_e32 v2, s11
	v_add_co_u32_e32 v4, vcc, s10, v4
	v_addc_co_u32_e32 v5, vcc, v2, v5, vcc
	global_load_dword v94, v[4:5], off
.LBB159_57:                             ;   in Loop: Header=BB159_53 Depth=1
	s_or_b64 exec, exec, s[18:19]
.LBB159_58:                             ;   in Loop: Header=BB159_53 Depth=1
	s_or_b64 exec, exec, s[0:1]
	s_mov_b32 s17, s16
	s_mov_b32 s18, s16
	;; [unrolled: 1-line block ×7, first 2 shown]
	v_pk_mov_b32 v[10:11], s[16:17], s[16:17] op_sel:[0,1]
	v_add_co_u32_e32 v4, vcc, 0xffffff81, v92
	v_pk_mov_b32 v[16:17], s[22:23], s[22:23] op_sel:[0,1]
	v_addc_co_u32_e32 v5, vcc, -1, v93, vcc
	v_pk_mov_b32 v[12:13], s[18:19], s[18:19] op_sel:[0,1]
	v_pk_mov_b32 v[14:15], s[20:21], s[20:21] op_sel:[0,1]
	v_pk_mov_b32 v[24:25], v[16:17], v[16:17] op_sel:[0,1]
	v_cmp_gt_i64_e32 vcc, s[12:13], v[4:5]
	v_pk_mov_b32 v[22:23], v[14:15], v[14:15] op_sel:[0,1]
	v_pk_mov_b32 v[20:21], v[12:13], v[12:13] op_sel:[0,1]
	v_pk_mov_b32 v[18:19], v[10:11], v[10:11] op_sel:[0,1]
	s_and_saveexec_b64 s[0:1], vcc
	s_cbranch_execz .LBB159_60
; %bb.59:                               ;   in Loop: Header=BB159_53 Depth=1
	v_add_co_u32_e32 v4, vcc, v42, v88
	v_addc_co_u32_e32 v5, vcc, v1, v89, vcc
	global_load_dword v2, v[4:5], off
	v_add_co_u32_e32 v4, vcc, v58, v88
	v_addc_co_u32_e32 v5, vcc, v27, v89, vcc
	global_load_dword v10, v[4:5], off
	v_mov_b32_e32 v8, v3
	v_mov_b32_e32 v9, v3
	;; [unrolled: 1-line block ×6, first 2 shown]
	s_waitcnt vmcnt(1)
	v_pk_mov_b32 v[24:25], v[8:9], v[8:9] op_sel:[0,1]
	v_mov_b32_e32 v11, v3
	v_mov_b32_e32 v12, v3
	;; [unrolled: 1-line block ×7, first 2 shown]
	v_pk_mov_b32 v[22:23], v[6:7], v[6:7] op_sel:[0,1]
	v_pk_mov_b32 v[20:21], v[4:5], v[4:5] op_sel:[0,1]
	;; [unrolled: 1-line block ×3, first 2 shown]
.LBB159_60:                             ;   in Loop: Header=BB159_53 Depth=1
	s_or_b64 exec, exec, s[0:1]
	v_add_co_u32_e32 v4, vcc, 0xffffff82, v92
	v_addc_co_u32_e32 v5, vcc, -1, v93, vcc
	v_cmp_gt_i64_e32 vcc, s[12:13], v[4:5]
	s_and_saveexec_b64 s[0:1], vcc
	s_cbranch_execz .LBB159_62
; %bb.61:                               ;   in Loop: Header=BB159_53 Depth=1
	v_add_co_u32_e32 v4, vcc, v84, v88
	v_addc_co_u32_e32 v5, vcc, v81, v89, vcc
	global_load_dword v19, v[4:5], off
	v_add_co_u32_e32 v4, vcc, v86, v88
	v_addc_co_u32_e32 v5, vcc, v83, v89, vcc
	global_load_dword v11, v[4:5], off
.LBB159_62:                             ;   in Loop: Header=BB159_53 Depth=1
	s_or_b64 exec, exec, s[0:1]
	v_add_co_u32_e32 v4, vcc, 0xffffff83, v92
	v_addc_co_u32_e32 v5, vcc, -1, v93, vcc
	v_cmp_gt_i64_e32 vcc, s[12:13], v[4:5]
	s_and_saveexec_b64 s[0:1], vcc
	s_cbranch_execz .LBB159_64
; %bb.63:                               ;   in Loop: Header=BB159_53 Depth=1
	v_add_co_u32_e32 v4, vcc, v80, v88
	v_addc_co_u32_e32 v5, vcc, v77, v89, vcc
	global_load_dword v20, v[4:5], off
	v_add_co_u32_e32 v4, vcc, v82, v88
	v_addc_co_u32_e32 v5, vcc, v79, v89, vcc
	global_load_dword v12, v[4:5], off
.LBB159_64:                             ;   in Loop: Header=BB159_53 Depth=1
	;; [unrolled: 14-line block ×7, first 2 shown]
	s_or_b64 exec, exec, s[0:1]
	s_waitcnt vmcnt(0)
	ds_bpermute_b32 v4, v90, v94
	ds_bpermute_b32 v5, v90, v94 offset:4
	v_pk_mul_f32 v[8:9], v[14:15], v[22:23]
	ds_bpermute_b32 v14, v90, v94 offset:8
	ds_bpermute_b32 v15, v90, v94 offset:12
	v_pk_mul_f32 v[10:11], v[10:11], v[18:19]
	s_waitcnt lgkmcnt(2)
	v_pk_mul_f32 v[4:5], v[10:11], v[4:5]
	ds_bpermute_b32 v10, v90, v94 offset:16
	ds_bpermute_b32 v11, v90, v94 offset:20
	v_pk_mul_f32 v[12:13], v[12:13], v[20:21]
	v_add_f32_e32 v2, v91, v4
	v_add_f32_e32 v2, v2, v5
	s_waitcnt lgkmcnt(2)
	v_pk_mul_f32 v[4:5], v[12:13], v[14:15]
	ds_bpermute_b32 v12, v90, v94 offset:24
	ds_bpermute_b32 v13, v90, v94 offset:28
	v_add_f32_e32 v2, v2, v4
	v_add_f32_e32 v2, v2, v5
	s_waitcnt lgkmcnt(2)
	v_pk_mul_f32 v[4:5], v[8:9], v[10:11]
	v_pk_mul_f32 v[6:7], v[16:17], v[24:25]
	v_add_f32_e32 v2, v2, v4
	v_add_f32_e32 v2, v2, v5
	s_waitcnt lgkmcnt(0)
	v_pk_mul_f32 v[4:5], v[6:7], v[12:13]
	v_add_f32_e32 v2, v2, v4
	v_add_f32_e32 v2, v2, v5
	s_branch .LBB159_81
.LBB159_75:                             ;   in Loop: Header=BB159_53 Depth=1
                                        ; implicit-def: $vgpr2
	s_cbranch_execz .LBB159_81
; %bb.76:                               ;   in Loop: Header=BB159_53 Depth=1
	s_load_dword s0, s[2:3], 0x0
	s_waitcnt lgkmcnt(0)
	s_cmp_lt_u32 s6, s0
	s_cselect_b32 s0, 12, 18
	s_add_u32 s0, s2, s0
	s_addc_u32 s1, s3, 0
	global_load_ushort v2, v3, s[0:1]
	s_waitcnt vmcnt(0)
	v_mad_u32_u24 v2, v85, v2, v87
	v_and_b32_e32 v4, 63, v2
	v_cmp_gt_u32_e32 vcc, 8, v4
	v_mov_b32_e32 v2, 0
	s_and_saveexec_b64 s[0:1], vcc
	s_cbranch_execz .LBB159_80
; %bb.77:                               ;   in Loop: Header=BB159_53 Depth=1
	v_add_co_u32_e32 v2, vcc, v92, v4
	v_addc_co_u32_e32 v5, vcc, 0, v93, vcc
	v_add_co_u32_e32 v4, vcc, 0xffffff81, v2
	v_addc_co_u32_e32 v5, vcc, -1, v5, vcc
	v_cmp_gt_i64_e32 vcc, s[12:13], v[4:5]
	v_mov_b32_e32 v2, 0
	s_and_saveexec_b64 s[18:19], vcc
	s_cbranch_execz .LBB159_79
; %bb.78:                               ;   in Loop: Header=BB159_53 Depth=1
	v_lshlrev_b64 v[4:5], 2, v[4:5]
	v_mov_b32_e32 v2, s11
	v_add_co_u32_e32 v4, vcc, s10, v4
	v_addc_co_u32_e32 v5, vcc, v2, v5, vcc
	global_load_dword v2, v[4:5], off
.LBB159_79:                             ;   in Loop: Header=BB159_53 Depth=1
	s_or_b64 exec, exec, s[18:19]
.LBB159_80:                             ;   in Loop: Header=BB159_53 Depth=1
	s_or_b64 exec, exec, s[0:1]
	v_add_co_u32_e32 v4, vcc, v42, v88
	v_addc_co_u32_e32 v5, vcc, v1, v89, vcc
	v_add_co_u32_e32 v6, vcc, v58, v88
	v_addc_co_u32_e32 v7, vcc, v27, v89, vcc
	;; [unrolled: 2-line block ×3, first 2 shown]
	global_load_dword v4, v[4:5], off
	s_nop 0
	global_load_dword v5, v[8:9], off
	v_add_co_u32_e32 v8, vcc, v44, v88
	v_addc_co_u32_e32 v9, vcc, v45, v89, vcc
	global_load_dword v6, v[6:7], off
	s_nop 0
	global_load_dword v7, v[8:9], off
	v_add_co_u32_e32 v8, vcc, v30, v88
	v_addc_co_u32_e32 v9, vcc, v31, v89, vcc
	v_add_co_u32_e32 v10, vcc, v46, v88
	v_addc_co_u32_e32 v11, vcc, v47, v89, vcc
	;; [unrolled: 2-line block ×3, first 2 shown]
	global_load_dword v8, v[8:9], off
	s_waitcnt vmcnt(1)
	v_pk_mul_f32 v[4:5], v[4:5], v[6:7]
	global_load_dword v9, v[12:13], off
	v_add_co_u32_e32 v12, vcc, v48, v88
	v_addc_co_u32_e32 v13, vcc, v49, v89, vcc
	global_load_dword v10, v[10:11], off
	ds_bpermute_b32 v6, v90, v2 offset:8
	global_load_dword v11, v[12:13], off
	v_add_co_u32_e32 v12, vcc, v34, v88
	v_addc_co_u32_e32 v13, vcc, v35, v89, vcc
	v_add_co_u32_e32 v14, vcc, v50, v88
	v_addc_co_u32_e32 v15, vcc, v51, v89, vcc
	;; [unrolled: 2-line block ×3, first 2 shown]
	global_load_dword v12, v[12:13], off
	ds_bpermute_b32 v7, v90, v2 offset:12
	global_load_dword v13, v[16:17], off
	v_add_co_u32_e32 v16, vcc, v52, v88
	v_addc_co_u32_e32 v17, vcc, v53, v89, vcc
	global_load_dword v14, v[14:15], off
	s_nop 0
	global_load_dword v15, v[16:17], off
	v_add_co_u32_e32 v16, vcc, v38, v88
	v_addc_co_u32_e32 v17, vcc, v39, v89, vcc
	v_add_co_u32_e32 v18, vcc, v54, v88
	v_addc_co_u32_e32 v19, vcc, v55, v89, vcc
	v_add_co_u32_e32 v20, vcc, v40, v88
	v_addc_co_u32_e32 v21, vcc, v41, v89, vcc
	global_load_dword v16, v[16:17], off
	s_nop 0
	global_load_dword v17, v[20:21], off
	v_add_co_u32_e32 v20, vcc, v56, v88
	v_addc_co_u32_e32 v21, vcc, v57, v89, vcc
	global_load_dword v18, v[18:19], off
	s_nop 0
	global_load_dword v19, v[20:21], off
	ds_bpermute_b32 v20, v90, v2
	ds_bpermute_b32 v21, v90, v2 offset:4
	s_waitcnt lgkmcnt(0)
	v_pk_mul_f32 v[4:5], v[4:5], v[20:21]
	v_add_f32_e32 v4, v91, v4
	v_add_f32_e32 v20, v4, v5
	s_waitcnt vmcnt(8)
	v_pk_mul_f32 v[4:5], v[8:9], v[10:11]
	v_pk_mul_f32 v[4:5], v[4:5], v[6:7]
	ds_bpermute_b32 v6, v90, v2 offset:16
	ds_bpermute_b32 v7, v90, v2 offset:20
	v_add_f32_e32 v4, v20, v4
	ds_bpermute_b32 v8, v90, v2 offset:24
	ds_bpermute_b32 v9, v90, v2 offset:28
	v_add_f32_e32 v10, v4, v5
	s_waitcnt vmcnt(4)
	v_pk_mul_f32 v[4:5], v[12:13], v[14:15]
	s_waitcnt lgkmcnt(2)
	v_pk_mul_f32 v[4:5], v[4:5], v[6:7]
	v_add_f32_e32 v2, v10, v4
	v_add_f32_e32 v2, v2, v5
	s_waitcnt vmcnt(0)
	v_pk_mul_f32 v[4:5], v[16:17], v[18:19]
	s_waitcnt lgkmcnt(0)
	v_pk_mul_f32 v[4:5], v[4:5], v[8:9]
	v_add_f32_e32 v2, v2, v4
	v_add_f32_e32 v2, v2, v5
.LBB159_81:                             ;   in Loop: Header=BB159_53 Depth=1
	s_add_u32 s28, s28, s7
	s_addc_u32 s29, s29, 0
	v_pk_mov_b32 v[4:5], s[12:13], s[12:13] op_sel:[0,1]
	v_cmp_ge_i64_e32 vcc, s[28:29], v[4:5]
	v_mov_b32_e32 v4, s25
	v_add_co_u32_e64 v28, s[0:1], s24, v28
	v_addc_co_u32_e64 v29, s[0:1], v29, v4, s[0:1]
	v_add_co_u32_e64 v30, s[0:1], s24, v30
	v_addc_co_u32_e64 v31, s[0:1], v31, v4, s[0:1]
	;; [unrolled: 2-line block ×29, first 2 shown]
	v_add_co_u32_e64 v86, s[0:1], s24, v86
	s_add_u32 s8, s8, s7
	v_addc_co_u32_e64 v83, s[0:1], v83, v4, s[0:1]
	s_addc_u32 s9, s9, 0
	s_cbranch_vccnz .LBB159_83
; %bb.82:                               ;   in Loop: Header=BB159_53 Depth=1
	v_mov_b32_e32 v91, v2
	s_branch .LBB159_53
.LBB159_83:
	v_and_b32_e32 v3, 0x3ff, v0
	v_bfe_u32 v0, v0, 10, 10
	v_mad_u32_u24 v4, v0, 33, v3
	v_lshl_add_u32 v5, v4, 2, 0
	ds_write_b32 v5, v2
	v_sub_u32_e32 v2, v4, v0
	s_movk_i32 s0, 0x800
	s_mov_b32 s7, 0
	v_mov_b32_e32 v1, 0
	v_cmp_gt_u32_e32 vcc, s0, v2
	ds_write_b32 v5, v1 offset:2112
	s_waitcnt lgkmcnt(0)
	s_barrier
	s_and_saveexec_b64 s[0:1], vcc
	s_cbranch_execz .LBB159_90
; %bb.84:
	v_mbcnt_lo_u32_b32 v4, -1, 0
	v_mbcnt_hi_u32_b32 v7, -1, v4
	v_and_b32_e32 v4, 64, v7
	v_add_u32_e32 v8, 64, v4
	v_cmp_ne_u32_e64 s[0:1], 0, v3
	v_xor_b32_e32 v3, 8, v7
	v_cmp_lt_i32_e64 s[2:3], v3, v8
	v_cndmask_b32_e64 v3, v7, v3, s[2:3]
	v_lshlrev_b32_e32 v4, 2, v3
	v_xor_b32_e32 v3, 4, v7
	v_cmp_lt_i32_e64 s[2:3], v3, v8
	s_load_dwordx2 s[12:13], s[4:5], 0x30
	v_cndmask_b32_e64 v3, v7, v3, s[2:3]
	v_lshlrev_b32_e32 v5, 2, v3
	v_xor_b32_e32 v3, 2, v7
	v_cmp_lt_i32_e64 s[2:3], v3, v8
	v_cndmask_b32_e64 v3, v7, v3, s[2:3]
	s_lshl_b64 s[4:5], s[6:7], 5
	v_lshlrev_b32_e32 v6, 2, v3
	v_xor_b32_e32 v3, 1, v7
	s_waitcnt lgkmcnt(0)
	s_cmp_eq_u64 s[12:13], 0
	v_cmp_lt_i32_e64 s[2:3], v3, v8
	s_cselect_b64 s[10:11], -1, 0
	v_cndmask_b32_e64 v3, v7, v3, s[2:3]
	s_lshl_b64 s[2:3], s[6:7], 7
	v_lshrrev_b32_e32 v0, 6, v2
	v_and_b32_e32 v2, 63, v2
	s_add_u32 s2, s12, s2
	v_cmp_gt_u32_e32 vcc, 16, v2
	v_mul_u32_u24_e32 v2, 0x84, v2
	v_lshlrev_b32_e32 v7, 2, v3
	v_lshlrev_b32_e32 v3, 2, v0
	s_addc_u32 s3, s13, s3
	v_add3_u32 v8, v2, v3, 0
	v_mov_b32_e32 v9, s3
	v_add_co_u32_e64 v2, s[2:3], s2, v3
	s_mov_b64 s[8:9], 0
	v_addc_co_u32_e64 v3, s[2:3], 0, v9, s[2:3]
	v_mov_b32_e32 v9, s5
                                        ; implicit-def: $vgpr10
	s_branch .LBB159_86
.LBB159_85:                             ;   in Loop: Header=BB159_86 Depth=1
	s_or_b64 exec, exec, s[2:3]
	v_add_co_u32_e64 v0, s[2:3], 8, v0
	v_addc_co_u32_e64 v1, s[2:3], 0, v1, s[2:3]
	v_add_u32_e32 v11, -8, v0
	v_cmp_lt_u32_e64 s[2:3], 23, v11
	s_or_b64 s[8:9], s[2:3], s[8:9]
	v_add_co_u32_e64 v2, s[2:3], 32, v2
	v_add_u32_e32 v8, 32, v8
	v_addc_co_u32_e64 v3, s[2:3], 0, v3, s[2:3]
	s_andn2_b64 exec, exec, s[8:9]
	s_cbranch_execz .LBB159_90
.LBB159_86:                             ; =>This Inner Loop Header: Depth=1
	s_and_saveexec_b64 s[2:3], vcc
	s_cbranch_execz .LBB159_88
; %bb.87:                               ;   in Loop: Header=BB159_86 Depth=1
	ds_read_b32 v10, v8
.LBB159_88:                             ;   in Loop: Header=BB159_86 Depth=1
	s_or_b64 exec, exec, s[2:3]
	s_waitcnt lgkmcnt(0)
	ds_bpermute_b32 v11, v4, v10
	s_waitcnt lgkmcnt(0)
	v_add_f32_e32 v10, v10, v11
	ds_bpermute_b32 v11, v5, v10
	s_waitcnt lgkmcnt(0)
	v_add_f32_e32 v10, v10, v11
	;; [unrolled: 3-line block ×3, first 2 shown]
	ds_bpermute_b32 v13, v7, v12
	v_add_co_u32_e64 v10, s[2:3], s4, v0
	v_addc_co_u32_e64 v11, s[2:3], v9, v1, s[2:3]
	v_cmp_le_i64_e64 s[2:3], s[14:15], v[10:11]
	s_or_b64 s[2:3], s[0:1], s[2:3]
	s_or_b64 s[2:3], s[10:11], s[2:3]
	s_waitcnt lgkmcnt(0)
	v_add_f32_e32 v10, v12, v13
	s_xor_b64 s[6:7], s[2:3], -1
	s_and_saveexec_b64 s[2:3], s[6:7]
	s_cbranch_execz .LBB159_85
; %bb.89:                               ;   in Loop: Header=BB159_86 Depth=1
	global_store_dword v[2:3], v10, off
	s_branch .LBB159_85
.LBB159_90:
	s_endpgm
	.section	.rodata,"a",@progbits
	.p2align	6, 0x0
	.amdhsa_kernel _ZN2at6native12_GLOBAL__N_135GammaBetaBackwardCUDAKernelTemplateIffLj32ELj16ELj128ELb0ELb0ELb1EEEvllPKT_S5_PKT0_S8_PS3_S9_
		.amdhsa_group_segment_fixed_size 0
		.amdhsa_private_segment_fixed_size 0
		.amdhsa_kernarg_size 320
		.amdhsa_user_sgpr_count 6
		.amdhsa_user_sgpr_private_segment_buffer 1
		.amdhsa_user_sgpr_dispatch_ptr 0
		.amdhsa_user_sgpr_queue_ptr 0
		.amdhsa_user_sgpr_kernarg_segment_ptr 1
		.amdhsa_user_sgpr_dispatch_id 0
		.amdhsa_user_sgpr_flat_scratch_init 0
		.amdhsa_user_sgpr_kernarg_preload_length 0
		.amdhsa_user_sgpr_kernarg_preload_offset 0
		.amdhsa_user_sgpr_private_segment_size 0
		.amdhsa_uses_dynamic_stack 0
		.amdhsa_system_sgpr_private_segment_wavefront_offset 0
		.amdhsa_system_sgpr_workgroup_id_x 1
		.amdhsa_system_sgpr_workgroup_id_y 1
		.amdhsa_system_sgpr_workgroup_id_z 0
		.amdhsa_system_sgpr_workgroup_info 0
		.amdhsa_system_vgpr_workitem_id 1
		.amdhsa_next_free_vgpr 95
		.amdhsa_next_free_sgpr 42
		.amdhsa_accum_offset 96
		.amdhsa_reserve_vcc 1
		.amdhsa_reserve_flat_scratch 0
		.amdhsa_float_round_mode_32 0
		.amdhsa_float_round_mode_16_64 0
		.amdhsa_float_denorm_mode_32 3
		.amdhsa_float_denorm_mode_16_64 3
		.amdhsa_dx10_clamp 1
		.amdhsa_ieee_mode 1
		.amdhsa_fp16_overflow 0
		.amdhsa_tg_split 0
		.amdhsa_exception_fp_ieee_invalid_op 0
		.amdhsa_exception_fp_denorm_src 0
		.amdhsa_exception_fp_ieee_div_zero 0
		.amdhsa_exception_fp_ieee_overflow 0
		.amdhsa_exception_fp_ieee_underflow 0
		.amdhsa_exception_fp_ieee_inexact 0
		.amdhsa_exception_int_div_zero 0
	.end_amdhsa_kernel
	.section	.text._ZN2at6native12_GLOBAL__N_135GammaBetaBackwardCUDAKernelTemplateIffLj32ELj16ELj128ELb0ELb0ELb1EEEvllPKT_S5_PKT0_S8_PS3_S9_,"axG",@progbits,_ZN2at6native12_GLOBAL__N_135GammaBetaBackwardCUDAKernelTemplateIffLj32ELj16ELj128ELb0ELb0ELb1EEEvllPKT_S5_PKT0_S8_PS3_S9_,comdat
.Lfunc_end159:
	.size	_ZN2at6native12_GLOBAL__N_135GammaBetaBackwardCUDAKernelTemplateIffLj32ELj16ELj128ELb0ELb0ELb1EEEvllPKT_S5_PKT0_S8_PS3_S9_, .Lfunc_end159-_ZN2at6native12_GLOBAL__N_135GammaBetaBackwardCUDAKernelTemplateIffLj32ELj16ELj128ELb0ELb0ELb1EEEvllPKT_S5_PKT0_S8_PS3_S9_
                                        ; -- End function
	.section	.AMDGPU.csdata,"",@progbits
; Kernel info:
; codeLenInByte = 6680
; NumSgprs: 46
; NumVgprs: 95
; NumAgprs: 0
; TotalNumVgprs: 95
; ScratchSize: 0
; MemoryBound: 0
; FloatMode: 240
; IeeeMode: 1
; LDSByteSize: 0 bytes/workgroup (compile time only)
; SGPRBlocks: 5
; VGPRBlocks: 11
; NumSGPRsForWavesPerEU: 46
; NumVGPRsForWavesPerEU: 95
; AccumOffset: 96
; Occupancy: 5
; WaveLimiterHint : 0
; COMPUTE_PGM_RSRC2:SCRATCH_EN: 0
; COMPUTE_PGM_RSRC2:USER_SGPR: 6
; COMPUTE_PGM_RSRC2:TRAP_HANDLER: 0
; COMPUTE_PGM_RSRC2:TGID_X_EN: 1
; COMPUTE_PGM_RSRC2:TGID_Y_EN: 1
; COMPUTE_PGM_RSRC2:TGID_Z_EN: 0
; COMPUTE_PGM_RSRC2:TIDIG_COMP_CNT: 1
; COMPUTE_PGM_RSRC3_GFX90A:ACCUM_OFFSET: 23
; COMPUTE_PGM_RSRC3_GFX90A:TG_SPLIT: 0
	.section	.text._ZN2at6native12_GLOBAL__N_135GammaBetaBackwardCUDAKernelTemplateIffLj32ELj32ELj256ELb0ELb1ELb1EEEvllPKT_S5_PKT0_S8_PS3_S9_,"axG",@progbits,_ZN2at6native12_GLOBAL__N_135GammaBetaBackwardCUDAKernelTemplateIffLj32ELj32ELj256ELb0ELb1ELb1EEEvllPKT_S5_PKT0_S8_PS3_S9_,comdat
	.globl	_ZN2at6native12_GLOBAL__N_135GammaBetaBackwardCUDAKernelTemplateIffLj32ELj32ELj256ELb0ELb1ELb1EEEvllPKT_S5_PKT0_S8_PS3_S9_ ; -- Begin function _ZN2at6native12_GLOBAL__N_135GammaBetaBackwardCUDAKernelTemplateIffLj32ELj32ELj256ELb0ELb1ELb1EEEvllPKT_S5_PKT0_S8_PS3_S9_
	.p2align	8
	.type	_ZN2at6native12_GLOBAL__N_135GammaBetaBackwardCUDAKernelTemplateIffLj32ELj32ELj256ELb0ELb1ELb1EEEvllPKT_S5_PKT0_S8_PS3_S9_,@function
_ZN2at6native12_GLOBAL__N_135GammaBetaBackwardCUDAKernelTemplateIffLj32ELj32ELj256ELb0ELb1ELb1EEEvllPKT_S5_PKT0_S8_PS3_S9_: ; @_ZN2at6native12_GLOBAL__N_135GammaBetaBackwardCUDAKernelTemplateIffLj32ELj32ELj256ELb0ELb1ELb1EEEvllPKT_S5_PKT0_S8_PS3_S9_
; %bb.0:
	s_load_dwordx4 s[8:11], s[4:5], 0x0
	s_lshl_b32 s16, s7, 8
	s_mov_b32 s17, 0
	v_bfe_u32 v11, v0, 10, 10
	s_waitcnt lgkmcnt(0)
	v_pk_mov_b32 v[2:3], s[8:9], s[8:9] op_sel:[0,1]
	v_cmp_lt_i64_e32 vcc, s[16:17], v[2:3]
	s_cbranch_vccnz .LBB160_2
; %bb.1:
	s_mov_b64 s[0:1], 0
	v_bfe_u32 v2, v0, 10, 10
	s_branch .LBB160_3
.LBB160_2:
	s_mov_b64 s[0:1], -1
                                        ; implicit-def: $vgpr2
.LBB160_3:
	s_load_dwordx2 s[2:3], s[4:5], 0x30
	v_and_b32_e32 v6, 0x3ff, v0
	s_andn2_b64 vcc, exec, s[0:1]
	v_mov_b32_e32 v1, s17
	v_mbcnt_lo_u32_b32 v10, -1, 0
	s_cbranch_vccnz .LBB160_11
; %bb.4:
	s_load_dword s0, s[4:5], 0x4c
	s_load_dword s7, s[4:5], 0x44
	s_load_dwordx4 s[12:15], s[4:5], 0x10
	s_load_dwordx2 s[18:19], s[4:5], 0x28
	v_mbcnt_hi_u32_b32 v4, -1, v10
	v_lshlrev_b32_e32 v2, 3, v11
	s_waitcnt lgkmcnt(0)
	s_and_b32 s0, s0, 0xffff
	v_lshlrev_b32_e32 v4, 2, v4
	v_mad_u32_u24 v0, v11, s0, v6
	v_and_b32_e32 v12, 0x100, v4
	v_mov_b32_e32 v4, s17
	v_add_co_u32_e32 v7, vcc, s16, v2
	v_and_b32_e32 v3, 63, v0
	v_addc_co_u32_e32 v8, vcc, 0, v4, vcc
	v_add_co_u32_e32 v2, vcc, v7, v3
	v_cmp_gt_u32_e64 s[0:1], 8, v3
	v_addc_co_u32_e32 v3, vcc, 0, v8, vcc
	v_lshlrev_b64 v[4:5], 2, v[2:3]
	v_mov_b32_e32 v9, s19
	v_add_co_u32_e32 v4, vcc, s18, v4
	s_lshl_b32 s4, s7, 8
	v_addc_co_u32_e32 v5, vcc, v9, v5, vcc
	v_mul_lo_u32 v20, s11, v7
	v_mul_lo_u32 v21, s10, v8
	v_mad_u64_u32 v[8:9], s[20:21], s10, v7, 0
	v_mov_b32_e32 v1, 0
	v_lshl_add_u32 v0, s6, 5, v6
	v_add3_u32 v9, v9, v21, v20
	s_mul_i32 s7, s11, s4
	s_mul_hi_u32 s20, s10, s4
	s_mov_b32 s5, 0
	v_lshlrev_b64 v[8:9], 2, v[8:9]
	v_lshlrev_b64 v[20:21], 2, v[0:1]
	s_add_i32 s21, s20, s7
	s_mul_i32 s20, s10, s4
	s_lshl_b64 s[18:19], s[4:5], 2
	v_add_co_u32_e32 v0, vcc, v8, v20
	s_lshl_b64 s[20:21], s[20:21], 2
	s_lshl_b64 s[10:11], s[10:11], 2
	v_or_b32_e32 v13, 4, v12
	v_or_b32_e32 v14, 8, v12
	;; [unrolled: 1-line block ×7, first 2 shown]
	v_addc_co_u32_e32 v7, vcc, v9, v21, vcc
	v_mov_b32_e32 v20, s13
	v_mov_b32_e32 v21, s15
	;; [unrolled: 1-line block ×6, first 2 shown]
	v_pk_mov_b32 v[8:9], s[8:9], s[8:9] op_sel:[0,1]
	s_branch .LBB160_7
.LBB160_5:                              ;   in Loop: Header=BB160_7 Depth=1
	s_or_b64 exec, exec, s[24:25]
.LBB160_6:                              ;   in Loop: Header=BB160_7 Depth=1
	s_or_b64 exec, exec, s[22:23]
	v_add_co_u32_e32 v28, vcc, s12, v0
	v_addc_co_u32_e32 v29, vcc, v20, v7, vcc
	v_add_co_u32_e32 v32, vcc, s14, v0
	v_addc_co_u32_e32 v33, vcc, v21, v7, vcc
	global_load_dword v30, v[28:29], off
	v_add_co_u32_e32 v28, vcc, s10, v28
	v_addc_co_u32_e32 v29, vcc, v29, v22, vcc
	global_load_dword v34, v[32:33], off
	;; [unrolled: 3-line block ×15, first 2 shown]
	global_load_dword v47, v[28:29], off
	s_waitcnt vmcnt(16)
	ds_bpermute_b32 v28, v12, v26
	ds_bpermute_b32 v29, v13, v26
	;; [unrolled: 1-line block ×4, first 2 shown]
	v_add_co_u32_e32 v4, vcc, s18, v4
	v_addc_co_u32_e32 v5, vcc, v5, v23, vcc
	v_add_co_u32_e32 v2, vcc, s4, v2
	v_addc_co_u32_e32 v3, vcc, v3, v24, vcc
	s_add_u32 s16, s16, s4
	v_add_co_u32_e32 v0, vcc, s20, v0
	s_addc_u32 s17, s17, 0
	v_addc_co_u32_e32 v7, vcc, v7, v25, vcc
	v_cmp_lt_i64_e32 vcc, s[16:17], v[8:9]
	s_and_b64 vcc, exec, vcc
	s_waitcnt vmcnt(12)
	v_pk_mul_f32 v[30:31], v[30:31], v[34:35]
	s_waitcnt lgkmcnt(2)
	v_pk_mul_f32 v[28:29], v[30:31], v[28:29]
	v_add_f32_e32 v1, v1, v28
	ds_bpermute_b32 v30, v16, v26
	ds_bpermute_b32 v31, v17, v26
	v_add_f32_e32 v1, v1, v29
	s_waitcnt vmcnt(8)
	v_pk_mul_f32 v[28:29], v[36:37], v[38:39]
	s_waitcnt lgkmcnt(2)
	v_pk_mul_f32 v[28:29], v[28:29], v[32:33]
	v_add_f32_e32 v1, v1, v28
	ds_bpermute_b32 v32, v18, v26
	ds_bpermute_b32 v33, v19, v26
	v_add_f32_e32 v1, v1, v29
	s_waitcnt vmcnt(4)
	v_pk_mul_f32 v[28:29], v[40:41], v[42:43]
	s_waitcnt lgkmcnt(2)
	v_pk_mul_f32 v[26:27], v[28:29], v[30:31]
	v_add_f32_e32 v1, v1, v26
	v_add_f32_e32 v1, v1, v27
	s_waitcnt vmcnt(0)
	v_pk_mul_f32 v[26:27], v[44:45], v[46:47]
	s_waitcnt lgkmcnt(0)
	v_pk_mul_f32 v[26:27], v[26:27], v[32:33]
	v_add_f32_e32 v1, v1, v26
	v_add_f32_e32 v1, v1, v27
	s_cbranch_vccz .LBB160_10
.LBB160_7:                              ; =>This Inner Loop Header: Depth=1
	v_mov_b32_e32 v26, 0
	s_and_saveexec_b64 s[22:23], s[0:1]
	s_cbranch_execz .LBB160_6
; %bb.8:                                ;   in Loop: Header=BB160_7 Depth=1
	v_cmp_gt_i64_e32 vcc, s[8:9], v[2:3]
	v_mov_b32_e32 v26, 0
	s_and_saveexec_b64 s[24:25], vcc
	s_cbranch_execz .LBB160_5
; %bb.9:                                ;   in Loop: Header=BB160_7 Depth=1
	global_load_dword v26, v[4:5], off
	s_branch .LBB160_5
.LBB160_10:
	v_mov_b32_e32 v2, v11
.LBB160_11:
	v_mad_u32_u24 v0, v2, 33, v6
	v_lshl_add_u32 v3, v0, 2, 0
	v_sub_u32_e32 v0, v0, v2
	s_movk_i32 s0, 0x800
	s_mov_b32 s7, 0
	ds_write_b32 v3, v1
	v_mov_b32_e32 v1, 0
	v_cmp_gt_u32_e32 vcc, s0, v0
	ds_write_b32 v3, v1 offset:4224
	s_waitcnt lgkmcnt(0)
	s_barrier
	s_and_saveexec_b64 s[0:1], vcc
	s_cbranch_execz .LBB160_18
; %bb.12:
	v_mbcnt_hi_u32_b32 v7, -1, v10
	v_and_b32_e32 v2, 64, v7
	s_cmp_lg_u64 s[2:3], 0
	v_add_u32_e32 v8, 64, v2
	v_cmp_eq_u32_e64 s[0:1], 0, v6
	s_cselect_b64 s[8:9], -1, 0
	v_xor_b32_e32 v2, 16, v7
	s_and_b64 s[8:9], s[0:1], s[8:9]
	v_cmp_lt_i32_e64 s[0:1], v2, v8
	v_xor_b32_e32 v3, 8, v7
	v_cndmask_b32_e64 v2, v7, v2, s[0:1]
	v_cmp_lt_i32_e64 s[0:1], v3, v8
	v_xor_b32_e32 v4, 4, v7
	v_cndmask_b32_e64 v3, v7, v3, s[0:1]
	;; [unrolled: 3-line block ×4, first 2 shown]
	v_cmp_lt_i32_e64 s[0:1], v6, v8
	v_cndmask_b32_e64 v6, v7, v6, s[0:1]
	s_lshl_b64 s[0:1], s[6:7], 7
	v_lshrrev_b32_e32 v1, 6, v0
	v_and_b32_e32 v0, 63, v0
	s_add_u32 s0, s2, s0
	v_cmp_gt_u32_e32 vcc, 32, v0
	v_mul_u32_u24_e32 v0, 0x84, v0
	v_lshlrev_b32_e32 v9, 2, v1
	s_addc_u32 s1, s3, s1
	v_add3_u32 v7, v0, v9, 0
	v_add_u32_e32 v8, -16, v1
	v_mov_b32_e32 v1, s1
	v_add_co_u32_e64 v0, s[0:1], s0, v9
	s_mov_b64 s[4:5], 0
	v_lshlrev_b32_e32 v2, 2, v2
	v_lshlrev_b32_e32 v3, 2, v3
	;; [unrolled: 1-line block ×5, first 2 shown]
	v_addc_co_u32_e64 v1, s[0:1], 0, v1, s[0:1]
                                        ; implicit-def: $vgpr9
	s_branch .LBB160_14
.LBB160_13:                             ;   in Loop: Header=BB160_14 Depth=1
	s_or_b64 exec, exec, s[0:1]
	v_add_co_u32_e64 v8, s[0:1], 16, v8
	s_xor_b64 s[0:1], s[0:1], -1
	s_and_b64 s[0:1], exec, s[0:1]
	s_or_b64 s[4:5], s[0:1], s[4:5]
	v_add_co_u32_e64 v0, s[0:1], 64, v0
	v_add_u32_e32 v7, 64, v7
	v_addc_co_u32_e64 v1, s[0:1], 0, v1, s[0:1]
	s_andn2_b64 exec, exec, s[4:5]
	s_cbranch_execz .LBB160_18
.LBB160_14:                             ; =>This Inner Loop Header: Depth=1
	s_and_saveexec_b64 s[0:1], vcc
	s_cbranch_execz .LBB160_16
; %bb.15:                               ;   in Loop: Header=BB160_14 Depth=1
	ds_read_b32 v9, v7
.LBB160_16:                             ;   in Loop: Header=BB160_14 Depth=1
	s_or_b64 exec, exec, s[0:1]
	s_waitcnt lgkmcnt(0)
	ds_bpermute_b32 v10, v2, v9
	s_waitcnt lgkmcnt(0)
	v_add_f32_e32 v9, v9, v10
	ds_bpermute_b32 v10, v3, v9
	s_waitcnt lgkmcnt(0)
	v_add_f32_e32 v9, v9, v10
	;; [unrolled: 3-line block ×5, first 2 shown]
	s_and_saveexec_b64 s[0:1], s[8:9]
	s_cbranch_execz .LBB160_13
; %bb.17:                               ;   in Loop: Header=BB160_14 Depth=1
	global_store_dword v[0:1], v9, off
	s_branch .LBB160_13
.LBB160_18:
	s_endpgm
	.section	.rodata,"a",@progbits
	.p2align	6, 0x0
	.amdhsa_kernel _ZN2at6native12_GLOBAL__N_135GammaBetaBackwardCUDAKernelTemplateIffLj32ELj32ELj256ELb0ELb1ELb1EEEvllPKT_S5_PKT0_S8_PS3_S9_
		.amdhsa_group_segment_fixed_size 0
		.amdhsa_private_segment_fixed_size 0
		.amdhsa_kernarg_size 320
		.amdhsa_user_sgpr_count 6
		.amdhsa_user_sgpr_private_segment_buffer 1
		.amdhsa_user_sgpr_dispatch_ptr 0
		.amdhsa_user_sgpr_queue_ptr 0
		.amdhsa_user_sgpr_kernarg_segment_ptr 1
		.amdhsa_user_sgpr_dispatch_id 0
		.amdhsa_user_sgpr_flat_scratch_init 0
		.amdhsa_user_sgpr_kernarg_preload_length 0
		.amdhsa_user_sgpr_kernarg_preload_offset 0
		.amdhsa_user_sgpr_private_segment_size 0
		.amdhsa_uses_dynamic_stack 0
		.amdhsa_system_sgpr_private_segment_wavefront_offset 0
		.amdhsa_system_sgpr_workgroup_id_x 1
		.amdhsa_system_sgpr_workgroup_id_y 1
		.amdhsa_system_sgpr_workgroup_id_z 0
		.amdhsa_system_sgpr_workgroup_info 0
		.amdhsa_system_vgpr_workitem_id 1
		.amdhsa_next_free_vgpr 48
		.amdhsa_next_free_sgpr 26
		.amdhsa_accum_offset 48
		.amdhsa_reserve_vcc 1
		.amdhsa_reserve_flat_scratch 0
		.amdhsa_float_round_mode_32 0
		.amdhsa_float_round_mode_16_64 0
		.amdhsa_float_denorm_mode_32 3
		.amdhsa_float_denorm_mode_16_64 3
		.amdhsa_dx10_clamp 1
		.amdhsa_ieee_mode 1
		.amdhsa_fp16_overflow 0
		.amdhsa_tg_split 0
		.amdhsa_exception_fp_ieee_invalid_op 0
		.amdhsa_exception_fp_denorm_src 0
		.amdhsa_exception_fp_ieee_div_zero 0
		.amdhsa_exception_fp_ieee_overflow 0
		.amdhsa_exception_fp_ieee_underflow 0
		.amdhsa_exception_fp_ieee_inexact 0
		.amdhsa_exception_int_div_zero 0
	.end_amdhsa_kernel
	.section	.text._ZN2at6native12_GLOBAL__N_135GammaBetaBackwardCUDAKernelTemplateIffLj32ELj32ELj256ELb0ELb1ELb1EEEvllPKT_S5_PKT0_S8_PS3_S9_,"axG",@progbits,_ZN2at6native12_GLOBAL__N_135GammaBetaBackwardCUDAKernelTemplateIffLj32ELj32ELj256ELb0ELb1ELb1EEEvllPKT_S5_PKT0_S8_PS3_S9_,comdat
.Lfunc_end160:
	.size	_ZN2at6native12_GLOBAL__N_135GammaBetaBackwardCUDAKernelTemplateIffLj32ELj32ELj256ELb0ELb1ELb1EEEvllPKT_S5_PKT0_S8_PS3_S9_, .Lfunc_end160-_ZN2at6native12_GLOBAL__N_135GammaBetaBackwardCUDAKernelTemplateIffLj32ELj32ELj256ELb0ELb1ELb1EEEvllPKT_S5_PKT0_S8_PS3_S9_
                                        ; -- End function
	.section	.AMDGPU.csdata,"",@progbits
; Kernel info:
; codeLenInByte = 1424
; NumSgprs: 30
; NumVgprs: 48
; NumAgprs: 0
; TotalNumVgprs: 48
; ScratchSize: 0
; MemoryBound: 0
; FloatMode: 240
; IeeeMode: 1
; LDSByteSize: 0 bytes/workgroup (compile time only)
; SGPRBlocks: 3
; VGPRBlocks: 5
; NumSGPRsForWavesPerEU: 30
; NumVGPRsForWavesPerEU: 48
; AccumOffset: 48
; Occupancy: 8
; WaveLimiterHint : 0
; COMPUTE_PGM_RSRC2:SCRATCH_EN: 0
; COMPUTE_PGM_RSRC2:USER_SGPR: 6
; COMPUTE_PGM_RSRC2:TRAP_HANDLER: 0
; COMPUTE_PGM_RSRC2:TGID_X_EN: 1
; COMPUTE_PGM_RSRC2:TGID_Y_EN: 1
; COMPUTE_PGM_RSRC2:TGID_Z_EN: 0
; COMPUTE_PGM_RSRC2:TIDIG_COMP_CNT: 1
; COMPUTE_PGM_RSRC3_GFX90A:ACCUM_OFFSET: 11
; COMPUTE_PGM_RSRC3_GFX90A:TG_SPLIT: 0
	.section	.text._ZN2at6native12_GLOBAL__N_135GammaBetaBackwardCUDAKernelTemplateIffLj32ELj32ELj256ELb0ELb0ELb1EEEvllPKT_S5_PKT0_S8_PS3_S9_,"axG",@progbits,_ZN2at6native12_GLOBAL__N_135GammaBetaBackwardCUDAKernelTemplateIffLj32ELj32ELj256ELb0ELb0ELb1EEEvllPKT_S5_PKT0_S8_PS3_S9_,comdat
	.globl	_ZN2at6native12_GLOBAL__N_135GammaBetaBackwardCUDAKernelTemplateIffLj32ELj32ELj256ELb0ELb0ELb1EEEvllPKT_S5_PKT0_S8_PS3_S9_ ; -- Begin function _ZN2at6native12_GLOBAL__N_135GammaBetaBackwardCUDAKernelTemplateIffLj32ELj32ELj256ELb0ELb0ELb1EEEvllPKT_S5_PKT0_S8_PS3_S9_
	.p2align	8
	.type	_ZN2at6native12_GLOBAL__N_135GammaBetaBackwardCUDAKernelTemplateIffLj32ELj32ELj256ELb0ELb0ELb1EEEvllPKT_S5_PKT0_S8_PS3_S9_,@function
_ZN2at6native12_GLOBAL__N_135GammaBetaBackwardCUDAKernelTemplateIffLj32ELj32ELj256ELb0ELb0ELb1EEEvllPKT_S5_PKT0_S8_PS3_S9_: ; @_ZN2at6native12_GLOBAL__N_135GammaBetaBackwardCUDAKernelTemplateIffLj32ELj32ELj256ELb0ELb0ELb1EEEvllPKT_S5_PKT0_S8_PS3_S9_
; %bb.0:
	s_load_dwordx8 s[12:19], s[4:5], 0x0
	s_load_dwordx2 s[10:11], s[4:5], 0x28
	s_lshl_b32 s33, s6, 5
	s_or_b32 s28, s33, 31
	s_mov_b32 s29, 0
	s_waitcnt lgkmcnt(0)
	v_pk_mov_b32 v[2:3], s[14:15], s[14:15] op_sel:[0,1]
	v_cmp_ge_i64_e32 vcc, s[28:29], v[2:3]
	s_lshl_b32 s28, s7, 8
	v_pk_mov_b32 v[2:3], s[12:13], s[12:13] op_sel:[0,1]
	v_cmp_lt_i64_e64 s[0:1], s[28:29], v[2:3]
	v_cndmask_b32_e64 v1, 0, 1, s[0:1]
	v_cmp_ne_u32_e64 s[0:1], 1, v1
	s_cbranch_vccz .LBB161_49
; %bb.1:
	s_and_b64 vcc, exec, s[0:1]
	v_mov_b32_e32 v2, 0
	s_cbranch_vccnz .LBB161_50
; %bb.2:
	v_and_b32_e32 v59, 0x3ff, v0
	v_bfe_u32 v61, v0, 10, 10
	v_add_u32_e32 v2, s33, v59
	v_mov_b32_e32 v3, 0
	v_lshlrev_b32_e32 v26, 3, v61
	v_cmp_gt_i64_e64 s[2:3], s[14:15], v[2:3]
	v_lshlrev_b64 v[28:29], 2, v[2:3]
	v_mov_b32_e32 v1, s29
	v_add_co_u32_e32 v2, vcc, s28, v26
	v_addc_co_u32_e32 v6, vcc, 0, v1, vcc
	v_add_co_u32_e32 v1, vcc, 7, v2
	v_addc_co_u32_e32 v4, vcc, 0, v6, vcc
	v_mul_lo_u32 v7, s15, v1
	v_mul_lo_u32 v8, s14, v4
	v_mad_u64_u32 v[4:5], s[8:9], s14, v1, 0
	s_load_dword s7, s[4:5], 0x44
	v_add3_u32 v5, v5, v8, v7
	v_lshlrev_b64 v[4:5], 2, v[4:5]
	v_mov_b32_e32 v7, s17
	v_add_co_u32_e32 v30, vcc, s16, v4
	v_addc_co_u32_e32 v1, vcc, v7, v5, vcc
	s_add_u32 s30, s4, 64
	v_mov_b32_e32 v8, s19
	v_add_co_u32_e32 v32, vcc, s18, v4
	s_addc_u32 s31, s5, 0
	s_waitcnt lgkmcnt(0)
	s_lshl_b32 s7, s7, 8
	v_addc_co_u32_e32 v27, vcc, v8, v5, vcc
	s_mul_i32 s8, s15, s7
	s_mul_hi_u32 s9, s14, s7
	v_add_co_u32_e32 v4, vcc, 6, v2
	s_add_i32 s9, s9, s8
	s_mul_i32 s8, s14, s7
	v_addc_co_u32_e32 v5, vcc, 0, v6, vcc
	s_lshl_b64 s[34:35], s[8:9], 2
	v_mul_lo_u32 v9, s15, v4
	v_mul_lo_u32 v10, s14, v5
	v_mad_u64_u32 v[4:5], s[8:9], s14, v4, 0
	v_add3_u32 v5, v5, v10, v9
	v_lshlrev_b64 v[4:5], 2, v[4:5]
	v_add_co_u32_e32 v34, vcc, s16, v4
	v_addc_co_u32_e32 v31, vcc, v7, v5, vcc
	v_add_co_u32_e32 v36, vcc, s18, v4
	v_addc_co_u32_e32 v33, vcc, v8, v5, vcc
	v_add_co_u32_e32 v4, vcc, 5, v2
	v_addc_co_u32_e32 v5, vcc, 0, v6, vcc
	v_mul_lo_u32 v9, s15, v4
	v_mul_lo_u32 v10, s14, v5
	v_mad_u64_u32 v[4:5], s[8:9], s14, v4, 0
	v_add3_u32 v5, v5, v10, v9
	v_lshlrev_b64 v[4:5], 2, v[4:5]
	v_add_co_u32_e32 v38, vcc, s16, v4
	v_addc_co_u32_e32 v35, vcc, v7, v5, vcc
	v_add_co_u32_e32 v40, vcc, s18, v4
	v_addc_co_u32_e32 v37, vcc, v8, v5, vcc
	v_add_co_u32_e32 v4, vcc, 4, v2
	v_addc_co_u32_e32 v5, vcc, 0, v6, vcc
	;; [unrolled: 11-line block ×4, first 2 shown]
	v_mul_lo_u32 v9, s15, v4
	v_mul_lo_u32 v10, s14, v5
	v_mad_u64_u32 v[4:5], s[8:9], s14, v4, 0
	v_add3_u32 v5, v5, v10, v9
	v_lshlrev_b64 v[4:5], 2, v[4:5]
	v_add_co_u32_e32 v50, vcc, s16, v4
	v_addc_co_u32_e32 v47, vcc, v7, v5, vcc
	v_add_co_u32_e32 v52, vcc, s18, v4
	v_addc_co_u32_e32 v49, vcc, v8, v5, vcc
	v_pk_mov_b32 v[4:5], s[14:15], s[14:15] op_sel:[0,1]
	v_mad_u64_u32 v[4:5], s[8:9], s14, v2, v[4:5]
	v_mul_lo_u32 v6, s14, v6
	v_mul_lo_u32 v9, s15, v2
	v_add3_u32 v5, v9, v5, v6
	v_lshlrev_b64 v[4:5], 2, v[4:5]
	v_add_co_u32_e32 v54, vcc, s16, v4
	v_addc_co_u32_e32 v51, vcc, v7, v5, vcc
	v_add_co_u32_e32 v56, vcc, s18, v4
	v_addc_co_u32_e32 v53, vcc, v8, v5, vcc
	v_mad_u64_u32 v[4:5], s[8:9], s14, v2, 0
	v_add3_u32 v5, v5, v6, v9
	v_lshlrev_b64 v[4:5], 2, v[4:5]
	v_add_co_u32_e32 v58, vcc, s16, v4
	v_mbcnt_lo_u32_b32 v2, -1, 0
	v_addc_co_u32_e32 v55, vcc, v7, v5, vcc
	v_mbcnt_hi_u32_b32 v2, -1, v2
	s_add_u32 s36, s28, 0xff
	v_add_co_u32_e32 v60, vcc, s18, v4
	v_lshlrev_b32_e32 v2, 2, v2
	s_mov_b32 s20, 0
	s_addc_u32 s37, 0, 0
	v_addc_co_u32_e32 v57, vcc, v8, v5, vcc
	v_and_b32_e32 v62, 0x100, v2
	s_mov_b64 s[38:39], s[28:29]
	v_mov_b32_e32 v63, 0
.LBB161_3:                              ; =>This Inner Loop Header: Depth=1
	v_pk_mov_b32 v[4:5], s[12:13], s[12:13] op_sel:[0,1]
	v_cmp_ge_i64_e32 vcc, s[36:37], v[4:5]
	v_mov_b32_e32 v2, s37
	v_add_co_u32_e64 v64, s[8:9], s36, v26
	v_addc_co_u32_e64 v65, s[8:9], 0, v2, s[8:9]
	s_cbranch_vccz .LBB161_25
; %bb.4:                                ;   in Loop: Header=BB161_3 Depth=1
	s_load_dword s8, s[30:31], 0xc
	v_mov_b32_e32 v66, 0
	s_waitcnt lgkmcnt(0)
	s_and_b32 s8, s8, 0xffff
	v_mad_u32_u24 v2, v61, s8, v59
	v_and_b32_e32 v2, 63, v2
	v_cmp_gt_u32_e32 vcc, 8, v2
	s_and_saveexec_b64 s[8:9], vcc
	s_cbranch_execz .LBB161_8
; %bb.5:                                ;   in Loop: Header=BB161_3 Depth=1
	v_add_co_u32_e32 v2, vcc, v64, v2
	v_addc_co_u32_e32 v5, vcc, 0, v65, vcc
	v_add_co_u32_e32 v4, vcc, 0xffffff01, v2
	v_addc_co_u32_e32 v5, vcc, -1, v5, vcc
	v_cmp_gt_i64_e32 vcc, s[12:13], v[4:5]
	v_mov_b32_e32 v66, 0
	s_and_saveexec_b64 s[22:23], vcc
	s_cbranch_execz .LBB161_7
; %bb.6:                                ;   in Loop: Header=BB161_3 Depth=1
	v_lshlrev_b64 v[4:5], 2, v[4:5]
	v_mov_b32_e32 v2, s11
	v_add_co_u32_e32 v4, vcc, s10, v4
	v_addc_co_u32_e32 v5, vcc, v2, v5, vcc
	global_load_dword v66, v[4:5], off
.LBB161_7:                              ;   in Loop: Header=BB161_3 Depth=1
	s_or_b64 exec, exec, s[22:23]
.LBB161_8:                              ;   in Loop: Header=BB161_3 Depth=1
	s_or_b64 exec, exec, s[8:9]
	s_mov_b32 s21, s20
	v_add_co_u32_e32 v4, vcc, 0xffffff01, v64
	s_mov_b32 s22, s20
	s_mov_b32 s23, s20
	;; [unrolled: 1-line block ×6, first 2 shown]
	v_pk_mov_b32 v[10:11], s[20:21], s[20:21] op_sel:[0,1]
	v_addc_co_u32_e32 v5, vcc, -1, v65, vcc
	v_pk_mov_b32 v[16:17], s[26:27], s[26:27] op_sel:[0,1]
	v_cmp_gt_i64_e32 vcc, s[12:13], v[4:5]
	v_pk_mov_b32 v[12:13], s[22:23], s[22:23] op_sel:[0,1]
	v_pk_mov_b32 v[14:15], s[24:25], s[24:25] op_sel:[0,1]
	;; [unrolled: 1-line block ×3, first 2 shown]
	s_and_b64 s[40:41], s[2:3], vcc
	v_pk_mov_b32 v[22:23], v[14:15], v[14:15] op_sel:[0,1]
	v_pk_mov_b32 v[20:21], v[12:13], v[12:13] op_sel:[0,1]
	;; [unrolled: 1-line block ×3, first 2 shown]
	s_and_saveexec_b64 s[8:9], s[40:41]
	s_cbranch_execz .LBB161_10
; %bb.9:                                ;   in Loop: Header=BB161_3 Depth=1
	v_add_co_u32_e32 v4, vcc, v58, v28
	v_addc_co_u32_e32 v5, vcc, v55, v29, vcc
	global_load_dword v2, v[4:5], off
	v_add_co_u32_e32 v4, vcc, v60, v28
	v_addc_co_u32_e32 v5, vcc, v57, v29, vcc
	global_load_dword v10, v[4:5], off
	v_mov_b32_e32 v8, v3
	v_mov_b32_e32 v9, v3
	;; [unrolled: 1-line block ×6, first 2 shown]
	s_waitcnt vmcnt(1)
	v_pk_mov_b32 v[24:25], v[8:9], v[8:9] op_sel:[0,1]
	v_mov_b32_e32 v11, v3
	v_mov_b32_e32 v12, v3
	;; [unrolled: 1-line block ×7, first 2 shown]
	v_pk_mov_b32 v[22:23], v[6:7], v[6:7] op_sel:[0,1]
	v_pk_mov_b32 v[20:21], v[4:5], v[4:5] op_sel:[0,1]
	;; [unrolled: 1-line block ×3, first 2 shown]
.LBB161_10:                             ;   in Loop: Header=BB161_3 Depth=1
	s_or_b64 exec, exec, s[8:9]
	v_add_co_u32_e32 v4, vcc, 0xffffff02, v64
	v_addc_co_u32_e32 v5, vcc, -1, v65, vcc
	v_cmp_gt_i64_e32 vcc, s[12:13], v[4:5]
	s_and_b64 s[22:23], s[2:3], vcc
	s_and_saveexec_b64 s[8:9], s[22:23]
	s_cbranch_execz .LBB161_12
; %bb.11:                               ;   in Loop: Header=BB161_3 Depth=1
	v_add_co_u32_e32 v4, vcc, v54, v28
	v_addc_co_u32_e32 v5, vcc, v51, v29, vcc
	global_load_dword v19, v[4:5], off
	v_add_co_u32_e32 v4, vcc, v56, v28
	v_addc_co_u32_e32 v5, vcc, v53, v29, vcc
	global_load_dword v11, v[4:5], off
.LBB161_12:                             ;   in Loop: Header=BB161_3 Depth=1
	s_or_b64 exec, exec, s[8:9]
	v_add_co_u32_e32 v4, vcc, 0xffffff03, v64
	v_addc_co_u32_e32 v5, vcc, -1, v65, vcc
	v_cmp_gt_i64_e32 vcc, s[12:13], v[4:5]
	s_and_b64 s[22:23], s[2:3], vcc
	s_and_saveexec_b64 s[8:9], s[22:23]
	s_cbranch_execz .LBB161_14
; %bb.13:                               ;   in Loop: Header=BB161_3 Depth=1
	v_add_co_u32_e32 v4, vcc, v50, v28
	v_addc_co_u32_e32 v5, vcc, v47, v29, vcc
	global_load_dword v20, v[4:5], off
	v_add_co_u32_e32 v4, vcc, v52, v28
	v_addc_co_u32_e32 v5, vcc, v49, v29, vcc
	global_load_dword v12, v[4:5], off
.LBB161_14:                             ;   in Loop: Header=BB161_3 Depth=1
	;; [unrolled: 15-line block ×7, first 2 shown]
	s_or_b64 exec, exec, s[8:9]
	s_waitcnt vmcnt(0)
	ds_bpermute_b32 v4, v62, v66 offset:4
	ds_bpermute_b32 v5, v62, v66 offset:8
	ds_bpermute_b32 v2, v62, v66
	v_mul_f32_e32 v8, v10, v18
	v_pk_mul_f32 v[10:11], v[10:11], v[18:19]
	v_pk_mul_f32 v[12:13], v[12:13], v[20:21]
	v_mov_b32_e32 v10, v11
	v_mov_b32_e32 v11, v12
	s_waitcnt lgkmcnt(1)
	v_pk_mul_f32 v[4:5], v[10:11], v[4:5]
	ds_bpermute_b32 v10, v62, v66 offset:12
	ds_bpermute_b32 v11, v62, v66 offset:16
	s_waitcnt lgkmcnt(2)
	v_fma_f32 v2, v8, v2, v63
	v_pk_mul_f32 v[8:9], v[14:15], v[22:23]
	v_add_f32_e32 v2, v2, v4
	v_add_f32_e32 v2, v2, v5
	v_mov_b32_e32 v4, v13
	v_mov_b32_e32 v5, v8
	s_waitcnt lgkmcnt(0)
	v_pk_mul_f32 v[4:5], v[4:5], v[10:11]
	ds_bpermute_b32 v10, v62, v66 offset:20
	ds_bpermute_b32 v11, v62, v66 offset:24
	v_pk_mul_f32 v[6:7], v[16:17], v[24:25]
	v_add_f32_e32 v2, v2, v4
	ds_bpermute_b32 v4, v62, v66 offset:28
	v_mov_b32_e32 v8, v9
	v_mov_b32_e32 v9, v6
	v_add_f32_e32 v2, v2, v5
	s_waitcnt lgkmcnt(1)
	v_pk_mul_f32 v[6:7], v[8:9], v[10:11]
	v_add_f32_e32 v2, v2, v6
	v_add_f32_e32 v2, v2, v7
	s_branch .LBB161_40
.LBB161_25:                             ;   in Loop: Header=BB161_3 Depth=1
                                        ; implicit-def: $vgpr2
                                        ; implicit-def: $vgpr10_vgpr11_vgpr12_vgpr13_vgpr14_vgpr15_vgpr16_vgpr17
                                        ; implicit-def: $vgpr18_vgpr19_vgpr20_vgpr21_vgpr22_vgpr23_vgpr24_vgpr25
                                        ; implicit-def: $vgpr4
	s_cbranch_execz .LBB161_40
; %bb.26:                               ;   in Loop: Header=BB161_3 Depth=1
	s_load_dword s8, s[30:31], 0x0
	v_mov_b32_e32 v66, 0
	s_waitcnt lgkmcnt(0)
	s_cmp_lt_u32 s6, s8
	s_cselect_b32 s8, 12, 18
	s_add_u32 s8, s30, s8
	s_addc_u32 s9, s31, 0
	global_load_ushort v2, v3, s[8:9]
	s_waitcnt vmcnt(0)
	v_mad_u32_u24 v2, v61, v2, v59
	v_and_b32_e32 v2, 63, v2
	v_cmp_gt_u32_e32 vcc, 8, v2
	s_and_saveexec_b64 s[8:9], vcc
	s_cbranch_execz .LBB161_30
; %bb.27:                               ;   in Loop: Header=BB161_3 Depth=1
	v_add_co_u32_e32 v2, vcc, v64, v2
	v_addc_co_u32_e32 v5, vcc, 0, v65, vcc
	v_add_co_u32_e32 v4, vcc, 0xffffff01, v2
	v_addc_co_u32_e32 v5, vcc, -1, v5, vcc
	v_cmp_gt_i64_e32 vcc, s[12:13], v[4:5]
	v_mov_b32_e32 v66, 0
	s_and_saveexec_b64 s[22:23], vcc
	s_cbranch_execz .LBB161_29
; %bb.28:                               ;   in Loop: Header=BB161_3 Depth=1
	v_lshlrev_b64 v[4:5], 2, v[4:5]
	v_mov_b32_e32 v2, s11
	v_add_co_u32_e32 v4, vcc, s10, v4
	v_addc_co_u32_e32 v5, vcc, v2, v5, vcc
	global_load_dword v66, v[4:5], off
.LBB161_29:                             ;   in Loop: Header=BB161_3 Depth=1
	s_or_b64 exec, exec, s[22:23]
.LBB161_30:                             ;   in Loop: Header=BB161_3 Depth=1
	s_or_b64 exec, exec, s[8:9]
	s_mov_b32 s21, s20
	s_mov_b32 s22, s20
	;; [unrolled: 1-line block ×7, first 2 shown]
	v_pk_mov_b32 v[10:11], s[20:21], s[20:21] op_sel:[0,1]
	v_pk_mov_b32 v[16:17], s[26:27], s[26:27] op_sel:[0,1]
	;; [unrolled: 1-line block ×8, first 2 shown]
	s_and_saveexec_b64 s[8:9], s[2:3]
	s_cbranch_execnz .LBB161_42
; %bb.31:                               ;   in Loop: Header=BB161_3 Depth=1
	s_or_b64 exec, exec, s[8:9]
	s_and_saveexec_b64 s[8:9], s[2:3]
	s_cbranch_execnz .LBB161_43
.LBB161_32:                             ;   in Loop: Header=BB161_3 Depth=1
	s_or_b64 exec, exec, s[8:9]
	s_and_saveexec_b64 s[8:9], s[2:3]
	s_cbranch_execnz .LBB161_44
.LBB161_33:                             ;   in Loop: Header=BB161_3 Depth=1
	s_or_b64 exec, exec, s[8:9]
	s_and_saveexec_b64 s[8:9], s[2:3]
	s_cbranch_execnz .LBB161_45
.LBB161_34:                             ;   in Loop: Header=BB161_3 Depth=1
	s_or_b64 exec, exec, s[8:9]
	s_and_saveexec_b64 s[8:9], s[2:3]
	s_cbranch_execnz .LBB161_46
.LBB161_35:                             ;   in Loop: Header=BB161_3 Depth=1
	s_or_b64 exec, exec, s[8:9]
	s_and_saveexec_b64 s[8:9], s[2:3]
	s_cbranch_execnz .LBB161_47
.LBB161_36:                             ;   in Loop: Header=BB161_3 Depth=1
	s_or_b64 exec, exec, s[8:9]
	s_and_saveexec_b64 s[8:9], s[2:3]
	s_cbranch_execnz .LBB161_48
.LBB161_37:                             ;   in Loop: Header=BB161_3 Depth=1
	s_or_b64 exec, exec, s[8:9]
	s_and_saveexec_b64 s[8:9], s[2:3]
	s_cbranch_execz .LBB161_39
.LBB161_38:                             ;   in Loop: Header=BB161_3 Depth=1
	v_add_co_u32_e32 v4, vcc, v30, v28
	v_addc_co_u32_e32 v5, vcc, v1, v29, vcc
	global_load_dword v25, v[4:5], off
	v_add_co_u32_e32 v4, vcc, v32, v28
	v_addc_co_u32_e32 v5, vcc, v27, v29, vcc
	global_load_dword v17, v[4:5], off
.LBB161_39:                             ;   in Loop: Header=BB161_3 Depth=1
	s_or_b64 exec, exec, s[8:9]
	s_waitcnt vmcnt(0)
	ds_bpermute_b32 v4, v62, v66 offset:4
	ds_bpermute_b32 v5, v62, v66 offset:8
	ds_bpermute_b32 v2, v62, v66
	v_mul_f32_e32 v8, v10, v18
	v_pk_mul_f32 v[10:11], v[10:11], v[18:19]
	v_pk_mul_f32 v[12:13], v[12:13], v[20:21]
	v_mov_b32_e32 v10, v11
	v_mov_b32_e32 v11, v12
	s_waitcnt lgkmcnt(1)
	v_pk_mul_f32 v[4:5], v[10:11], v[4:5]
	ds_bpermute_b32 v10, v62, v66 offset:12
	ds_bpermute_b32 v11, v62, v66 offset:16
	s_waitcnt lgkmcnt(2)
	v_fmac_f32_e32 v63, v8, v2
	v_pk_mul_f32 v[8:9], v[14:15], v[22:23]
	v_add_f32_e32 v2, v63, v4
	v_add_f32_e32 v2, v2, v5
	v_mov_b32_e32 v4, v13
	v_mov_b32_e32 v5, v8
	s_waitcnt lgkmcnt(0)
	v_pk_mul_f32 v[4:5], v[4:5], v[10:11]
	ds_bpermute_b32 v10, v62, v66 offset:20
	ds_bpermute_b32 v11, v62, v66 offset:24
	v_pk_mul_f32 v[6:7], v[16:17], v[24:25]
	v_add_f32_e32 v2, v2, v4
	v_mov_b32_e32 v8, v9
	v_mov_b32_e32 v9, v6
	v_add_f32_e32 v2, v2, v5
	s_waitcnt lgkmcnt(0)
	v_pk_mul_f32 v[6:7], v[8:9], v[10:11]
	v_add_f32_e32 v2, v2, v6
	ds_bpermute_b32 v4, v62, v66 offset:28
	v_add_f32_e32 v2, v2, v7
.LBB161_40:                             ;   in Loop: Header=BB161_3 Depth=1
	v_mul_f32_e32 v5, v25, v17
	s_waitcnt lgkmcnt(0)
	v_fmac_f32_e32 v2, v5, v4
	v_mov_b32_e32 v4, s35
	v_add_co_u32_e32 v30, vcc, s34, v30
	v_addc_co_u32_e32 v1, vcc, v1, v4, vcc
	v_add_co_u32_e32 v32, vcc, s34, v32
	v_addc_co_u32_e32 v27, vcc, v27, v4, vcc
	v_add_co_u32_e32 v34, vcc, s34, v34
	v_addc_co_u32_e32 v31, vcc, v31, v4, vcc
	v_add_co_u32_e32 v36, vcc, s34, v36
	v_addc_co_u32_e32 v33, vcc, v33, v4, vcc
	v_add_co_u32_e32 v38, vcc, s34, v38
	v_addc_co_u32_e32 v35, vcc, v35, v4, vcc
	v_add_co_u32_e32 v40, vcc, s34, v40
	v_addc_co_u32_e32 v37, vcc, v37, v4, vcc
	v_add_co_u32_e32 v42, vcc, s34, v42
	v_addc_co_u32_e32 v39, vcc, v39, v4, vcc
	v_add_co_u32_e32 v44, vcc, s34, v44
	v_addc_co_u32_e32 v41, vcc, v41, v4, vcc
	v_add_co_u32_e32 v46, vcc, s34, v46
	v_addc_co_u32_e32 v43, vcc, v43, v4, vcc
	v_add_co_u32_e32 v48, vcc, s34, v48
	v_addc_co_u32_e32 v45, vcc, v45, v4, vcc
	v_add_co_u32_e32 v50, vcc, s34, v50
	v_addc_co_u32_e32 v47, vcc, v47, v4, vcc
	v_add_co_u32_e32 v52, vcc, s34, v52
	v_addc_co_u32_e32 v49, vcc, v49, v4, vcc
	v_add_co_u32_e32 v54, vcc, s34, v54
	v_addc_co_u32_e32 v51, vcc, v51, v4, vcc
	v_add_co_u32_e32 v56, vcc, s34, v56
	v_addc_co_u32_e32 v53, vcc, v53, v4, vcc
	v_add_co_u32_e32 v58, vcc, s34, v58
	v_addc_co_u32_e32 v55, vcc, v55, v4, vcc
	s_add_u32 s38, s38, s7
	v_add_co_u32_e32 v60, vcc, s34, v60
	s_addc_u32 s39, s39, 0
	v_addc_co_u32_e32 v57, vcc, v57, v4, vcc
	v_pk_mov_b32 v[4:5], s[12:13], s[12:13] op_sel:[0,1]
	s_add_u32 s36, s36, s7
	v_cmp_lt_i64_e32 vcc, s[38:39], v[4:5]
	s_addc_u32 s37, s37, 0
	s_cbranch_vccz .LBB161_50
; %bb.41:                               ;   in Loop: Header=BB161_3 Depth=1
	v_mov_b32_e32 v63, v2
	s_branch .LBB161_3
.LBB161_42:                             ;   in Loop: Header=BB161_3 Depth=1
	v_add_co_u32_e32 v4, vcc, v58, v28
	v_addc_co_u32_e32 v5, vcc, v55, v29, vcc
	global_load_dword v2, v[4:5], off
	v_add_co_u32_e32 v4, vcc, v60, v28
	v_addc_co_u32_e32 v5, vcc, v57, v29, vcc
	global_load_dword v10, v[4:5], off
	v_mov_b32_e32 v8, v3
	v_mov_b32_e32 v9, v3
	;; [unrolled: 1-line block ×6, first 2 shown]
	s_waitcnt vmcnt(1)
	v_pk_mov_b32 v[24:25], v[8:9], v[8:9] op_sel:[0,1]
	v_mov_b32_e32 v11, v3
	v_mov_b32_e32 v12, v3
	v_mov_b32_e32 v13, v3
	v_mov_b32_e32 v14, v3
	v_mov_b32_e32 v15, v3
	v_mov_b32_e32 v16, v3
	v_mov_b32_e32 v17, v3
	v_pk_mov_b32 v[22:23], v[6:7], v[6:7] op_sel:[0,1]
	v_pk_mov_b32 v[20:21], v[4:5], v[4:5] op_sel:[0,1]
	v_pk_mov_b32 v[18:19], v[2:3], v[2:3] op_sel:[0,1]
	s_or_b64 exec, exec, s[8:9]
	s_and_saveexec_b64 s[8:9], s[2:3]
	s_cbranch_execz .LBB161_32
.LBB161_43:                             ;   in Loop: Header=BB161_3 Depth=1
	v_add_co_u32_e32 v4, vcc, v54, v28
	v_addc_co_u32_e32 v5, vcc, v51, v29, vcc
	global_load_dword v19, v[4:5], off
	v_add_co_u32_e32 v4, vcc, v56, v28
	v_addc_co_u32_e32 v5, vcc, v53, v29, vcc
	global_load_dword v11, v[4:5], off
	s_or_b64 exec, exec, s[8:9]
	s_and_saveexec_b64 s[8:9], s[2:3]
	s_cbranch_execz .LBB161_33
.LBB161_44:                             ;   in Loop: Header=BB161_3 Depth=1
	v_add_co_u32_e32 v4, vcc, v50, v28
	v_addc_co_u32_e32 v5, vcc, v47, v29, vcc
	global_load_dword v20, v[4:5], off
	v_add_co_u32_e32 v4, vcc, v52, v28
	v_addc_co_u32_e32 v5, vcc, v49, v29, vcc
	global_load_dword v12, v[4:5], off
	s_or_b64 exec, exec, s[8:9]
	s_and_saveexec_b64 s[8:9], s[2:3]
	s_cbranch_execz .LBB161_34
.LBB161_45:                             ;   in Loop: Header=BB161_3 Depth=1
	v_add_co_u32_e32 v4, vcc, v46, v28
	v_addc_co_u32_e32 v5, vcc, v43, v29, vcc
	global_load_dword v21, v[4:5], off
	v_add_co_u32_e32 v4, vcc, v48, v28
	v_addc_co_u32_e32 v5, vcc, v45, v29, vcc
	global_load_dword v13, v[4:5], off
	s_or_b64 exec, exec, s[8:9]
	s_and_saveexec_b64 s[8:9], s[2:3]
	s_cbranch_execz .LBB161_35
.LBB161_46:                             ;   in Loop: Header=BB161_3 Depth=1
	v_add_co_u32_e32 v4, vcc, v42, v28
	v_addc_co_u32_e32 v5, vcc, v39, v29, vcc
	global_load_dword v22, v[4:5], off
	v_add_co_u32_e32 v4, vcc, v44, v28
	v_addc_co_u32_e32 v5, vcc, v41, v29, vcc
	global_load_dword v14, v[4:5], off
	s_or_b64 exec, exec, s[8:9]
	s_and_saveexec_b64 s[8:9], s[2:3]
	s_cbranch_execz .LBB161_36
.LBB161_47:                             ;   in Loop: Header=BB161_3 Depth=1
	v_add_co_u32_e32 v4, vcc, v38, v28
	v_addc_co_u32_e32 v5, vcc, v35, v29, vcc
	global_load_dword v23, v[4:5], off
	v_add_co_u32_e32 v4, vcc, v40, v28
	v_addc_co_u32_e32 v5, vcc, v37, v29, vcc
	global_load_dword v15, v[4:5], off
	s_or_b64 exec, exec, s[8:9]
	s_and_saveexec_b64 s[8:9], s[2:3]
	s_cbranch_execz .LBB161_37
.LBB161_48:                             ;   in Loop: Header=BB161_3 Depth=1
	v_add_co_u32_e32 v4, vcc, v34, v28
	v_addc_co_u32_e32 v5, vcc, v31, v29, vcc
	global_load_dword v24, v[4:5], off
	v_add_co_u32_e32 v4, vcc, v36, v28
	v_addc_co_u32_e32 v5, vcc, v33, v29, vcc
	global_load_dword v16, v[4:5], off
	s_or_b64 exec, exec, s[8:9]
	s_and_saveexec_b64 s[8:9], s[2:3]
	s_cbranch_execnz .LBB161_38
	s_branch .LBB161_39
.LBB161_49:
                                        ; implicit-def: $vgpr2
	s_branch .LBB161_51
.LBB161_50:
	s_cbranch_execnz .LBB161_83
.LBB161_51:
	s_and_b64 vcc, exec, s[0:1]
	v_mov_b32_e32 v2, 0
	s_cbranch_vccnz .LBB161_83
; %bb.52:
	s_load_dword s0, s[4:5], 0x44
	s_add_u32 s2, s4, 64
	s_addc_u32 s3, s5, 0
	v_bfe_u32 v85, v0, 10, 10
	v_lshlrev_b32_e32 v1, 5, v85
	s_waitcnt lgkmcnt(0)
	s_lshl_b32 s7, s0, 8
	s_add_u32 s8, s28, 0xff
	s_addc_u32 s9, 0, 0
	s_lshl_b64 s[0:1], s[28:29], 2
	v_mov_b32_e32 v2, s1
	v_add_co_u32_e32 v1, vcc, s0, v1
	v_addc_co_u32_e32 v4, vcc, 0, v2, vcc
	v_add_co_u32_e32 v6, vcc, 4, v1
	v_addc_co_u32_e32 v5, vcc, 0, v4, vcc
	v_add_co_u32_e32 v9, vcc, 8, v1
	v_mul_lo_u32 v7, s14, v5
	v_addc_co_u32_e32 v5, vcc, 0, v4, vcc
	v_add_co_u32_e32 v12, vcc, 12, v1
	v_mul_lo_u32 v10, s14, v5
	;; [unrolled: 3-line block ×5, first 2 shown]
	v_addc_co_u32_e32 v5, vcc, 0, v4, vcc
	v_add_co_u32_e32 v24, vcc, 28, v1
	v_lshlrev_b32_e32 v26, 3, v85
	v_addc_co_u32_e32 v1, vcc, 0, v4, vcc
	v_mul_lo_u32 v25, s14, v1
	v_mov_b32_e32 v1, s29
	v_add_co_u32_e32 v43, vcc, s28, v26
	v_pk_mov_b32 v[2:3], s[16:17], s[16:17] op_sel:[0,1]
	v_addc_co_u32_e32 v59, vcc, 0, v1, vcc
	v_mad_u64_u32 v[28:29], s[0:1], s14, v6, v[2:3]
	v_mad_u64_u32 v[30:31], s[0:1], s14, v9, v[2:3]
	;; [unrolled: 1-line block ×7, first 2 shown]
	v_mul_lo_u32 v60, s15, v43
	v_mul_lo_u32 v61, s14, v59
	v_mad_u64_u32 v[2:3], s[0:1], s14, v43, 0
	v_add3_u32 v3, v3, v61, v60
	v_lshlrev_b64 v[2:3], 2, v[2:3]
	v_mul_lo_u32 v22, s14, v5
	v_mov_b32_e32 v81, s17
	v_add_co_u32_e32 v42, vcc, s16, v2
	v_pk_mov_b32 v[4:5], s[18:19], s[18:19] op_sel:[0,1]
	v_mul_lo_u32 v17, s15, v15
	v_addc_co_u32_e32 v1, vcc, v81, v3, vcc
	v_mad_u64_u32 v[50:51], s[0:1], s14, v15, v[4:5]
	v_add3_u32 v35, v17, v35, v16
	v_mul_lo_u32 v27, s15, v24
	v_add3_u32 v51, v17, v51, v16
	v_mad_u64_u32 v[56:57], s[0:1], s14, v24, v[4:5]
	v_mov_b32_e32 v16, s19
	v_add_co_u32_e32 v58, vcc, s18, v2
	v_add3_u32 v41, v27, v41, v25
	v_add3_u32 v57, v27, v57, v25
	v_addc_co_u32_e32 v27, vcc, v16, v3, vcc
	v_add_co_u32_e32 v2, vcc, 7, v43
	v_addc_co_u32_e32 v3, vcc, 0, v59, vcc
	v_mad_u64_u32 v[44:45], s[0:1], s14, v6, v[4:5]
	v_mad_u64_u32 v[46:47], s[0:1], s14, v9, v[4:5]
	;; [unrolled: 1-line block ×5, first 2 shown]
	v_mul_lo_u32 v4, s15, v2
	v_mul_lo_u32 v5, s14, v3
	v_mad_u64_u32 v[2:3], s[0:1], s14, v2, 0
	v_add3_u32 v3, v3, v5, v4
	v_add_co_u32_e32 v4, vcc, 6, v43
	v_mul_lo_u32 v8, s15, v6
	v_addc_co_u32_e32 v5, vcc, 0, v59, vcc
	v_add3_u32 v29, v8, v29, v7
	v_add3_u32 v45, v8, v45, v7
	v_mul_lo_u32 v6, s15, v4
	v_mul_lo_u32 v7, s14, v5
	v_mad_u64_u32 v[4:5], s[0:1], s14, v4, 0
	v_add3_u32 v5, v5, v7, v6
	v_add_co_u32_e32 v6, vcc, 5, v43
	v_addc_co_u32_e32 v7, vcc, 0, v59, vcc
	v_mul_lo_u32 v11, s15, v9
	v_mul_lo_u32 v8, s15, v6
	;; [unrolled: 1-line block ×3, first 2 shown]
	v_mad_u64_u32 v[6:7], s[0:1], s14, v6, 0
	v_add3_u32 v7, v7, v9, v8
	v_add_co_u32_e32 v8, vcc, 4, v43
	v_addc_co_u32_e32 v9, vcc, 0, v59, vcc
	v_add3_u32 v31, v11, v31, v10
	v_add3_u32 v47, v11, v47, v10
	v_mul_lo_u32 v10, s15, v8
	v_mul_lo_u32 v11, s14, v9
	v_mad_u64_u32 v[8:9], s[0:1], s14, v8, 0
	v_add3_u32 v9, v9, v11, v10
	v_add_co_u32_e32 v10, vcc, 3, v43
	v_mul_lo_u32 v14, s15, v12
	v_addc_co_u32_e32 v11, vcc, 0, v59, vcc
	v_add3_u32 v33, v14, v33, v13
	v_add3_u32 v49, v14, v49, v13
	v_mul_lo_u32 v12, s15, v10
	v_mul_lo_u32 v13, s14, v11
	v_mad_u64_u32 v[10:11], s[0:1], s14, v10, 0
	v_add3_u32 v11, v11, v13, v12
	v_add_co_u32_e32 v12, vcc, 2, v43
	v_addc_co_u32_e32 v13, vcc, 0, v59, vcc
	v_mul_lo_u32 v14, s15, v12
	v_mul_lo_u32 v15, s14, v13
	v_mad_u64_u32 v[12:13], s[0:1], s14, v12, 0
	v_add3_u32 v13, v13, v15, v14
	v_pk_mov_b32 v[14:15], s[14:15], s[14:15] op_sel:[0,1]
	v_lshlrev_b64 v[2:3], 2, v[2:3]
	v_mad_u64_u32 v[14:15], s[0:1], s14, v43, v[14:15]
	v_add3_u32 v15, v60, v15, v61
	v_add_co_u32_e32 v60, vcc, s16, v2
	v_addc_co_u32_e32 v43, vcc, v81, v3, vcc
	v_add_co_u32_e32 v62, vcc, s18, v2
	v_addc_co_u32_e32 v59, vcc, v16, v3, vcc
	v_lshlrev_b64 v[2:3], 2, v[4:5]
	v_add_co_u32_e32 v64, vcc, s16, v2
	v_addc_co_u32_e32 v61, vcc, v81, v3, vcc
	v_add_co_u32_e32 v66, vcc, s18, v2
	v_addc_co_u32_e32 v63, vcc, v16, v3, vcc
	v_lshlrev_b64 v[2:3], 2, v[6:7]
	;; [unrolled: 5-line block ×6, first 2 shown]
	v_add_co_u32_e32 v84, vcc, s16, v2
	v_addc_co_u32_e32 v81, vcc, v81, v3, vcc
	v_mbcnt_lo_u32_b32 v4, -1, 0
	v_add_co_u32_e32 v86, vcc, s18, v2
	v_and_b32_e32 v87, 0x3ff, v0
	s_mul_i32 s0, s15, s7
	s_mul_hi_u32 s1, s14, s7
	v_mbcnt_hi_u32_b32 v4, -1, v4
	v_mul_lo_u32 v20, s15, v18
	v_mul_lo_u32 v23, s15, v21
	v_addc_co_u32_e32 v83, vcc, v16, v3, vcc
	v_add_u32_e32 v2, s33, v87
	v_mov_b32_e32 v3, 0
	s_add_i32 s1, s1, s0
	s_mul_i32 s0, s14, s7
	v_lshlrev_b32_e32 v4, 2, v4
	v_add3_u32 v37, v20, v37, v19
	v_add3_u32 v39, v23, v39, v22
	;; [unrolled: 1-line block ×4, first 2 shown]
	s_mov_b32 s16, 0
	s_lshl_b64 s[24:25], s[0:1], 2
	v_and_b32_e32 v90, 0x100, v4
	v_mov_b32_e32 v91, 0
	v_lshlrev_b64 v[88:89], 2, v[2:3]
.LBB161_53:                             ; =>This Inner Loop Header: Depth=1
	v_pk_mov_b32 v[4:5], s[12:13], s[12:13] op_sel:[0,1]
	v_cmp_ge_i64_e32 vcc, s[8:9], v[4:5]
	v_mov_b32_e32 v2, s9
	v_add_co_u32_e64 v92, s[0:1], s8, v26
	v_addc_co_u32_e64 v93, s[0:1], 0, v2, s[0:1]
	s_cbranch_vccz .LBB161_75
; %bb.54:                               ;   in Loop: Header=BB161_53 Depth=1
	s_load_dword s0, s[2:3], 0xc
	v_mov_b32_e32 v94, 0
	s_waitcnt lgkmcnt(0)
	s_and_b32 s0, s0, 0xffff
	v_mad_u32_u24 v2, v85, s0, v87
	v_and_b32_e32 v2, 63, v2
	v_cmp_gt_u32_e32 vcc, 8, v2
	s_and_saveexec_b64 s[0:1], vcc
	s_cbranch_execz .LBB161_58
; %bb.55:                               ;   in Loop: Header=BB161_53 Depth=1
	v_add_co_u32_e32 v2, vcc, v92, v2
	v_addc_co_u32_e32 v5, vcc, 0, v93, vcc
	v_add_co_u32_e32 v4, vcc, 0xffffff01, v2
	v_addc_co_u32_e32 v5, vcc, -1, v5, vcc
	v_cmp_gt_i64_e32 vcc, s[12:13], v[4:5]
	v_mov_b32_e32 v94, 0
	s_and_saveexec_b64 s[18:19], vcc
	s_cbranch_execz .LBB161_57
; %bb.56:                               ;   in Loop: Header=BB161_53 Depth=1
	v_lshlrev_b64 v[4:5], 2, v[4:5]
	v_mov_b32_e32 v2, s11
	v_add_co_u32_e32 v4, vcc, s10, v4
	v_addc_co_u32_e32 v5, vcc, v2, v5, vcc
	global_load_dword v94, v[4:5], off
.LBB161_57:                             ;   in Loop: Header=BB161_53 Depth=1
	s_or_b64 exec, exec, s[18:19]
.LBB161_58:                             ;   in Loop: Header=BB161_53 Depth=1
	s_or_b64 exec, exec, s[0:1]
	s_mov_b32 s17, s16
	s_mov_b32 s18, s16
	;; [unrolled: 1-line block ×7, first 2 shown]
	v_pk_mov_b32 v[10:11], s[16:17], s[16:17] op_sel:[0,1]
	v_add_co_u32_e32 v4, vcc, 0xffffff01, v92
	v_pk_mov_b32 v[16:17], s[22:23], s[22:23] op_sel:[0,1]
	v_addc_co_u32_e32 v5, vcc, -1, v93, vcc
	v_pk_mov_b32 v[12:13], s[18:19], s[18:19] op_sel:[0,1]
	v_pk_mov_b32 v[14:15], s[20:21], s[20:21] op_sel:[0,1]
	;; [unrolled: 1-line block ×3, first 2 shown]
	v_cmp_gt_i64_e32 vcc, s[12:13], v[4:5]
	v_pk_mov_b32 v[22:23], v[14:15], v[14:15] op_sel:[0,1]
	v_pk_mov_b32 v[20:21], v[12:13], v[12:13] op_sel:[0,1]
	;; [unrolled: 1-line block ×3, first 2 shown]
	s_and_saveexec_b64 s[0:1], vcc
	s_cbranch_execz .LBB161_60
; %bb.59:                               ;   in Loop: Header=BB161_53 Depth=1
	v_add_co_u32_e32 v4, vcc, v42, v88
	v_addc_co_u32_e32 v5, vcc, v1, v89, vcc
	global_load_dword v2, v[4:5], off
	v_add_co_u32_e32 v4, vcc, v58, v88
	v_addc_co_u32_e32 v5, vcc, v27, v89, vcc
	global_load_dword v10, v[4:5], off
	v_mov_b32_e32 v8, v3
	v_mov_b32_e32 v9, v3
	;; [unrolled: 1-line block ×6, first 2 shown]
	s_waitcnt vmcnt(1)
	v_pk_mov_b32 v[24:25], v[8:9], v[8:9] op_sel:[0,1]
	v_mov_b32_e32 v11, v3
	v_mov_b32_e32 v12, v3
	;; [unrolled: 1-line block ×7, first 2 shown]
	v_pk_mov_b32 v[22:23], v[6:7], v[6:7] op_sel:[0,1]
	v_pk_mov_b32 v[20:21], v[4:5], v[4:5] op_sel:[0,1]
	;; [unrolled: 1-line block ×3, first 2 shown]
.LBB161_60:                             ;   in Loop: Header=BB161_53 Depth=1
	s_or_b64 exec, exec, s[0:1]
	v_add_co_u32_e32 v4, vcc, 0xffffff02, v92
	v_addc_co_u32_e32 v5, vcc, -1, v93, vcc
	v_cmp_gt_i64_e32 vcc, s[12:13], v[4:5]
	s_and_saveexec_b64 s[0:1], vcc
	s_cbranch_execz .LBB161_62
; %bb.61:                               ;   in Loop: Header=BB161_53 Depth=1
	v_add_co_u32_e32 v4, vcc, v84, v88
	v_addc_co_u32_e32 v5, vcc, v81, v89, vcc
	global_load_dword v19, v[4:5], off
	v_add_co_u32_e32 v4, vcc, v86, v88
	v_addc_co_u32_e32 v5, vcc, v83, v89, vcc
	global_load_dword v11, v[4:5], off
.LBB161_62:                             ;   in Loop: Header=BB161_53 Depth=1
	s_or_b64 exec, exec, s[0:1]
	v_add_co_u32_e32 v4, vcc, 0xffffff03, v92
	v_addc_co_u32_e32 v5, vcc, -1, v93, vcc
	v_cmp_gt_i64_e32 vcc, s[12:13], v[4:5]
	s_and_saveexec_b64 s[0:1], vcc
	s_cbranch_execz .LBB161_64
; %bb.63:                               ;   in Loop: Header=BB161_53 Depth=1
	v_add_co_u32_e32 v4, vcc, v80, v88
	v_addc_co_u32_e32 v5, vcc, v77, v89, vcc
	global_load_dword v20, v[4:5], off
	v_add_co_u32_e32 v4, vcc, v82, v88
	v_addc_co_u32_e32 v5, vcc, v79, v89, vcc
	global_load_dword v12, v[4:5], off
.LBB161_64:                             ;   in Loop: Header=BB161_53 Depth=1
	;; [unrolled: 14-line block ×7, first 2 shown]
	s_or_b64 exec, exec, s[0:1]
	s_waitcnt vmcnt(0)
	ds_bpermute_b32 v4, v90, v94
	ds_bpermute_b32 v5, v90, v94 offset:4
	v_pk_mul_f32 v[8:9], v[14:15], v[22:23]
	ds_bpermute_b32 v14, v90, v94 offset:8
	ds_bpermute_b32 v15, v90, v94 offset:12
	v_pk_mul_f32 v[10:11], v[10:11], v[18:19]
	s_waitcnt lgkmcnt(2)
	v_pk_mul_f32 v[4:5], v[10:11], v[4:5]
	ds_bpermute_b32 v10, v90, v94 offset:16
	ds_bpermute_b32 v11, v90, v94 offset:20
	v_pk_mul_f32 v[12:13], v[12:13], v[20:21]
	v_add_f32_e32 v2, v91, v4
	v_add_f32_e32 v2, v2, v5
	s_waitcnt lgkmcnt(2)
	v_pk_mul_f32 v[4:5], v[12:13], v[14:15]
	ds_bpermute_b32 v12, v90, v94 offset:24
	ds_bpermute_b32 v13, v90, v94 offset:28
	v_add_f32_e32 v2, v2, v4
	v_add_f32_e32 v2, v2, v5
	s_waitcnt lgkmcnt(2)
	v_pk_mul_f32 v[4:5], v[8:9], v[10:11]
	v_pk_mul_f32 v[6:7], v[16:17], v[24:25]
	v_add_f32_e32 v2, v2, v4
	v_add_f32_e32 v2, v2, v5
	s_waitcnt lgkmcnt(0)
	v_pk_mul_f32 v[4:5], v[6:7], v[12:13]
	v_add_f32_e32 v2, v2, v4
	v_add_f32_e32 v2, v2, v5
	s_branch .LBB161_81
.LBB161_75:                             ;   in Loop: Header=BB161_53 Depth=1
                                        ; implicit-def: $vgpr2
	s_cbranch_execz .LBB161_81
; %bb.76:                               ;   in Loop: Header=BB161_53 Depth=1
	s_load_dword s0, s[2:3], 0x0
	s_waitcnt lgkmcnt(0)
	s_cmp_lt_u32 s6, s0
	s_cselect_b32 s0, 12, 18
	s_add_u32 s0, s2, s0
	s_addc_u32 s1, s3, 0
	global_load_ushort v2, v3, s[0:1]
	s_waitcnt vmcnt(0)
	v_mad_u32_u24 v2, v85, v2, v87
	v_and_b32_e32 v4, 63, v2
	v_cmp_gt_u32_e32 vcc, 8, v4
	v_mov_b32_e32 v2, 0
	s_and_saveexec_b64 s[0:1], vcc
	s_cbranch_execz .LBB161_80
; %bb.77:                               ;   in Loop: Header=BB161_53 Depth=1
	v_add_co_u32_e32 v2, vcc, v92, v4
	v_addc_co_u32_e32 v5, vcc, 0, v93, vcc
	v_add_co_u32_e32 v4, vcc, 0xffffff01, v2
	v_addc_co_u32_e32 v5, vcc, -1, v5, vcc
	v_cmp_gt_i64_e32 vcc, s[12:13], v[4:5]
	v_mov_b32_e32 v2, 0
	s_and_saveexec_b64 s[18:19], vcc
	s_cbranch_execz .LBB161_79
; %bb.78:                               ;   in Loop: Header=BB161_53 Depth=1
	v_lshlrev_b64 v[4:5], 2, v[4:5]
	v_mov_b32_e32 v2, s11
	v_add_co_u32_e32 v4, vcc, s10, v4
	v_addc_co_u32_e32 v5, vcc, v2, v5, vcc
	global_load_dword v2, v[4:5], off
.LBB161_79:                             ;   in Loop: Header=BB161_53 Depth=1
	s_or_b64 exec, exec, s[18:19]
.LBB161_80:                             ;   in Loop: Header=BB161_53 Depth=1
	s_or_b64 exec, exec, s[0:1]
	v_add_co_u32_e32 v4, vcc, v42, v88
	v_addc_co_u32_e32 v5, vcc, v1, v89, vcc
	v_add_co_u32_e32 v6, vcc, v58, v88
	v_addc_co_u32_e32 v7, vcc, v27, v89, vcc
	;; [unrolled: 2-line block ×3, first 2 shown]
	global_load_dword v4, v[4:5], off
	s_nop 0
	global_load_dword v5, v[8:9], off
	v_add_co_u32_e32 v8, vcc, v44, v88
	v_addc_co_u32_e32 v9, vcc, v45, v89, vcc
	global_load_dword v6, v[6:7], off
	s_nop 0
	global_load_dword v7, v[8:9], off
	v_add_co_u32_e32 v8, vcc, v30, v88
	v_addc_co_u32_e32 v9, vcc, v31, v89, vcc
	v_add_co_u32_e32 v10, vcc, v46, v88
	v_addc_co_u32_e32 v11, vcc, v47, v89, vcc
	;; [unrolled: 2-line block ×3, first 2 shown]
	global_load_dword v8, v[8:9], off
	s_waitcnt vmcnt(1)
	v_pk_mul_f32 v[4:5], v[4:5], v[6:7]
	global_load_dword v9, v[12:13], off
	v_add_co_u32_e32 v12, vcc, v48, v88
	v_addc_co_u32_e32 v13, vcc, v49, v89, vcc
	global_load_dword v10, v[10:11], off
	ds_bpermute_b32 v6, v90, v2 offset:8
	global_load_dword v11, v[12:13], off
	v_add_co_u32_e32 v12, vcc, v34, v88
	v_addc_co_u32_e32 v13, vcc, v35, v89, vcc
	v_add_co_u32_e32 v14, vcc, v50, v88
	v_addc_co_u32_e32 v15, vcc, v51, v89, vcc
	;; [unrolled: 2-line block ×3, first 2 shown]
	global_load_dword v12, v[12:13], off
	ds_bpermute_b32 v7, v90, v2 offset:12
	global_load_dword v13, v[16:17], off
	v_add_co_u32_e32 v16, vcc, v52, v88
	v_addc_co_u32_e32 v17, vcc, v53, v89, vcc
	global_load_dword v14, v[14:15], off
	s_nop 0
	global_load_dword v15, v[16:17], off
	v_add_co_u32_e32 v16, vcc, v38, v88
	v_addc_co_u32_e32 v17, vcc, v39, v89, vcc
	v_add_co_u32_e32 v18, vcc, v54, v88
	v_addc_co_u32_e32 v19, vcc, v55, v89, vcc
	;; [unrolled: 2-line block ×3, first 2 shown]
	global_load_dword v16, v[16:17], off
	s_nop 0
	global_load_dword v17, v[20:21], off
	v_add_co_u32_e32 v20, vcc, v56, v88
	v_addc_co_u32_e32 v21, vcc, v57, v89, vcc
	global_load_dword v18, v[18:19], off
	s_nop 0
	global_load_dword v19, v[20:21], off
	ds_bpermute_b32 v20, v90, v2
	ds_bpermute_b32 v21, v90, v2 offset:4
	s_waitcnt lgkmcnt(0)
	v_pk_mul_f32 v[4:5], v[4:5], v[20:21]
	v_add_f32_e32 v4, v91, v4
	v_add_f32_e32 v20, v4, v5
	s_waitcnt vmcnt(8)
	v_pk_mul_f32 v[4:5], v[8:9], v[10:11]
	v_pk_mul_f32 v[4:5], v[4:5], v[6:7]
	ds_bpermute_b32 v6, v90, v2 offset:16
	ds_bpermute_b32 v7, v90, v2 offset:20
	v_add_f32_e32 v4, v20, v4
	ds_bpermute_b32 v8, v90, v2 offset:24
	ds_bpermute_b32 v9, v90, v2 offset:28
	v_add_f32_e32 v10, v4, v5
	s_waitcnt vmcnt(4)
	v_pk_mul_f32 v[4:5], v[12:13], v[14:15]
	s_waitcnt lgkmcnt(2)
	v_pk_mul_f32 v[4:5], v[4:5], v[6:7]
	v_add_f32_e32 v2, v10, v4
	v_add_f32_e32 v2, v2, v5
	s_waitcnt vmcnt(0)
	v_pk_mul_f32 v[4:5], v[16:17], v[18:19]
	s_waitcnt lgkmcnt(0)
	v_pk_mul_f32 v[4:5], v[4:5], v[8:9]
	v_add_f32_e32 v2, v2, v4
	v_add_f32_e32 v2, v2, v5
.LBB161_81:                             ;   in Loop: Header=BB161_53 Depth=1
	s_add_u32 s28, s28, s7
	s_addc_u32 s29, s29, 0
	v_pk_mov_b32 v[4:5], s[12:13], s[12:13] op_sel:[0,1]
	v_cmp_ge_i64_e32 vcc, s[28:29], v[4:5]
	v_mov_b32_e32 v4, s25
	v_add_co_u32_e64 v28, s[0:1], s24, v28
	v_addc_co_u32_e64 v29, s[0:1], v29, v4, s[0:1]
	v_add_co_u32_e64 v30, s[0:1], s24, v30
	v_addc_co_u32_e64 v31, s[0:1], v31, v4, s[0:1]
	v_add_co_u32_e64 v32, s[0:1], s24, v32
	v_addc_co_u32_e64 v33, s[0:1], v33, v4, s[0:1]
	v_add_co_u32_e64 v34, s[0:1], s24, v34
	v_addc_co_u32_e64 v35, s[0:1], v35, v4, s[0:1]
	v_add_co_u32_e64 v36, s[0:1], s24, v36
	v_addc_co_u32_e64 v37, s[0:1], v37, v4, s[0:1]
	v_add_co_u32_e64 v38, s[0:1], s24, v38
	v_addc_co_u32_e64 v39, s[0:1], v39, v4, s[0:1]
	v_add_co_u32_e64 v40, s[0:1], s24, v40
	v_addc_co_u32_e64 v41, s[0:1], v41, v4, s[0:1]
	v_add_co_u32_e64 v42, s[0:1], s24, v42
	v_addc_co_u32_e64 v1, s[0:1], v1, v4, s[0:1]
	v_add_co_u32_e64 v44, s[0:1], s24, v44
	v_addc_co_u32_e64 v45, s[0:1], v45, v4, s[0:1]
	v_add_co_u32_e64 v46, s[0:1], s24, v46
	v_addc_co_u32_e64 v47, s[0:1], v47, v4, s[0:1]
	v_add_co_u32_e64 v48, s[0:1], s24, v48
	v_addc_co_u32_e64 v49, s[0:1], v49, v4, s[0:1]
	v_add_co_u32_e64 v50, s[0:1], s24, v50
	v_addc_co_u32_e64 v51, s[0:1], v51, v4, s[0:1]
	v_add_co_u32_e64 v52, s[0:1], s24, v52
	v_addc_co_u32_e64 v53, s[0:1], v53, v4, s[0:1]
	v_add_co_u32_e64 v54, s[0:1], s24, v54
	v_addc_co_u32_e64 v55, s[0:1], v55, v4, s[0:1]
	v_add_co_u32_e64 v56, s[0:1], s24, v56
	v_addc_co_u32_e64 v57, s[0:1], v57, v4, s[0:1]
	v_add_co_u32_e64 v58, s[0:1], s24, v58
	v_addc_co_u32_e64 v27, s[0:1], v27, v4, s[0:1]
	v_add_co_u32_e64 v60, s[0:1], s24, v60
	v_addc_co_u32_e64 v43, s[0:1], v43, v4, s[0:1]
	v_add_co_u32_e64 v62, s[0:1], s24, v62
	v_addc_co_u32_e64 v59, s[0:1], v59, v4, s[0:1]
	v_add_co_u32_e64 v64, s[0:1], s24, v64
	v_addc_co_u32_e64 v61, s[0:1], v61, v4, s[0:1]
	v_add_co_u32_e64 v66, s[0:1], s24, v66
	v_addc_co_u32_e64 v63, s[0:1], v63, v4, s[0:1]
	v_add_co_u32_e64 v68, s[0:1], s24, v68
	v_addc_co_u32_e64 v65, s[0:1], v65, v4, s[0:1]
	v_add_co_u32_e64 v70, s[0:1], s24, v70
	v_addc_co_u32_e64 v67, s[0:1], v67, v4, s[0:1]
	v_add_co_u32_e64 v72, s[0:1], s24, v72
	v_addc_co_u32_e64 v69, s[0:1], v69, v4, s[0:1]
	v_add_co_u32_e64 v74, s[0:1], s24, v74
	v_addc_co_u32_e64 v71, s[0:1], v71, v4, s[0:1]
	v_add_co_u32_e64 v76, s[0:1], s24, v76
	v_addc_co_u32_e64 v73, s[0:1], v73, v4, s[0:1]
	v_add_co_u32_e64 v78, s[0:1], s24, v78
	v_addc_co_u32_e64 v75, s[0:1], v75, v4, s[0:1]
	v_add_co_u32_e64 v80, s[0:1], s24, v80
	v_addc_co_u32_e64 v77, s[0:1], v77, v4, s[0:1]
	v_add_co_u32_e64 v82, s[0:1], s24, v82
	v_addc_co_u32_e64 v79, s[0:1], v79, v4, s[0:1]
	v_add_co_u32_e64 v84, s[0:1], s24, v84
	v_addc_co_u32_e64 v81, s[0:1], v81, v4, s[0:1]
	v_add_co_u32_e64 v86, s[0:1], s24, v86
	s_add_u32 s8, s8, s7
	v_addc_co_u32_e64 v83, s[0:1], v83, v4, s[0:1]
	s_addc_u32 s9, s9, 0
	s_cbranch_vccnz .LBB161_83
; %bb.82:                               ;   in Loop: Header=BB161_53 Depth=1
	v_mov_b32_e32 v91, v2
	s_branch .LBB161_53
.LBB161_83:
	v_and_b32_e32 v3, 0x3ff, v0
	v_bfe_u32 v0, v0, 10, 10
	v_mad_u32_u24 v4, v0, 33, v3
	v_lshl_add_u32 v5, v4, 2, 0
	ds_write_b32 v5, v2
	v_sub_u32_e32 v2, v4, v0
	s_movk_i32 s0, 0x800
	s_mov_b32 s7, 0
	v_mov_b32_e32 v1, 0
	v_cmp_gt_u32_e32 vcc, s0, v2
	ds_write_b32 v5, v1 offset:4224
	s_waitcnt lgkmcnt(0)
	s_barrier
	s_and_saveexec_b64 s[0:1], vcc
	s_cbranch_execz .LBB161_90
; %bb.84:
	v_mbcnt_lo_u32_b32 v4, -1, 0
	v_mbcnt_hi_u32_b32 v8, -1, v4
	v_and_b32_e32 v4, 64, v8
	v_add_u32_e32 v9, 64, v4
	v_cmp_ne_u32_e64 s[0:1], 0, v3
	v_xor_b32_e32 v3, 16, v8
	v_cmp_lt_i32_e64 s[2:3], v3, v9
	v_cndmask_b32_e64 v3, v8, v3, s[2:3]
	v_lshlrev_b32_e32 v4, 2, v3
	v_xor_b32_e32 v3, 8, v8
	v_cmp_lt_i32_e64 s[2:3], v3, v9
	v_cndmask_b32_e64 v3, v8, v3, s[2:3]
	v_lshlrev_b32_e32 v5, 2, v3
	v_xor_b32_e32 v3, 4, v8
	v_cmp_lt_i32_e64 s[2:3], v3, v9
	s_load_dwordx2 s[12:13], s[4:5], 0x30
	v_cndmask_b32_e64 v3, v8, v3, s[2:3]
	v_lshlrev_b32_e32 v6, 2, v3
	v_xor_b32_e32 v3, 2, v8
	v_cmp_lt_i32_e64 s[2:3], v3, v9
	v_cndmask_b32_e64 v3, v8, v3, s[2:3]
	s_lshl_b64 s[4:5], s[6:7], 5
	v_lshlrev_b32_e32 v7, 2, v3
	v_xor_b32_e32 v3, 1, v8
	s_waitcnt lgkmcnt(0)
	s_cmp_eq_u64 s[12:13], 0
	v_cmp_lt_i32_e64 s[2:3], v3, v9
	s_cselect_b64 s[10:11], -1, 0
	v_cndmask_b32_e64 v3, v8, v3, s[2:3]
	s_lshl_b64 s[2:3], s[6:7], 7
	v_lshrrev_b32_e32 v0, 6, v2
	v_and_b32_e32 v2, 63, v2
	s_add_u32 s2, s12, s2
	v_cmp_gt_u32_e32 vcc, 32, v2
	v_mul_u32_u24_e32 v2, 0x84, v2
	v_lshlrev_b32_e32 v8, 2, v3
	v_lshlrev_b32_e32 v3, 2, v0
	s_addc_u32 s3, s13, s3
	v_add3_u32 v9, v2, v3, 0
	v_mov_b32_e32 v10, s3
	v_add_co_u32_e64 v2, s[2:3], s2, v3
	s_mov_b64 s[8:9], 0
	v_addc_co_u32_e64 v3, s[2:3], 0, v10, s[2:3]
	v_mov_b32_e32 v10, s5
                                        ; implicit-def: $vgpr11
	s_branch .LBB161_86
.LBB161_85:                             ;   in Loop: Header=BB161_86 Depth=1
	s_or_b64 exec, exec, s[2:3]
	v_add_co_u32_e64 v0, s[2:3], 16, v0
	v_addc_co_u32_e64 v1, s[2:3], 0, v1, s[2:3]
	v_add_u32_e32 v12, -16, v0
	v_cmp_lt_u32_e64 s[2:3], 15, v12
	s_or_b64 s[8:9], s[2:3], s[8:9]
	v_add_co_u32_e64 v2, s[2:3], 64, v2
	v_add_u32_e32 v9, 64, v9
	v_addc_co_u32_e64 v3, s[2:3], 0, v3, s[2:3]
	s_andn2_b64 exec, exec, s[8:9]
	s_cbranch_execz .LBB161_90
.LBB161_86:                             ; =>This Inner Loop Header: Depth=1
	s_and_saveexec_b64 s[2:3], vcc
	s_cbranch_execz .LBB161_88
; %bb.87:                               ;   in Loop: Header=BB161_86 Depth=1
	ds_read_b32 v11, v9
.LBB161_88:                             ;   in Loop: Header=BB161_86 Depth=1
	s_or_b64 exec, exec, s[2:3]
	s_waitcnt lgkmcnt(0)
	ds_bpermute_b32 v12, v4, v11
	s_waitcnt lgkmcnt(0)
	v_add_f32_e32 v11, v11, v12
	ds_bpermute_b32 v12, v5, v11
	s_waitcnt lgkmcnt(0)
	v_add_f32_e32 v11, v11, v12
	;; [unrolled: 3-line block ×4, first 2 shown]
	ds_bpermute_b32 v14, v8, v11
	v_add_co_u32_e64 v12, s[2:3], s4, v0
	v_addc_co_u32_e64 v13, s[2:3], v10, v1, s[2:3]
	v_cmp_le_i64_e64 s[2:3], s[14:15], v[12:13]
	s_or_b64 s[2:3], s[0:1], s[2:3]
	s_or_b64 s[2:3], s[10:11], s[2:3]
	s_waitcnt lgkmcnt(0)
	v_add_f32_e32 v11, v11, v14
	s_xor_b64 s[6:7], s[2:3], -1
	s_and_saveexec_b64 s[2:3], s[6:7]
	s_cbranch_execz .LBB161_85
; %bb.89:                               ;   in Loop: Header=BB161_86 Depth=1
	global_store_dword v[2:3], v11, off
	s_branch .LBB161_85
.LBB161_90:
	s_endpgm
	.section	.rodata,"a",@progbits
	.p2align	6, 0x0
	.amdhsa_kernel _ZN2at6native12_GLOBAL__N_135GammaBetaBackwardCUDAKernelTemplateIffLj32ELj32ELj256ELb0ELb0ELb1EEEvllPKT_S5_PKT0_S8_PS3_S9_
		.amdhsa_group_segment_fixed_size 0
		.amdhsa_private_segment_fixed_size 0
		.amdhsa_kernarg_size 320
		.amdhsa_user_sgpr_count 6
		.amdhsa_user_sgpr_private_segment_buffer 1
		.amdhsa_user_sgpr_dispatch_ptr 0
		.amdhsa_user_sgpr_queue_ptr 0
		.amdhsa_user_sgpr_kernarg_segment_ptr 1
		.amdhsa_user_sgpr_dispatch_id 0
		.amdhsa_user_sgpr_flat_scratch_init 0
		.amdhsa_user_sgpr_kernarg_preload_length 0
		.amdhsa_user_sgpr_kernarg_preload_offset 0
		.amdhsa_user_sgpr_private_segment_size 0
		.amdhsa_uses_dynamic_stack 0
		.amdhsa_system_sgpr_private_segment_wavefront_offset 0
		.amdhsa_system_sgpr_workgroup_id_x 1
		.amdhsa_system_sgpr_workgroup_id_y 1
		.amdhsa_system_sgpr_workgroup_id_z 0
		.amdhsa_system_sgpr_workgroup_info 0
		.amdhsa_system_vgpr_workitem_id 1
		.amdhsa_next_free_vgpr 95
		.amdhsa_next_free_sgpr 42
		.amdhsa_accum_offset 96
		.amdhsa_reserve_vcc 1
		.amdhsa_reserve_flat_scratch 0
		.amdhsa_float_round_mode_32 0
		.amdhsa_float_round_mode_16_64 0
		.amdhsa_float_denorm_mode_32 3
		.amdhsa_float_denorm_mode_16_64 3
		.amdhsa_dx10_clamp 1
		.amdhsa_ieee_mode 1
		.amdhsa_fp16_overflow 0
		.amdhsa_tg_split 0
		.amdhsa_exception_fp_ieee_invalid_op 0
		.amdhsa_exception_fp_denorm_src 0
		.amdhsa_exception_fp_ieee_div_zero 0
		.amdhsa_exception_fp_ieee_overflow 0
		.amdhsa_exception_fp_ieee_underflow 0
		.amdhsa_exception_fp_ieee_inexact 0
		.amdhsa_exception_int_div_zero 0
	.end_amdhsa_kernel
	.section	.text._ZN2at6native12_GLOBAL__N_135GammaBetaBackwardCUDAKernelTemplateIffLj32ELj32ELj256ELb0ELb0ELb1EEEvllPKT_S5_PKT0_S8_PS3_S9_,"axG",@progbits,_ZN2at6native12_GLOBAL__N_135GammaBetaBackwardCUDAKernelTemplateIffLj32ELj32ELj256ELb0ELb0ELb1EEEvllPKT_S5_PKT0_S8_PS3_S9_,comdat
.Lfunc_end161:
	.size	_ZN2at6native12_GLOBAL__N_135GammaBetaBackwardCUDAKernelTemplateIffLj32ELj32ELj256ELb0ELb0ELb1EEEvllPKT_S5_PKT0_S8_PS3_S9_, .Lfunc_end161-_ZN2at6native12_GLOBAL__N_135GammaBetaBackwardCUDAKernelTemplateIffLj32ELj32ELj256ELb0ELb0ELb1EEEvllPKT_S5_PKT0_S8_PS3_S9_
                                        ; -- End function
	.section	.AMDGPU.csdata,"",@progbits
; Kernel info:
; codeLenInByte = 6720
; NumSgprs: 46
; NumVgprs: 95
; NumAgprs: 0
; TotalNumVgprs: 95
; ScratchSize: 0
; MemoryBound: 0
; FloatMode: 240
; IeeeMode: 1
; LDSByteSize: 0 bytes/workgroup (compile time only)
; SGPRBlocks: 5
; VGPRBlocks: 11
; NumSGPRsForWavesPerEU: 46
; NumVGPRsForWavesPerEU: 95
; AccumOffset: 96
; Occupancy: 5
; WaveLimiterHint : 0
; COMPUTE_PGM_RSRC2:SCRATCH_EN: 0
; COMPUTE_PGM_RSRC2:USER_SGPR: 6
; COMPUTE_PGM_RSRC2:TRAP_HANDLER: 0
; COMPUTE_PGM_RSRC2:TGID_X_EN: 1
; COMPUTE_PGM_RSRC2:TGID_Y_EN: 1
; COMPUTE_PGM_RSRC2:TGID_Z_EN: 0
; COMPUTE_PGM_RSRC2:TIDIG_COMP_CNT: 1
; COMPUTE_PGM_RSRC3_GFX90A:ACCUM_OFFSET: 23
; COMPUTE_PGM_RSRC3_GFX90A:TG_SPLIT: 0
	.section	.text._ZN2at6native12_GLOBAL__N_118cuComputeGradInputIN3c104HalfEfLb1EEEvPKT_S7_llPKT0_SA_S7_PS5_,"axG",@progbits,_ZN2at6native12_GLOBAL__N_118cuComputeGradInputIN3c104HalfEfLb1EEEvPKT_S7_llPKT0_SA_S7_PS5_,comdat
	.globl	_ZN2at6native12_GLOBAL__N_118cuComputeGradInputIN3c104HalfEfLb1EEEvPKT_S7_llPKT0_SA_S7_PS5_ ; -- Begin function _ZN2at6native12_GLOBAL__N_118cuComputeGradInputIN3c104HalfEfLb1EEEvPKT_S7_llPKT0_SA_S7_PS5_
	.p2align	8
	.type	_ZN2at6native12_GLOBAL__N_118cuComputeGradInputIN3c104HalfEfLb1EEEvPKT_S7_llPKT0_SA_S7_PS5_,@function
_ZN2at6native12_GLOBAL__N_118cuComputeGradInputIN3c104HalfEfLb1EEEvPKT_S7_llPKT0_SA_S7_PS5_: ; @_ZN2at6native12_GLOBAL__N_118cuComputeGradInputIN3c104HalfEfLb1EEEvPKT_S7_llPKT0_SA_S7_PS5_
; %bb.0:
	s_load_dwordx4 s[16:19], s[4:5], 0x10
	s_mov_b32 s14, s7
	s_ashr_i32 s15, s7, 31
	s_waitcnt lgkmcnt(0)
	v_pk_mov_b32 v[2:3], s[16:17], s[16:17] op_sel:[0,1]
	v_cmp_ge_i64_e32 vcc, s[14:15], v[2:3]
	s_cbranch_vccnz .LBB162_49
; %bb.1:
	s_load_dword s10, s[4:5], 0x4c
	s_load_dwordx4 s[20:23], s[4:5], 0x30
	s_load_dword s33, s[4:5], 0x44
	s_load_dwordx4 s[24:27], s[4:5], 0x0
	s_load_dwordx2 s[28:29], s[4:5], 0x28
	s_waitcnt lgkmcnt(0)
	s_lshr_b32 s40, s10, 16
	s_and_b32 s41, s10, 0xffff
	s_cmp_lg_u64 s[20:21], 0
	s_cselect_b64 s[6:7], -1, 0
	s_xor_b32 s1, s18, s19
	s_flbit_i32 s0, s19
	s_ashr_i32 s1, s1, 31
	s_add_i32 s0, s0, -1
	s_add_i32 s1, s1, 32
	s_min_u32 s2, s0, s1
	s_lshl_b64 s[0:1], s[18:19], s2
	s_min_u32 s0, s0, 1
	s_or_b32 s0, s1, s0
	v_cvt_f32_i32_e32 v1, s0
	s_sub_i32 s0, 32, s2
	v_and_b32_e32 v12, 0x3ff, v0
	v_bfe_u32 v13, v0, 10, 10
	v_ldexp_f32 v15, v1, s0
	v_div_scale_f32 v1, s[0:1], v15, v15, 1.0
	v_rcp_f32_e32 v2, v1
	s_mul_i32 s42, s40, s41
	v_mad_u32_u24 v0, v13, s41, v12
	s_ashr_i32 s43, s42, 31
	v_fma_f32 v3, -v1, v2, 1.0
	v_fmac_f32_e32 v2, v3, v2
	v_div_scale_f32 v3, vcc, 1.0, v15, 1.0
	v_mul_f32_e32 v4, v3, v2
	v_fma_f32 v5, -v1, v4, v3
	v_fmac_f32_e32 v4, v5, v2
	v_fma_f32 v1, -v1, v4, v3
	v_div_fmas_f32 v1, v1, v2, v4
	v_add_u32_e32 v2, s42, v0
	v_ashrrev_i32_e32 v3, 31, v2
	v_mov_b32_e32 v4, s43
	v_subrev_co_u32_e32 v2, vcc, s42, v2
	v_mbcnt_lo_u32_b32 v8, -1, 0
	v_subb_co_u32_e32 v3, vcc, v3, v4, vcc
	v_cndmask_b32_e64 v4, 0, 1, s[6:7]
	v_cmp_gt_i64_e64 s[6:7], s[18:19], 0
	v_mbcnt_hi_u32_b32 v18, -1, v8
	v_div_fixup_f32 v17, v1, v15, 1.0
	v_mov_b32_e32 v1, 0
	v_cndmask_b32_e64 v5, 0, 1, s[6:7]
	v_and_b32_e32 v8, 64, v18
	v_lshl_add_u32 v14, v0, 3, 0
	v_cmp_eq_u32_e64 s[0:1], 0, v13
	v_cmp_ne_u32_e64 s[2:3], 0, v13
	v_lshl_add_u32 v16, v12, 3, 0
	v_cmp_gt_i64_e64 s[4:5], s[18:19], v[0:1]
	v_cmp_ne_u32_e64 s[6:7], 1, v4
	v_cmp_ne_u32_e64 s[8:9], 1, v5
	v_pk_mov_b32 v[4:5], s[18:19], s[18:19] op_sel:[0,1]
	v_pk_mov_b32 v[6:7], s[18:19], s[18:19] op_sel:[0,1]
	v_cmp_gt_u16_e64 s[30:31], s10, 1
	v_add_u32_e32 v19, 64, v8
	v_cmp_gt_u16_e64 s[34:35], s40, 1
	s_branch .LBB162_4
.LBB162_2:                              ;   in Loop: Header=BB162_4 Depth=1
	s_or_b64 exec, exec, s[12:13]
.LBB162_3:                              ;   in Loop: Header=BB162_4 Depth=1
	s_add_i32 s14, s33, s14
	s_ashr_i32 s15, s14, 31
	v_pk_mov_b32 v[8:9], s[16:17], s[16:17] op_sel:[0,1]
	v_cmp_ge_i64_e32 vcc, s[14:15], v[8:9]
	s_barrier
	s_cbranch_vccnz .LBB162_49
.LBB162_4:                              ; =>This Loop Header: Depth=1
                                        ;     Child Loop BB162_8 Depth 2
                                        ;     Child Loop BB162_20 Depth 2
	;; [unrolled: 1-line block ×6, first 2 shown]
	s_mul_i32 s10, s14, s19
	s_mul_hi_u32 s11, s14, s18
	s_add_i32 s10, s11, s10
	s_mul_i32 s11, s15, s18
	s_add_i32 s11, s10, s11
	s_lshl_b64 s[12:13], s[14:15], 2
	s_add_u32 s12, s28, s12
	s_mul_i32 s10, s14, s18
	s_addc_u32 s13, s29, s13
	s_load_dword s15, s[12:13], 0x0
	s_lshl_b64 s[36:37], s[10:11], 1
	s_add_u32 s44, s26, s36
	s_addc_u32 s45, s27, s37
	s_add_u32 s46, s24, s36
	s_addc_u32 s47, s25, s37
	s_and_b64 vcc, exec, s[6:7]
	s_cbranch_vccnz .LBB162_14
; %bb.5:                                ;   in Loop: Header=BB162_4 Depth=1
	s_and_b64 vcc, exec, s[8:9]
	s_cbranch_vccnz .LBB162_15
; %bb.6:                                ;   in Loop: Header=BB162_4 Depth=1
	s_mov_b32 s12, 0
	v_mov_b32_e32 v20, 0
	s_branch .LBB162_8
.LBB162_7:                              ;   in Loop: Header=BB162_8 Depth=2
	s_or_b64 exec, exec, s[10:11]
	s_waitcnt vmcnt(0)
	v_cvt_f32_f16_e32 v8, v10
	v_cvt_f32_f16_e32 v9, v21
	;; [unrolled: 1-line block ×3, first 2 shown]
	s_add_i32 s12, s12, s42
	s_ashr_i32 s13, s12, 31
	v_mul_f32_e32 v8, v8, v9
	v_mul_f32_e32 v8, v8, v10
	v_cmp_ge_i64_e32 vcc, s[12:13], v[4:5]
	s_waitcnt lgkmcnt(0)
	v_fmac_f32_e32 v20, s15, v8
	s_cbranch_vccnz .LBB162_16
.LBB162_8:                              ;   Parent Loop BB162_4 Depth=1
                                        ; =>  This Inner Loop Header: Depth=2
	v_add_u32_e32 v8, s12, v0
	v_ashrrev_i32_e32 v9, 31, v8
	v_cmp_gt_i64_e32 vcc, s[18:19], v[8:9]
	v_lshlrev_b64 v[8:9], 1, v[8:9]
	v_mov_b32_e32 v10, 0
	s_and_saveexec_b64 s[38:39], vcc
	s_cbranch_execz .LBB162_10
; %bb.9:                                ;   in Loop: Header=BB162_8 Depth=2
	v_mov_b32_e32 v11, s21
	v_add_co_u32_e64 v10, s[10:11], s20, v8
	v_addc_co_u32_e64 v11, s[10:11], v11, v9, s[10:11]
	global_load_ushort v10, v[10:11], off
.LBB162_10:                             ;   in Loop: Header=BB162_8 Depth=2
	s_or_b64 exec, exec, s[38:39]
	v_mov_b32_e32 v21, 0
	v_mov_b32_e32 v11, 0
	s_and_saveexec_b64 s[38:39], vcc
	s_cbranch_execz .LBB162_12
; %bb.11:                               ;   in Loop: Header=BB162_8 Depth=2
	v_mov_b32_e32 v11, s45
	v_add_co_u32_e64 v22, s[10:11], s44, v8
	v_addc_co_u32_e64 v23, s[10:11], v11, v9, s[10:11]
	global_load_ushort v11, v[22:23], off
.LBB162_12:                             ;   in Loop: Header=BB162_8 Depth=2
	s_or_b64 exec, exec, s[38:39]
	s_and_saveexec_b64 s[10:11], vcc
	s_cbranch_execz .LBB162_7
; %bb.13:                               ;   in Loop: Header=BB162_8 Depth=2
	v_mov_b32_e32 v21, s47
	v_add_co_u32_e32 v8, vcc, s46, v8
	v_addc_co_u32_e32 v9, vcc, v21, v9, vcc
	global_load_ushort v21, v[8:9], off
	s_branch .LBB162_7
.LBB162_14:                             ;   in Loop: Header=BB162_4 Depth=1
                                        ; implicit-def: $vgpr20
	s_branch .LBB162_17
.LBB162_15:                             ;   in Loop: Header=BB162_4 Depth=1
	v_mov_b32_e32 v20, 0
.LBB162_16:                             ;   in Loop: Header=BB162_4 Depth=1
	s_cbranch_execnz .LBB162_25
.LBB162_17:                             ;   in Loop: Header=BB162_4 Depth=1
	s_and_b64 vcc, exec, s[8:9]
	s_cbranch_vccnz .LBB162_24
; %bb.18:                               ;   in Loop: Header=BB162_4 Depth=1
	s_mov_b32 s12, 0
	v_mov_b32_e32 v20, 0
	s_branch .LBB162_20
.LBB162_19:                             ;   in Loop: Header=BB162_20 Depth=2
	s_or_b64 exec, exec, s[10:11]
	s_waitcnt vmcnt(0)
	v_cvt_f32_f16_e32 v8, v10
	v_cvt_f32_f16_e32 v9, v11
	s_add_i32 s12, s12, s42
	s_ashr_i32 s13, s12, 31
	v_cmp_ge_i64_e32 vcc, s[12:13], v[6:7]
	v_mul_f32_e32 v8, v8, v9
	s_waitcnt lgkmcnt(0)
	v_fmac_f32_e32 v20, s15, v8
	s_cbranch_vccnz .LBB162_25
.LBB162_20:                             ;   Parent Loop BB162_4 Depth=1
                                        ; =>  This Inner Loop Header: Depth=2
	v_add_u32_e32 v8, s12, v0
	v_ashrrev_i32_e32 v9, 31, v8
	v_cmp_gt_i64_e32 vcc, s[18:19], v[8:9]
	v_lshlrev_b64 v[8:9], 1, v[8:9]
	v_mov_b32_e32 v10, 0
	s_and_saveexec_b64 s[38:39], vcc
	s_cbranch_execz .LBB162_22
; %bb.21:                               ;   in Loop: Header=BB162_20 Depth=2
	v_mov_b32_e32 v11, s45
	v_add_co_u32_e64 v10, s[10:11], s44, v8
	v_addc_co_u32_e64 v11, s[10:11], v11, v9, s[10:11]
	global_load_ushort v10, v[10:11], off
.LBB162_22:                             ;   in Loop: Header=BB162_20 Depth=2
	s_or_b64 exec, exec, s[38:39]
	v_mov_b32_e32 v11, 0
	s_and_saveexec_b64 s[10:11], vcc
	s_cbranch_execz .LBB162_19
; %bb.23:                               ;   in Loop: Header=BB162_20 Depth=2
	v_mov_b32_e32 v11, s47
	v_add_co_u32_e32 v8, vcc, s46, v8
	v_addc_co_u32_e32 v9, vcc, v11, v9, vcc
	global_load_ushort v11, v[8:9], off
	s_branch .LBB162_19
.LBB162_24:                             ;   in Loop: Header=BB162_4 Depth=1
	v_mov_b32_e32 v20, 0
.LBB162_25:                             ;   in Loop: Header=BB162_4 Depth=1
	s_andn2_b64 vcc, exec, s[30:31]
	s_cbranch_vccnz .LBB162_28
; %bb.26:                               ;   in Loop: Header=BB162_4 Depth=1
	s_mov_b32 s10, s41
.LBB162_27:                             ;   Parent Loop BB162_4 Depth=1
                                        ; =>  This Inner Loop Header: Depth=2
	s_lshr_b32 s11, s10, 1
	v_xor_b32_e32 v8, s11, v18
	v_cmp_lt_i32_e32 vcc, v8, v19
	v_cndmask_b32_e32 v8, v18, v8, vcc
	v_lshlrev_b32_e32 v8, 2, v8
	ds_bpermute_b32 v8, v8, v20
	s_cmp_lt_u32 s10, 4
	s_mov_b32 s10, s11
	s_waitcnt lgkmcnt(0)
	v_add_f32_e32 v20, v20, v8
	s_cbranch_scc0 .LBB162_27
.LBB162_28:                             ;   in Loop: Header=BB162_4 Depth=1
	s_andn2_b64 vcc, exec, s[34:35]
	s_mov_b32 s38, s40
	s_cbranch_vccnz .LBB162_40
.LBB162_29:                             ;   Parent Loop BB162_4 Depth=1
                                        ; =>  This Inner Loop Header: Depth=2
	s_lshr_b32 s39, s38, 1
	s_and_b32 s12, s38, 0xfffe
	v_cmp_le_u32_e64 s[10:11], s39, v13
	v_cmp_gt_u32_e64 s[12:13], s12, v13
	v_cmp_gt_u32_e32 vcc, s39, v13
	s_and_b64 s[12:13], s[10:11], s[12:13]
	s_and_saveexec_b64 s[10:11], s[12:13]
	s_cbranch_execz .LBB162_31
; %bb.30:                               ;   in Loop: Header=BB162_29 Depth=2
	v_subrev_u32_e32 v8, s39, v13
	v_mad_i32_i24 v8, v8, s41, v12
	v_lshl_add_u32 v8, v8, 3, 0
	ds_write_b32 v8, v20 offset:4
.LBB162_31:                             ;   in Loop: Header=BB162_29 Depth=2
	s_or_b64 exec, exec, s[10:11]
	s_waitcnt lgkmcnt(0)
	s_barrier
	s_and_saveexec_b64 s[10:11], vcc
	s_cbranch_execz .LBB162_33
; %bb.32:                               ;   in Loop: Header=BB162_29 Depth=2
	ds_read_b32 v8, v14 offset:4
	s_waitcnt lgkmcnt(0)
	v_add_f32_e32 v20, v20, v8
.LBB162_33:                             ;   in Loop: Header=BB162_29 Depth=2
	s_or_b64 exec, exec, s[10:11]
	s_cmp_lt_u32 s38, 4
	s_barrier
	s_cbranch_scc1 .LBB162_35
; %bb.34:                               ;   in Loop: Header=BB162_29 Depth=2
	s_mov_b32 s38, s39
	s_branch .LBB162_29
.LBB162_35:                             ;   in Loop: Header=BB162_4 Depth=1
	s_and_saveexec_b64 s[10:11], s[0:1]
	s_cbranch_execz .LBB162_37
; %bb.36:                               ;   in Loop: Header=BB162_4 Depth=1
	ds_write_b32 v16, v20 offset:4
.LBB162_37:                             ;   in Loop: Header=BB162_4 Depth=1
	s_or_b64 exec, exec, s[10:11]
	s_waitcnt lgkmcnt(0)
	s_barrier
	s_and_saveexec_b64 s[10:11], s[2:3]
	s_cbranch_execz .LBB162_39
; %bb.38:                               ;   in Loop: Header=BB162_4 Depth=1
	ds_read_b32 v20, v16 offset:4
.LBB162_39:                             ;   in Loop: Header=BB162_4 Depth=1
	s_or_b64 exec, exec, s[10:11]
.LBB162_40:                             ;   in Loop: Header=BB162_4 Depth=1
	s_add_u32 s38, s22, s36
	s_addc_u32 s39, s23, s37
	s_and_b64 vcc, exec, s[6:7]
	s_waitcnt lgkmcnt(0)
	v_mul_f32_e32 v21, s15, v17
	s_cbranch_vccnz .LBB162_45
; %bb.41:                               ;   in Loop: Header=BB162_4 Depth=1
	s_and_saveexec_b64 s[12:13], s[4:5]
	s_cbranch_execz .LBB162_44
; %bb.42:                               ;   in Loop: Header=BB162_4 Depth=1
	s_mov_b64 s[36:37], 0
	v_pk_mov_b32 v[8:9], v[2:3], v[2:3] op_sel:[0,1]
	v_pk_mov_b32 v[10:11], v[0:1], v[0:1] op_sel:[0,1]
.LBB162_43:                             ;   Parent Loop BB162_4 Depth=1
                                        ; =>  This Inner Loop Header: Depth=2
	v_lshlrev_b64 v[10:11], 1, v[10:11]
	v_mov_b32_e32 v23, s45
	v_add_co_u32_e32 v22, vcc, s44, v10
	v_addc_co_u32_e32 v23, vcc, v23, v11, vcc
	v_mov_b32_e32 v25, s47
	v_add_co_u32_e32 v24, vcc, s46, v10
	v_addc_co_u32_e32 v25, vcc, v25, v11, vcc
	global_load_ushort v27, v[22:23], off
	global_load_ushort v28, v[24:25], off
	v_mov_b32_e32 v26, s21
	v_add_co_u32_e32 v22, vcc, s20, v10
	v_addc_co_u32_e32 v23, vcc, v26, v11, vcc
	global_load_ushort v24, v[22:23], off
	v_mov_b32_e32 v25, s43
	v_add_co_u32_e32 v8, vcc, s42, v8
	v_addc_co_u32_e32 v9, vcc, v9, v25, vcc
	v_mov_b32_e32 v23, s39
	v_add_co_u32_e64 v22, s[10:11], s38, v10
	v_cmp_le_i64_e32 vcc, s[18:19], v[8:9]
	v_addc_co_u32_e64 v23, s[10:11], v23, v11, s[10:11]
	v_ashrrev_i32_e32 v11, 31, v8
	v_mov_b32_e32 v10, v8
	s_or_b64 s[36:37], vcc, s[36:37]
	s_waitcnt vmcnt(2)
	v_cvt_f32_f16_e32 v25, v27
	s_waitcnt vmcnt(1)
	v_cvt_f32_f16_e32 v26, v28
	v_mul_f32_e32 v25, s15, v25
	v_mul_f32_e32 v26, v15, v26
	;; [unrolled: 1-line block ×3, first 2 shown]
	s_waitcnt vmcnt(0)
	v_fma_mix_f32 v24, v26, v24, -v25 op_sel_hi:[0,1,0]
	v_fma_mixlo_f16 v24, v21, v24, 0
	global_store_short v[22:23], v24, off
	s_andn2_b64 exec, exec, s[36:37]
	s_cbranch_execnz .LBB162_43
.LBB162_44:                             ;   in Loop: Header=BB162_4 Depth=1
	s_or_b64 exec, exec, s[12:13]
	s_cbranch_execnz .LBB162_3
	s_branch .LBB162_46
.LBB162_45:                             ;   in Loop: Header=BB162_4 Depth=1
.LBB162_46:                             ;   in Loop: Header=BB162_4 Depth=1
	s_and_saveexec_b64 s[12:13], s[4:5]
	s_cbranch_execz .LBB162_2
; %bb.47:                               ;   in Loop: Header=BB162_4 Depth=1
	s_mov_b64 s[36:37], 0
	v_pk_mov_b32 v[8:9], v[2:3], v[2:3] op_sel:[0,1]
	v_pk_mov_b32 v[10:11], v[0:1], v[0:1] op_sel:[0,1]
.LBB162_48:                             ;   Parent Loop BB162_4 Depth=1
                                        ; =>  This Inner Loop Header: Depth=2
	v_lshlrev_b64 v[10:11], 1, v[10:11]
	v_mov_b32_e32 v23, s45
	v_add_co_u32_e32 v22, vcc, s44, v10
	v_addc_co_u32_e32 v23, vcc, v23, v11, vcc
	global_load_ushort v24, v[22:23], off
	v_mov_b32_e32 v23, s47
	v_add_co_u32_e32 v22, vcc, s46, v10
	v_addc_co_u32_e32 v23, vcc, v23, v11, vcc
	global_load_ushort v25, v[22:23], off
	v_mov_b32_e32 v26, s43
	v_add_co_u32_e32 v8, vcc, s42, v8
	v_addc_co_u32_e32 v9, vcc, v9, v26, vcc
	v_mov_b32_e32 v23, s39
	v_add_co_u32_e64 v22, s[10:11], s38, v10
	v_cmp_le_i64_e32 vcc, s[18:19], v[8:9]
	v_addc_co_u32_e64 v23, s[10:11], v23, v11, s[10:11]
	v_ashrrev_i32_e32 v11, 31, v8
	v_mov_b32_e32 v10, v8
	s_or_b64 s[36:37], vcc, s[36:37]
	s_waitcnt vmcnt(1)
	v_cvt_f32_f16_e32 v24, v24
	v_mul_f32_e32 v24, s15, v24
	v_mul_f32_e32 v24, v20, v24
	s_waitcnt vmcnt(0)
	v_fma_mix_f32 v24, v15, v25, -v24 op_sel_hi:[0,1,0]
	v_fma_mixlo_f16 v24, v21, v24, 0
	global_store_short v[22:23], v24, off
	s_andn2_b64 exec, exec, s[36:37]
	s_cbranch_execnz .LBB162_48
	s_branch .LBB162_2
.LBB162_49:
	s_endpgm
	.section	.rodata,"a",@progbits
	.p2align	6, 0x0
	.amdhsa_kernel _ZN2at6native12_GLOBAL__N_118cuComputeGradInputIN3c104HalfEfLb1EEEvPKT_S7_llPKT0_SA_S7_PS5_
		.amdhsa_group_segment_fixed_size 0
		.amdhsa_private_segment_fixed_size 0
		.amdhsa_kernarg_size 320
		.amdhsa_user_sgpr_count 6
		.amdhsa_user_sgpr_private_segment_buffer 1
		.amdhsa_user_sgpr_dispatch_ptr 0
		.amdhsa_user_sgpr_queue_ptr 0
		.amdhsa_user_sgpr_kernarg_segment_ptr 1
		.amdhsa_user_sgpr_dispatch_id 0
		.amdhsa_user_sgpr_flat_scratch_init 0
		.amdhsa_user_sgpr_kernarg_preload_length 0
		.amdhsa_user_sgpr_kernarg_preload_offset 0
		.amdhsa_user_sgpr_private_segment_size 0
		.amdhsa_uses_dynamic_stack 0
		.amdhsa_system_sgpr_private_segment_wavefront_offset 0
		.amdhsa_system_sgpr_workgroup_id_x 1
		.amdhsa_system_sgpr_workgroup_id_y 1
		.amdhsa_system_sgpr_workgroup_id_z 0
		.amdhsa_system_sgpr_workgroup_info 0
		.amdhsa_system_vgpr_workitem_id 1
		.amdhsa_next_free_vgpr 29
		.amdhsa_next_free_sgpr 48
		.amdhsa_accum_offset 32
		.amdhsa_reserve_vcc 1
		.amdhsa_reserve_flat_scratch 0
		.amdhsa_float_round_mode_32 0
		.amdhsa_float_round_mode_16_64 0
		.amdhsa_float_denorm_mode_32 3
		.amdhsa_float_denorm_mode_16_64 3
		.amdhsa_dx10_clamp 1
		.amdhsa_ieee_mode 1
		.amdhsa_fp16_overflow 0
		.amdhsa_tg_split 0
		.amdhsa_exception_fp_ieee_invalid_op 0
		.amdhsa_exception_fp_denorm_src 0
		.amdhsa_exception_fp_ieee_div_zero 0
		.amdhsa_exception_fp_ieee_overflow 0
		.amdhsa_exception_fp_ieee_underflow 0
		.amdhsa_exception_fp_ieee_inexact 0
		.amdhsa_exception_int_div_zero 0
	.end_amdhsa_kernel
	.section	.text._ZN2at6native12_GLOBAL__N_118cuComputeGradInputIN3c104HalfEfLb1EEEvPKT_S7_llPKT0_SA_S7_PS5_,"axG",@progbits,_ZN2at6native12_GLOBAL__N_118cuComputeGradInputIN3c104HalfEfLb1EEEvPKT_S7_llPKT0_SA_S7_PS5_,comdat
.Lfunc_end162:
	.size	_ZN2at6native12_GLOBAL__N_118cuComputeGradInputIN3c104HalfEfLb1EEEvPKT_S7_llPKT0_SA_S7_PS5_, .Lfunc_end162-_ZN2at6native12_GLOBAL__N_118cuComputeGradInputIN3c104HalfEfLb1EEEvPKT_S7_llPKT0_SA_S7_PS5_
                                        ; -- End function
	.section	.AMDGPU.csdata,"",@progbits
; Kernel info:
; codeLenInByte = 1600
; NumSgprs: 52
; NumVgprs: 29
; NumAgprs: 0
; TotalNumVgprs: 29
; ScratchSize: 0
; MemoryBound: 0
; FloatMode: 240
; IeeeMode: 1
; LDSByteSize: 0 bytes/workgroup (compile time only)
; SGPRBlocks: 6
; VGPRBlocks: 3
; NumSGPRsForWavesPerEU: 52
; NumVGPRsForWavesPerEU: 29
; AccumOffset: 32
; Occupancy: 8
; WaveLimiterHint : 0
; COMPUTE_PGM_RSRC2:SCRATCH_EN: 0
; COMPUTE_PGM_RSRC2:USER_SGPR: 6
; COMPUTE_PGM_RSRC2:TRAP_HANDLER: 0
; COMPUTE_PGM_RSRC2:TGID_X_EN: 1
; COMPUTE_PGM_RSRC2:TGID_Y_EN: 1
; COMPUTE_PGM_RSRC2:TGID_Z_EN: 0
; COMPUTE_PGM_RSRC2:TIDIG_COMP_CNT: 1
; COMPUTE_PGM_RSRC3_GFX90A:ACCUM_OFFSET: 7
; COMPUTE_PGM_RSRC3_GFX90A:TG_SPLIT: 0
	.section	.text._ZN2at6native12_GLOBAL__N_128layer_norm_grad_input_kernelIN3c104HalfEfLb1EEEvPKT_S7_PKT0_SA_S7_PS5_i,"axG",@progbits,_ZN2at6native12_GLOBAL__N_128layer_norm_grad_input_kernelIN3c104HalfEfLb1EEEvPKT_S7_PKT0_SA_S7_PS5_i,comdat
	.globl	_ZN2at6native12_GLOBAL__N_128layer_norm_grad_input_kernelIN3c104HalfEfLb1EEEvPKT_S7_PKT0_SA_S7_PS5_i ; -- Begin function _ZN2at6native12_GLOBAL__N_128layer_norm_grad_input_kernelIN3c104HalfEfLb1EEEvPKT_S7_PKT0_SA_S7_PS5_i
	.p2align	8
	.type	_ZN2at6native12_GLOBAL__N_128layer_norm_grad_input_kernelIN3c104HalfEfLb1EEEvPKT_S7_PKT0_SA_S7_PS5_i,@function
_ZN2at6native12_GLOBAL__N_128layer_norm_grad_input_kernelIN3c104HalfEfLb1EEEvPKT_S7_PKT0_SA_S7_PS5_i: ; @_ZN2at6native12_GLOBAL__N_128layer_norm_grad_input_kernelIN3c104HalfEfLb1EEEvPKT_S7_PKT0_SA_S7_PS5_i
; %bb.0:
	s_load_dword s18, s[4:5], 0x30
	s_load_dwordx4 s[8:11], s[4:5], 0x0
	s_load_dwordx4 s[0:3], s[4:5], 0x18
	s_mov_b32 s7, 0
	v_lshlrev_b32_e32 v2, 2, v0
	s_waitcnt lgkmcnt(0)
	s_ashr_i32 s12, s18, 31
	s_mul_hi_u32 s13, s18, s6
	s_mul_i32 s12, s12, s6
	s_add_i32 s13, s13, s12
	s_mul_i32 s12, s18, s6
	s_lshl_b64 s[6:7], s[6:7], 2
	s_add_u32 s0, s0, s6
	s_addc_u32 s1, s1, s7
	s_load_dword s19, s[0:1], 0x0
	s_lshl_b64 s[6:7], s[12:13], 1
	s_add_u32 s20, s10, s6
	s_addc_u32 s22, s11, s7
	s_add_u32 s21, s8, s6
	v_or_b32_e32 v1, 3, v2
	s_addc_u32 s23, s9, s7
	v_cmp_gt_u32_e32 vcc, s18, v1
	v_mov_b32_e32 v1, 0
	s_and_saveexec_b64 s[12:13], vcc
	s_cbranch_execz .LBB163_12
; %bb.1:
	s_load_dword s0, s[4:5], 0x44
	s_cmp_lg_u64 s[2:3], 0
	s_cselect_b64 s[16:17], -1, 0
	v_cndmask_b32_e64 v1, 0, 1, s[16:17]
	s_mov_b64 s[14:15], 0
	s_waitcnt lgkmcnt(0)
	s_and_b32 s0, s0, 0xffff
	s_lshl_b32 s24, s0, 2
	s_add_u32 s25, s2, 2
	s_addc_u32 s26, s3, 0
	s_add_u32 s27, s2, 4
	s_addc_u32 s28, s3, 0
	s_add_u32 s29, s2, 6
	v_mov_b32_e32 v3, 0
	s_addc_u32 s30, s3, 0
	v_mov_b32_e32 v10, s22
	v_mov_b32_e32 v11, s23
	v_cmp_ne_u32_e64 s[0:1], 1, v1
	v_mov_b32_e32 v1, 0
	s_branch .LBB163_3
.LBB163_2:                              ;   in Loop: Header=BB163_3 Depth=1
	global_load_ushort v8, v[6:7], off offset:6
	global_load_ushort v9, v[4:5], off offset:6
	s_waitcnt vmcnt(6)
	v_cvt_f32_f16_e32 v5, v15
	v_cvt_f32_f16_e32 v4, v14
	s_waitcnt vmcnt(4)
	v_cvt_f32_f16_e32 v7, v19
	v_cvt_f32_f16_e32 v6, v18
	v_mul_f32_e32 v5, v13, v5
	s_waitcnt vmcnt(2)
	v_cvt_f32_f16_e32 v15, v21
	v_mul_f32_e32 v4, v5, v4
	v_cvt_f32_f16_e32 v14, v20
	v_mul_f32_e32 v7, v12, v7
	v_fmac_f32_e32 v1, s19, v4
	v_mul_f32_e32 v5, v7, v6
	v_add_u32_e32 v2, s24, v2
	v_mul_f32_e32 v12, v17, v15
	v_add_u32_e32 v18, 3, v2
	v_mul_f32_e32 v6, v12, v14
	v_fmac_f32_e32 v1, s19, v5
	v_cmp_le_u32_e32 vcc, s18, v18
	v_fmac_f32_e32 v1, s19, v6
	s_or_b64 s[14:15], vcc, s[14:15]
	s_waitcnt vmcnt(1)
	v_cvt_f32_f16_e32 v4, v8
	s_waitcnt vmcnt(0)
	v_cvt_f32_f16_e32 v7, v9
	v_mul_f32_e32 v4, v16, v4
	v_mul_f32_e32 v4, v4, v7
	v_fmac_f32_e32 v1, s19, v4
	s_andn2_b64 exec, exec, s[14:15]
	s_cbranch_execz .LBB163_11
.LBB163_3:                              ; =>This Inner Loop Header: Depth=1
	s_and_b64 vcc, exec, s[16:17]
	v_mov_b32_e32 v12, 1.0
	v_lshlrev_b64 v[8:9], 1, v[2:3]
	v_mov_b32_e32 v13, 1.0
	s_cbranch_vccz .LBB163_5
; %bb.4:                                ;   in Loop: Header=BB163_3 Depth=1
	v_mov_b32_e32 v5, s3
	v_add_co_u32_e32 v4, vcc, s2, v8
	v_addc_co_u32_e32 v5, vcc, v5, v9, vcc
	global_load_ushort v4, v[4:5], off
	s_waitcnt vmcnt(0)
	v_cvt_f32_f16_e32 v13, v4
.LBB163_5:                              ;   in Loop: Header=BB163_3 Depth=1
	v_add_co_u32_e32 v4, vcc, s20, v8
	v_addc_co_u32_e32 v5, vcc, v10, v9, vcc
	v_add_co_u32_e32 v6, vcc, s21, v8
	v_addc_co_u32_e32 v7, vcc, v11, v9, vcc
	global_load_ushort v14, v[4:5], off
	global_load_ushort v15, v[6:7], off
	s_and_b64 vcc, exec, s[0:1]
	s_cbranch_vccnz .LBB163_7
; %bb.6:                                ;   in Loop: Header=BB163_3 Depth=1
	v_mov_b32_e32 v12, s26
	v_add_co_u32_e32 v16, vcc, s25, v8
	v_addc_co_u32_e32 v17, vcc, v12, v9, vcc
	global_load_ushort v12, v[16:17], off
	s_waitcnt vmcnt(0)
	v_cvt_f32_f16_e32 v12, v12
.LBB163_7:                              ;   in Loop: Header=BB163_3 Depth=1
	global_load_ushort v18, v[4:5], off offset:2
	global_load_ushort v19, v[6:7], off offset:2
	s_and_b64 vcc, exec, s[0:1]
	v_mov_b32_e32 v16, 1.0
	v_mov_b32_e32 v17, 1.0
	s_cbranch_vccnz .LBB163_9
; %bb.8:                                ;   in Loop: Header=BB163_3 Depth=1
	v_mov_b32_e32 v17, s28
	v_add_co_u32_e32 v20, vcc, s27, v8
	v_addc_co_u32_e32 v21, vcc, v17, v9, vcc
	global_load_ushort v17, v[20:21], off
	s_waitcnt vmcnt(0)
	v_cvt_f32_f16_e32 v17, v17
.LBB163_9:                              ;   in Loop: Header=BB163_3 Depth=1
	global_load_ushort v20, v[4:5], off offset:4
	global_load_ushort v21, v[6:7], off offset:4
	s_and_b64 vcc, exec, s[0:1]
	s_cbranch_vccnz .LBB163_2
; %bb.10:                               ;   in Loop: Header=BB163_3 Depth=1
	v_mov_b32_e32 v16, s30
	v_add_co_u32_e32 v8, vcc, s29, v8
	v_addc_co_u32_e32 v9, vcc, v16, v9, vcc
	global_load_ushort v8, v[8:9], off
	s_waitcnt vmcnt(0)
	v_cvt_f32_f16_e32 v16, v8
	s_branch .LBB163_2
.LBB163_11:
	s_or_b64 exec, exec, s[14:15]
.LBB163_12:
	s_or_b64 exec, exec, s[12:13]
	v_cmp_gt_u32_e32 vcc, s18, v2
	s_and_saveexec_b64 s[12:13], vcc
	s_cbranch_execz .LBB163_19
; %bb.13:
	v_mov_b32_e32 v3, 0
	v_lshlrev_b64 v[6:7], 1, v[2:3]
	v_mov_b32_e32 v3, s3
	v_add_co_u32_e32 v4, vcc, s2, v6
	v_addc_co_u32_e32 v5, vcc, v3, v7, vcc
	v_mov_b32_e32 v3, s7
	v_add_co_u32_e32 v8, vcc, s6, v6
	v_addc_co_u32_e32 v3, vcc, v3, v7, vcc
	v_mov_b32_e32 v7, s11
	v_add_co_u32_e32 v6, vcc, s10, v8
	s_cmp_lg_u64 s[2:3], 0
	v_addc_co_u32_e32 v7, vcc, v7, v3, vcc
	v_mov_b32_e32 v9, s9
	v_add_co_u32_e32 v8, vcc, s8, v8
	s_cselect_b64 s[0:1], -1, 0
	v_addc_co_u32_e32 v9, vcc, v9, v3, vcc
	v_cndmask_b32_e64 v3, 0, 1, s[0:1]
	s_mov_b64 s[14:15], 0
	v_cmp_ne_u32_e64 s[0:1], 1, v3
	s_branch .LBB163_16
.LBB163_14:                             ;   in Loop: Header=BB163_16 Depth=1
	global_load_ushort v3, v[4:5], off
	s_waitcnt vmcnt(0)
	v_cvt_f32_f16_e32 v3, v3
.LBB163_15:                             ;   in Loop: Header=BB163_16 Depth=1
	global_load_ushort v10, v[8:9], off
	global_load_ushort v11, v[6:7], off
	v_add_co_u32_e32 v4, vcc, 2, v4
	v_addc_co_u32_e32 v5, vcc, 0, v5, vcc
	v_add_co_u32_e32 v6, vcc, 2, v6
	v_add_u32_e32 v2, 1, v2
	v_addc_co_u32_e32 v7, vcc, 0, v7, vcc
	v_cmp_le_u32_e32 vcc, s18, v2
	s_or_b64 s[14:15], vcc, s[14:15]
	v_add_co_u32_e32 v8, vcc, 2, v8
	v_addc_co_u32_e32 v9, vcc, 0, v9, vcc
	s_waitcnt vmcnt(1)
	v_cvt_f32_f16_e32 v10, v10
	s_waitcnt vmcnt(0)
	v_cvt_f32_f16_e32 v11, v11
	v_mul_f32_e32 v3, v3, v10
	v_mul_f32_e32 v3, v3, v11
	s_waitcnt lgkmcnt(0)
	v_fmac_f32_e32 v1, s19, v3
	s_andn2_b64 exec, exec, s[14:15]
	s_cbranch_execz .LBB163_18
.LBB163_16:                             ; =>This Inner Loop Header: Depth=1
	s_and_b64 vcc, exec, s[0:1]
	s_cbranch_vccz .LBB163_14
; %bb.17:                               ;   in Loop: Header=BB163_16 Depth=1
	v_mov_b32_e32 v3, 1.0
	s_branch .LBB163_15
.LBB163_18:
	s_or_b64 exec, exec, s[14:15]
.LBB163_19:
	s_or_b64 exec, exec, s[12:13]
	v_mbcnt_lo_u32_b32 v2, -1, 0
	v_mbcnt_hi_u32_b32 v6, -1, v2
	v_and_b32_e32 v9, 63, v6
	v_cmp_gt_u32_e32 vcc, 32, v9
	v_cndmask_b32_e64 v2, 0, 1, vcc
	v_lshlrev_b32_e32 v2, 5, v2
	v_add_lshl_u32 v2, v2, v6, 2
	ds_bpermute_b32 v3, v2, v1
	v_cmp_gt_u32_e32 vcc, 48, v9
	v_cndmask_b32_e64 v4, 0, 1, vcc
	v_lshlrev_b32_e32 v4, 4, v4
	v_cmp_gt_u32_e32 vcc, 56, v9
	s_waitcnt lgkmcnt(0)
	v_add_f32_e32 v3, v1, v3
	v_add_lshl_u32 v1, v4, v6, 2
	ds_bpermute_b32 v4, v1, v3
	v_cndmask_b32_e64 v5, 0, 1, vcc
	v_lshlrev_b32_e32 v5, 3, v5
	v_cmp_gt_u32_e32 vcc, 60, v9
	v_cndmask_b32_e64 v7, 0, 1, vcc
	s_waitcnt lgkmcnt(0)
	v_add_f32_e32 v4, v3, v4
	v_add_lshl_u32 v3, v5, v6, 2
	ds_bpermute_b32 v5, v3, v4
	v_lshlrev_b32_e32 v7, 2, v7
	v_cmp_gt_u32_e32 vcc, 62, v9
	v_cndmask_b32_e64 v8, 0, 1, vcc
	v_lshlrev_b32_e32 v8, 1, v8
	s_waitcnt lgkmcnt(0)
	v_add_f32_e32 v5, v4, v5
	v_add_lshl_u32 v4, v7, v6, 2
	ds_bpermute_b32 v7, v4, v5
	v_cmp_ne_u32_e32 vcc, 63, v9
	s_waitcnt lgkmcnt(0)
	s_barrier
	v_add_f32_e32 v10, v5, v7
	v_add_lshl_u32 v5, v8, v6, 2
	ds_bpermute_b32 v8, v5, v10
	v_addc_co_u32_e32 v6, vcc, 0, v6, vcc
	v_lshlrev_b32_e32 v6, 2, v6
	v_and_b32_e32 v7, 63, v0
	s_waitcnt lgkmcnt(0)
	v_add_f32_e32 v8, v10, v8
	ds_bpermute_b32 v9, v6, v8
	v_cmp_eq_u32_e32 vcc, 0, v7
	s_and_saveexec_b64 s[0:1], vcc
	s_cbranch_execz .LBB163_21
; %bb.20:
	v_lshrrev_b32_e32 v10, 4, v0
	v_add_u32_e32 v10, 0, v10
	s_waitcnt lgkmcnt(0)
	v_add_f32_e32 v8, v8, v9
	ds_write_b32 v10, v8
.LBB163_21:
	s_or_b64 exec, exec, s[0:1]
	s_waitcnt lgkmcnt(0)
	s_barrier
	s_load_dword s8, s[4:5], 0x44
	v_mov_b32_e32 v8, 0
	s_waitcnt lgkmcnt(0)
	s_bfe_u32 s0, s8, 0xa0006
	v_cmp_gt_u32_e32 vcc, s0, v0
	s_and_saveexec_b64 s[0:1], vcc
	s_cbranch_execnz .LBB163_32
; %bb.22:
	s_or_b64 exec, exec, s[0:1]
	v_cmp_gt_u32_e32 vcc, 64, v0
	s_and_saveexec_b64 s[0:1], vcc
	s_cbranch_execnz .LBB163_33
.LBB163_23:
	s_or_b64 exec, exec, s[0:1]
	v_cmp_eq_u32_e32 vcc, 0, v0
	s_and_saveexec_b64 s[0:1], vcc
	s_cbranch_execz .LBB163_25
.LBB163_24:
	v_mov_b32_e32 v1, 0
	s_waitcnt lgkmcnt(0)
	ds_write_b32 v1, v8 offset:4
.LBB163_25:
	s_or_b64 exec, exec, s[0:1]
	v_cmp_gt_i32_e32 vcc, s18, v0
	s_waitcnt lgkmcnt(0)
	s_barrier
	s_and_saveexec_b64 s[0:1], vcc
	s_cbranch_execz .LBB163_31
; %bb.26:
	v_cvt_f32_i32_e32 v4, s18
	v_mov_b32_e32 v1, 0
	ds_read_b32 v5, v1 offset:4
	s_and_b32 s8, s8, 0xffff
	v_div_scale_f32 v2, s[0:1], v4, v4, 1.0
	v_rcp_f32_e32 v3, v2
	s_load_dwordx2 s[0:1], s[4:5], 0x28
	v_div_scale_f32 v1, vcc, 1.0, v4, 1.0
	v_fma_f32 v6, -v2, v3, 1.0
	v_fmac_f32_e32 v3, v6, v3
	v_mul_f32_e32 v6, v1, v3
	v_fma_f32 v7, -v2, v6, v1
	v_fmac_f32_e32 v6, v7, v3
	s_waitcnt lgkmcnt(0)
	s_add_u32 s6, s0, s6
	v_fma_f32 v1, -v2, v6, v1
	s_addc_u32 s7, s1, s7
	v_div_fmas_f32 v1, v1, v3, v6
	s_cmp_lg_u64 s[2:3], 0
	v_div_fixup_f32 v1, v1, v4, 1.0
	s_cselect_b64 s[0:1], -1, 0
	v_mul_f32_e32 v6, s19, v1
	v_cndmask_b32_e64 v1, 0, 1, s[0:1]
	s_mov_b64 s[4:5], 0
	v_mov_b32_e32 v7, s22
	v_mov_b32_e32 v8, s23
	v_cmp_ne_u32_e64 s[0:1], 1, v1
	v_mov_b32_e32 v9, s7
	s_branch .LBB163_29
.LBB163_27:                             ;   in Loop: Header=BB163_29 Depth=1
	v_mov_b32_e32 v11, s3
	v_add_co_u32_e32 v12, vcc, s2, v2
	v_addc_co_u32_e32 v13, vcc, v11, v3, vcc
	global_load_ushort v11, v[12:13], off
	s_waitcnt vmcnt(0)
	v_cvt_f32_f16_e32 v11, v11
.LBB163_28:                             ;   in Loop: Header=BB163_29 Depth=1
	s_waitcnt vmcnt(1)
	v_cvt_f32_f16_e32 v1, v1
	v_add_co_u32_e32 v2, vcc, s6, v2
	v_mul_f32_e32 v11, v11, v4
	v_mul_f32_e32 v1, s19, v1
	;; [unrolled: 1-line block ×3, first 2 shown]
	v_addc_co_u32_e32 v3, vcc, v9, v3, vcc
	v_add_u32_e32 v0, s8, v0
	s_waitcnt vmcnt(0)
	v_fma_mix_f32 v1, v11, v10, -v1 op_sel_hi:[0,1,0]
	v_cmp_le_i32_e32 vcc, s18, v0
	v_fma_mixlo_f16 v1, v6, v1, 0
	s_or_b64 s[4:5], vcc, s[4:5]
	global_store_short v[2:3], v1, off
	s_andn2_b64 exec, exec, s[4:5]
	s_cbranch_execz .LBB163_31
.LBB163_29:                             ; =>This Inner Loop Header: Depth=1
	v_ashrrev_i32_e32 v1, 31, v0
	v_lshlrev_b64 v[2:3], 1, v[0:1]
	v_add_co_u32_e32 v10, vcc, s20, v2
	v_addc_co_u32_e32 v11, vcc, v7, v3, vcc
	global_load_ushort v1, v[10:11], off
	v_add_co_u32_e32 v10, vcc, s21, v2
	v_addc_co_u32_e32 v11, vcc, v8, v3, vcc
	global_load_ushort v10, v[10:11], off
	s_and_b64 vcc, exec, s[0:1]
	s_cbranch_vccz .LBB163_27
; %bb.30:                               ;   in Loop: Header=BB163_29 Depth=1
	v_mov_b32_e32 v11, 1.0
	s_branch .LBB163_28
.LBB163_31:
	s_endpgm
.LBB163_32:
	v_lshl_add_u32 v7, v7, 2, 0
	ds_read_b32 v8, v7
	s_or_b64 exec, exec, s[0:1]
	v_cmp_gt_u32_e32 vcc, 64, v0
	s_and_saveexec_b64 s[0:1], vcc
	s_cbranch_execz .LBB163_23
.LBB163_33:
	s_waitcnt lgkmcnt(0)
	ds_bpermute_b32 v2, v2, v8
	s_waitcnt lgkmcnt(0)
	v_add_f32_e32 v2, v8, v2
	ds_bpermute_b32 v1, v1, v2
	s_waitcnt lgkmcnt(0)
	v_add_f32_e32 v1, v2, v1
	;; [unrolled: 3-line block ×6, first 2 shown]
	s_or_b64 exec, exec, s[0:1]
	v_cmp_eq_u32_e32 vcc, 0, v0
	s_and_saveexec_b64 s[0:1], vcc
	s_cbranch_execnz .LBB163_24
	s_branch .LBB163_25
	.section	.rodata,"a",@progbits
	.p2align	6, 0x0
	.amdhsa_kernel _ZN2at6native12_GLOBAL__N_128layer_norm_grad_input_kernelIN3c104HalfEfLb1EEEvPKT_S7_PKT0_SA_S7_PS5_i
		.amdhsa_group_segment_fixed_size 0
		.amdhsa_private_segment_fixed_size 0
		.amdhsa_kernarg_size 312
		.amdhsa_user_sgpr_count 6
		.amdhsa_user_sgpr_private_segment_buffer 1
		.amdhsa_user_sgpr_dispatch_ptr 0
		.amdhsa_user_sgpr_queue_ptr 0
		.amdhsa_user_sgpr_kernarg_segment_ptr 1
		.amdhsa_user_sgpr_dispatch_id 0
		.amdhsa_user_sgpr_flat_scratch_init 0
		.amdhsa_user_sgpr_kernarg_preload_length 0
		.amdhsa_user_sgpr_kernarg_preload_offset 0
		.amdhsa_user_sgpr_private_segment_size 0
		.amdhsa_uses_dynamic_stack 0
		.amdhsa_system_sgpr_private_segment_wavefront_offset 0
		.amdhsa_system_sgpr_workgroup_id_x 1
		.amdhsa_system_sgpr_workgroup_id_y 0
		.amdhsa_system_sgpr_workgroup_id_z 0
		.amdhsa_system_sgpr_workgroup_info 0
		.amdhsa_system_vgpr_workitem_id 0
		.amdhsa_next_free_vgpr 22
		.amdhsa_next_free_sgpr 31
		.amdhsa_accum_offset 24
		.amdhsa_reserve_vcc 1
		.amdhsa_reserve_flat_scratch 0
		.amdhsa_float_round_mode_32 0
		.amdhsa_float_round_mode_16_64 0
		.amdhsa_float_denorm_mode_32 3
		.amdhsa_float_denorm_mode_16_64 3
		.amdhsa_dx10_clamp 1
		.amdhsa_ieee_mode 1
		.amdhsa_fp16_overflow 0
		.amdhsa_tg_split 0
		.amdhsa_exception_fp_ieee_invalid_op 0
		.amdhsa_exception_fp_denorm_src 0
		.amdhsa_exception_fp_ieee_div_zero 0
		.amdhsa_exception_fp_ieee_overflow 0
		.amdhsa_exception_fp_ieee_underflow 0
		.amdhsa_exception_fp_ieee_inexact 0
		.amdhsa_exception_int_div_zero 0
	.end_amdhsa_kernel
	.section	.text._ZN2at6native12_GLOBAL__N_128layer_norm_grad_input_kernelIN3c104HalfEfLb1EEEvPKT_S7_PKT0_SA_S7_PS5_i,"axG",@progbits,_ZN2at6native12_GLOBAL__N_128layer_norm_grad_input_kernelIN3c104HalfEfLb1EEEvPKT_S7_PKT0_SA_S7_PS5_i,comdat
.Lfunc_end163:
	.size	_ZN2at6native12_GLOBAL__N_128layer_norm_grad_input_kernelIN3c104HalfEfLb1EEEvPKT_S7_PKT0_SA_S7_PS5_i, .Lfunc_end163-_ZN2at6native12_GLOBAL__N_128layer_norm_grad_input_kernelIN3c104HalfEfLb1EEEvPKT_S7_PKT0_SA_S7_PS5_i
                                        ; -- End function
	.section	.AMDGPU.csdata,"",@progbits
; Kernel info:
; codeLenInByte = 1720
; NumSgprs: 35
; NumVgprs: 22
; NumAgprs: 0
; TotalNumVgprs: 22
; ScratchSize: 0
; MemoryBound: 0
; FloatMode: 240
; IeeeMode: 1
; LDSByteSize: 0 bytes/workgroup (compile time only)
; SGPRBlocks: 4
; VGPRBlocks: 2
; NumSGPRsForWavesPerEU: 35
; NumVGPRsForWavesPerEU: 22
; AccumOffset: 24
; Occupancy: 8
; WaveLimiterHint : 0
; COMPUTE_PGM_RSRC2:SCRATCH_EN: 0
; COMPUTE_PGM_RSRC2:USER_SGPR: 6
; COMPUTE_PGM_RSRC2:TRAP_HANDLER: 0
; COMPUTE_PGM_RSRC2:TGID_X_EN: 1
; COMPUTE_PGM_RSRC2:TGID_Y_EN: 0
; COMPUTE_PGM_RSRC2:TGID_Z_EN: 0
; COMPUTE_PGM_RSRC2:TIDIG_COMP_CNT: 0
; COMPUTE_PGM_RSRC3_GFX90A:ACCUM_OFFSET: 5
; COMPUTE_PGM_RSRC3_GFX90A:TG_SPLIT: 0
	.section	.text._ZN2at6native12_GLOBAL__N_133GammaBetaBackwardSimpleCUDAKernelIN3c104HalfEfLb1EEEvllPKT_S7_PKT0_SA_PS5_SB_,"axG",@progbits,_ZN2at6native12_GLOBAL__N_133GammaBetaBackwardSimpleCUDAKernelIN3c104HalfEfLb1EEEvllPKT_S7_PKT0_SA_PS5_SB_,comdat
	.globl	_ZN2at6native12_GLOBAL__N_133GammaBetaBackwardSimpleCUDAKernelIN3c104HalfEfLb1EEEvllPKT_S7_PKT0_SA_PS5_SB_ ; -- Begin function _ZN2at6native12_GLOBAL__N_133GammaBetaBackwardSimpleCUDAKernelIN3c104HalfEfLb1EEEvllPKT_S7_PKT0_SA_PS5_SB_
	.p2align	8
	.type	_ZN2at6native12_GLOBAL__N_133GammaBetaBackwardSimpleCUDAKernelIN3c104HalfEfLb1EEEvllPKT_S7_PKT0_SA_PS5_SB_,@function
_ZN2at6native12_GLOBAL__N_133GammaBetaBackwardSimpleCUDAKernelIN3c104HalfEfLb1EEEvllPKT_S7_PKT0_SA_PS5_SB_: ; @_ZN2at6native12_GLOBAL__N_133GammaBetaBackwardSimpleCUDAKernelIN3c104HalfEfLb1EEEvllPKT_S7_PKT0_SA_PS5_SB_
; %bb.0:
	s_load_dword s0, s[4:5], 0x4c
	s_load_dwordx8 s[8:15], s[4:5], 0x0
	v_mov_b32_e32 v1, 0
	v_mov_b32_e32 v2, s6
	s_waitcnt lgkmcnt(0)
	s_and_b32 s0, s0, 0xffff
	v_mad_u64_u32 v[2:3], s[0:1], s0, v2, v[0:1]
	v_cmp_gt_i64_e32 vcc, s[10:11], v[2:3]
	s_and_saveexec_b64 s[0:1], vcc
	s_cbranch_execz .LBB164_9
; %bb.1:
	s_load_dwordx4 s[4:7], s[4:5], 0x28
	v_cmp_lt_i64_e64 s[0:1], s[8:9], 1
	s_and_b64 vcc, exec, s[0:1]
	v_lshlrev_b64 v[2:3], 1, v[2:3]
	s_cbranch_vccnz .LBB164_7
; %bb.2:
	s_waitcnt lgkmcnt(0)
	s_cmp_lg_u64 s[6:7], 0
	s_cselect_b64 s[0:1], -1, 0
	s_lshl_b64 s[2:3], s[10:11], 1
	v_cndmask_b32_e64 v0, 0, 1, s[0:1]
	v_mov_b32_e32 v4, 0
	v_cmp_ne_u32_e64 s[0:1], 1, v0
	v_mov_b32_e32 v5, s3
	v_pk_mov_b32 v[0:1], v[2:3], v[2:3] op_sel:[0,1]
	s_branch .LBB164_4
.LBB164_3:                              ;   in Loop: Header=BB164_4 Depth=1
	s_add_u32 s8, s8, -1
	s_addc_u32 s9, s9, -1
	s_add_u32 s4, s4, 4
	s_addc_u32 s5, s5, 0
	v_add_co_u32_e32 v0, vcc, s2, v0
	v_add_f32_e32 v4, v4, v6
	s_cmp_eq_u64 s[8:9], 0
	v_addc_co_u32_e32 v1, vcc, v1, v5, vcc
	s_cbranch_scc1 .LBB164_6
.LBB164_4:                              ; =>This Inner Loop Header: Depth=1
	s_and_b64 vcc, exec, s[0:1]
	v_mov_b32_e32 v6, 0
	s_cbranch_vccnz .LBB164_3
; %bb.5:                                ;   in Loop: Header=BB164_4 Depth=1
	v_mov_b32_e32 v7, s13
	v_add_co_u32_e32 v6, vcc, s12, v0
	v_addc_co_u32_e32 v7, vcc, v7, v1, vcc
	global_load_ushort v8, v[6:7], off
	v_mov_b32_e32 v7, s15
	v_add_co_u32_e32 v6, vcc, s14, v0
	v_addc_co_u32_e32 v7, vcc, v7, v1, vcc
	global_load_ushort v6, v[6:7], off
	s_load_dword s3, s[4:5], 0x0
	s_waitcnt vmcnt(1)
	v_cvt_f32_f16_e32 v7, v8
	s_waitcnt vmcnt(0)
	v_cvt_f32_f16_e32 v6, v6
	v_mul_f32_e32 v6, v7, v6
	s_waitcnt lgkmcnt(0)
	v_mul_f32_e32 v6, s3, v6
	s_branch .LBB164_3
.LBB164_6:
	v_cvt_f16_f32_e32 v1, v4
.LBB164_7:
	s_waitcnt lgkmcnt(0)
	s_cmp_lg_u64 s[6:7], 0
	s_cbranch_scc0 .LBB164_9
; %bb.8:
	v_mov_b32_e32 v0, s7
	v_add_co_u32_e32 v2, vcc, s6, v2
	v_addc_co_u32_e32 v3, vcc, v0, v3, vcc
	global_store_short v[2:3], v1, off
.LBB164_9:
	s_endpgm
	.section	.rodata,"a",@progbits
	.p2align	6, 0x0
	.amdhsa_kernel _ZN2at6native12_GLOBAL__N_133GammaBetaBackwardSimpleCUDAKernelIN3c104HalfEfLb1EEEvllPKT_S7_PKT0_SA_PS5_SB_
		.amdhsa_group_segment_fixed_size 0
		.amdhsa_private_segment_fixed_size 0
		.amdhsa_kernarg_size 320
		.amdhsa_user_sgpr_count 6
		.amdhsa_user_sgpr_private_segment_buffer 1
		.amdhsa_user_sgpr_dispatch_ptr 0
		.amdhsa_user_sgpr_queue_ptr 0
		.amdhsa_user_sgpr_kernarg_segment_ptr 1
		.amdhsa_user_sgpr_dispatch_id 0
		.amdhsa_user_sgpr_flat_scratch_init 0
		.amdhsa_user_sgpr_kernarg_preload_length 0
		.amdhsa_user_sgpr_kernarg_preload_offset 0
		.amdhsa_user_sgpr_private_segment_size 0
		.amdhsa_uses_dynamic_stack 0
		.amdhsa_system_sgpr_private_segment_wavefront_offset 0
		.amdhsa_system_sgpr_workgroup_id_x 1
		.amdhsa_system_sgpr_workgroup_id_y 0
		.amdhsa_system_sgpr_workgroup_id_z 0
		.amdhsa_system_sgpr_workgroup_info 0
		.amdhsa_system_vgpr_workitem_id 0
		.amdhsa_next_free_vgpr 9
		.amdhsa_next_free_sgpr 16
		.amdhsa_accum_offset 12
		.amdhsa_reserve_vcc 1
		.amdhsa_reserve_flat_scratch 0
		.amdhsa_float_round_mode_32 0
		.amdhsa_float_round_mode_16_64 0
		.amdhsa_float_denorm_mode_32 3
		.amdhsa_float_denorm_mode_16_64 3
		.amdhsa_dx10_clamp 1
		.amdhsa_ieee_mode 1
		.amdhsa_fp16_overflow 0
		.amdhsa_tg_split 0
		.amdhsa_exception_fp_ieee_invalid_op 0
		.amdhsa_exception_fp_denorm_src 0
		.amdhsa_exception_fp_ieee_div_zero 0
		.amdhsa_exception_fp_ieee_overflow 0
		.amdhsa_exception_fp_ieee_underflow 0
		.amdhsa_exception_fp_ieee_inexact 0
		.amdhsa_exception_int_div_zero 0
	.end_amdhsa_kernel
	.section	.text._ZN2at6native12_GLOBAL__N_133GammaBetaBackwardSimpleCUDAKernelIN3c104HalfEfLb1EEEvllPKT_S7_PKT0_SA_PS5_SB_,"axG",@progbits,_ZN2at6native12_GLOBAL__N_133GammaBetaBackwardSimpleCUDAKernelIN3c104HalfEfLb1EEEvllPKT_S7_PKT0_SA_PS5_SB_,comdat
.Lfunc_end164:
	.size	_ZN2at6native12_GLOBAL__N_133GammaBetaBackwardSimpleCUDAKernelIN3c104HalfEfLb1EEEvllPKT_S7_PKT0_SA_PS5_SB_, .Lfunc_end164-_ZN2at6native12_GLOBAL__N_133GammaBetaBackwardSimpleCUDAKernelIN3c104HalfEfLb1EEEvllPKT_S7_PKT0_SA_PS5_SB_
                                        ; -- End function
	.section	.AMDGPU.csdata,"",@progbits
; Kernel info:
; codeLenInByte = 308
; NumSgprs: 20
; NumVgprs: 9
; NumAgprs: 0
; TotalNumVgprs: 9
; ScratchSize: 0
; MemoryBound: 0
; FloatMode: 240
; IeeeMode: 1
; LDSByteSize: 0 bytes/workgroup (compile time only)
; SGPRBlocks: 2
; VGPRBlocks: 1
; NumSGPRsForWavesPerEU: 20
; NumVGPRsForWavesPerEU: 9
; AccumOffset: 12
; Occupancy: 8
; WaveLimiterHint : 0
; COMPUTE_PGM_RSRC2:SCRATCH_EN: 0
; COMPUTE_PGM_RSRC2:USER_SGPR: 6
; COMPUTE_PGM_RSRC2:TRAP_HANDLER: 0
; COMPUTE_PGM_RSRC2:TGID_X_EN: 1
; COMPUTE_PGM_RSRC2:TGID_Y_EN: 0
; COMPUTE_PGM_RSRC2:TGID_Z_EN: 0
; COMPUTE_PGM_RSRC2:TIDIG_COMP_CNT: 0
; COMPUTE_PGM_RSRC3_GFX90A:ACCUM_OFFSET: 2
; COMPUTE_PGM_RSRC3_GFX90A:TG_SPLIT: 0
	.section	.text._ZN2at6native12_GLOBAL__N_135GammaBetaBackwardCUDAKernelTemplateIN3c104HalfEfLj64ELj1ELj32ELb1ELb1ELb1EEEvllPKT_S7_PKT0_SA_PS5_SB_,"axG",@progbits,_ZN2at6native12_GLOBAL__N_135GammaBetaBackwardCUDAKernelTemplateIN3c104HalfEfLj64ELj1ELj32ELb1ELb1ELb1EEEvllPKT_S7_PKT0_SA_PS5_SB_,comdat
	.globl	_ZN2at6native12_GLOBAL__N_135GammaBetaBackwardCUDAKernelTemplateIN3c104HalfEfLj64ELj1ELj32ELb1ELb1ELb1EEEvllPKT_S7_PKT0_SA_PS5_SB_ ; -- Begin function _ZN2at6native12_GLOBAL__N_135GammaBetaBackwardCUDAKernelTemplateIN3c104HalfEfLj64ELj1ELj32ELb1ELb1ELb1EEEvllPKT_S7_PKT0_SA_PS5_SB_
	.p2align	8
	.type	_ZN2at6native12_GLOBAL__N_135GammaBetaBackwardCUDAKernelTemplateIN3c104HalfEfLj64ELj1ELj32ELb1ELb1ELb1EEEvllPKT_S7_PKT0_SA_PS5_SB_,@function
_ZN2at6native12_GLOBAL__N_135GammaBetaBackwardCUDAKernelTemplateIN3c104HalfEfLj64ELj1ELj32ELb1ELb1ELb1EEEvllPKT_S7_PKT0_SA_PS5_SB_: ; @_ZN2at6native12_GLOBAL__N_135GammaBetaBackwardCUDAKernelTemplateIN3c104HalfEfLj64ELj1ELj32ELb1ELb1ELb1EEEvllPKT_S7_PKT0_SA_PS5_SB_
; %bb.0:
	s_load_dwordx4 s[8:11], s[4:5], 0x0
	s_load_dwordx2 s[16:17], s[4:5], 0x30
	s_lshl_b32 s18, s7, 5
	s_mov_b32 s19, 0
	s_mov_b32 s2, s7
	s_waitcnt lgkmcnt(0)
	v_pk_mov_b32 v[2:3], s[8:9], s[8:9] op_sel:[0,1]
	v_cmp_ge_i64_e32 vcc, s[18:19], v[2:3]
	v_mov_b32_e32 v1, 0
	v_bfe_u32 v2, v0, 10, 10
	s_cbranch_vccnz .LBB165_8
; %bb.1:
	s_load_dword s0, s[4:5], 0x4c
	s_load_dword s3, s[4:5], 0x44
	s_load_dwordx4 s[12:15], s[4:5], 0x10
	s_load_dwordx2 s[22:23], s[4:5], 0x28
	v_and_b32_e32 v1, 0x3ff, v0
	s_waitcnt lgkmcnt(0)
	s_and_b32 s0, s0, 0xffff
	v_mad_u32_u24 v3, v2, s0, v1
	v_lshl_or_b32 v4, s6, 6, v1
	v_mbcnt_lo_u32_b32 v1, -1, 0
	v_mbcnt_hi_u32_b32 v1, -1, v1
	v_lshlrev_b32_e32 v7, 5, v2
	v_lshlrev_b32_e32 v1, 2, v1
	v_and_b32_e32 v6, 63, v3
	v_and_b32_e32 v3, 0x100, v1
	v_mov_b32_e32 v1, s19
	v_add_co_u32_e32 v10, vcc, s18, v7
	v_addc_co_u32_e32 v1, vcc, 0, v1, vcc
	v_cmp_gt_u32_e64 s[0:1], 32, v6
	v_add_co_u32_e32 v6, vcc, v10, v6
	v_addc_co_u32_e32 v7, vcc, 0, v1, vcc
	v_lshlrev_b64 v[8:9], 2, v[6:7]
	v_mov_b32_e32 v11, s23
	v_add_co_u32_e32 v8, vcc, s22, v8
	v_addc_co_u32_e32 v9, vcc, v11, v9, vcc
	v_mul_lo_u32 v12, s11, v10
	v_mul_lo_u32 v1, s10, v1
	v_mad_u64_u32 v[10:11], s[24:25], s10, v10, 0
	v_mov_b32_e32 v5, 0
	s_lshl_b32 s20, s3, 5
	v_add3_u32 v11, v11, v1, v12
	v_lshlrev_b64 v[10:11], 1, v[10:11]
	v_lshlrev_b64 v[12:13], 1, v[4:5]
	s_mul_i32 s3, s11, s20
	s_mul_hi_u32 s7, s10, s20
	s_mov_b32 s21, s19
	v_add_co_u32_e32 v4, vcc, v10, v12
	s_add_i32 s25, s7, s3
	s_mul_i32 s24, s10, s20
	v_or_b32_e32 v14, 4, v3
	v_or_b32_e32 v15, 8, v3
	v_or_b32_e32 v16, 12, v3
	v_or_b32_e32 v17, 16, v3
	v_or_b32_e32 v18, 20, v3
	v_or_b32_e32 v19, 24, v3
	v_or_b32_e32 v20, 28, v3
	v_or_b32_e32 v21, 32, v3
	v_or_b32_e32 v22, 36, v3
	v_or_b32_e32 v23, 40, v3
	v_or_b32_e32 v24, 44, v3
	v_or_b32_e32 v25, 48, v3
	v_or_b32_e32 v26, 52, v3
	v_or_b32_e32 v27, 56, v3
	v_or_b32_e32 v28, 60, v3
	v_or_b32_e32 v29, 64, v3
	v_or_b32_e32 v30, 0x44, v3
	v_or_b32_e32 v31, 0x48, v3
	v_or_b32_e32 v32, 0x4c, v3
	v_or_b32_e32 v33, 0x50, v3
	v_or_b32_e32 v34, 0x54, v3
	v_or_b32_e32 v35, 0x58, v3
	v_or_b32_e32 v36, 0x5c, v3
	v_or_b32_e32 v37, 0x60, v3
	v_or_b32_e32 v38, 0x64, v3
	v_or_b32_e32 v39, 0x68, v3
	v_or_b32_e32 v40, 0x6c, v3
	v_or_b32_e32 v41, 0x70, v3
	v_or_b32_e32 v42, 0x74, v3
	v_or_b32_e32 v43, 0x78, v3
	v_or_b32_e32 v44, 0x7c, v3
	s_lshl_b64 s[22:23], s[20:21], 2
	v_addc_co_u32_e32 v1, vcc, v11, v13, vcc
	s_lshl_b64 s[24:25], s[24:25], 1
	s_lshl_b64 s[26:27], s[10:11], 1
	s_branch .LBB165_4
.LBB165_2:                              ;   in Loop: Header=BB165_4 Depth=1
	s_or_b64 exec, exec, s[30:31]
.LBB165_3:                              ;   in Loop: Header=BB165_4 Depth=1
	s_or_b64 exec, exec, s[28:29]
	v_mov_b32_e32 v11, s13
	v_add_co_u32_e32 v10, vcc, s12, v4
	v_addc_co_u32_e32 v11, vcc, v11, v1, vcc
	v_mov_b32_e32 v13, s15
	v_add_co_u32_e32 v12, vcc, s14, v4
	v_addc_co_u32_e32 v13, vcc, v13, v1, vcc
	global_load_ushort v47, v[10:11], off
	global_load_ushort v52, v[12:13], off
	v_mov_b32_e32 v46, s27
	v_add_co_u32_e32 v10, vcc, s26, v10
	v_addc_co_u32_e32 v11, vcc, v11, v46, vcc
	v_add_co_u32_e32 v12, vcc, s26, v12
	v_addc_co_u32_e32 v13, vcc, v13, v46, vcc
	global_load_ushort v53, v[10:11], off
	global_load_ushort v54, v[12:13], off
	v_add_co_u32_e32 v10, vcc, s26, v10
	v_addc_co_u32_e32 v11, vcc, v11, v46, vcc
	v_add_co_u32_e32 v12, vcc, s26, v12
	v_addc_co_u32_e32 v13, vcc, v13, v46, vcc
	global_load_ushort v55, v[10:11], off
	global_load_ushort v56, v[12:13], off
	;; [unrolled: 6-line block ×4, first 2 shown]
	v_add_co_u32_e32 v48, vcc, s26, v10
	v_addc_co_u32_e32 v49, vcc, v11, v46, vcc
	v_add_co_u32_e32 v50, vcc, s26, v12
	v_addc_co_u32_e32 v51, vcc, v13, v46, vcc
	;; [unrolled: 2-line block ×3, first 2 shown]
	global_load_ushort v61, v[48:49], off
	v_add_co_u32_e32 v12, vcc, s26, v50
	global_load_ushort v50, v[50:51], off
	v_addc_co_u32_e32 v13, vcc, v51, v46, vcc
	global_load_ushort v51, v[12:13], off
	s_add_u32 s18, s18, s20
	s_addc_u32 s19, s19, 0
	s_waitcnt vmcnt(12)
	v_cvt_f32_f16_e32 v47, v47
	s_waitcnt vmcnt(11)
	v_cvt_f32_f16_e32 v48, v52
	v_mul_f32_e32 v47, v47, v48
	ds_bpermute_b32 v48, v3, v45
	s_waitcnt lgkmcnt(0)
	v_fmac_f32_e32 v5, v47, v48
	global_load_ushort v47, v[10:11], off
	v_add_co_u32_e32 v48, vcc, s26, v10
	v_addc_co_u32_e32 v49, vcc, v11, v46, vcc
	v_add_co_u32_e32 v10, vcc, s26, v12
	v_addc_co_u32_e32 v11, vcc, v13, v46, vcc
	s_waitcnt vmcnt(11)
	v_cvt_f32_f16_e32 v12, v53
	s_waitcnt vmcnt(10)
	v_cvt_f32_f16_e32 v13, v54
	global_load_ushort v52, v[48:49], off
	global_load_ushort v53, v[10:11], off
	v_mul_f32_e32 v12, v12, v13
	ds_bpermute_b32 v13, v14, v45
	s_waitcnt lgkmcnt(0)
	v_fmac_f32_e32 v5, v12, v13
	v_add_co_u32_e32 v12, vcc, s26, v48
	v_addc_co_u32_e32 v13, vcc, v49, v46, vcc
	v_add_co_u32_e32 v48, vcc, s26, v10
	v_addc_co_u32_e32 v49, vcc, v11, v46, vcc
	s_waitcnt vmcnt(11)
	v_cvt_f32_f16_e32 v10, v55
	s_waitcnt vmcnt(10)
	v_cvt_f32_f16_e32 v11, v56
	global_load_ushort v54, v[12:13], off
	global_load_ushort v55, v[48:49], off
	v_mul_f32_e32 v10, v10, v11
	ds_bpermute_b32 v11, v15, v45
	s_waitcnt lgkmcnt(0)
	v_fmac_f32_e32 v5, v10, v11
	;; [unrolled: 14-line block ×4, first 2 shown]
	v_add_co_u32_e32 v12, vcc, s26, v48
	v_addc_co_u32_e32 v13, vcc, v49, v46, vcc
	v_add_co_u32_e32 v48, vcc, s26, v10
	v_addc_co_u32_e32 v49, vcc, v11, v46, vcc
	s_waitcnt vmcnt(11)
	v_cvt_f32_f16_e32 v10, v61
	s_waitcnt vmcnt(10)
	v_cvt_f32_f16_e32 v11, v50
	global_load_ushort v50, v[12:13], off
	global_load_ushort v60, v[48:49], off
	s_waitcnt vmcnt(10)
	v_cvt_f32_f16_e32 v47, v47
	v_mul_f32_e32 v10, v10, v11
	ds_bpermute_b32 v11, v18, v45
	s_waitcnt lgkmcnt(0)
	v_fmac_f32_e32 v5, v10, v11
	v_add_co_u32_e32 v10, vcc, s26, v12
	v_addc_co_u32_e32 v11, vcc, v13, v46, vcc
	v_add_co_u32_e32 v12, vcc, s26, v48
	v_cvt_f32_f16_e32 v48, v51
	v_addc_co_u32_e32 v13, vcc, v49, v46, vcc
	global_load_ushort v51, v[12:13], off
	v_mul_f32_e32 v47, v47, v48
	ds_bpermute_b32 v48, v19, v45
	s_waitcnt lgkmcnt(0)
	v_fmac_f32_e32 v5, v47, v48
	global_load_ushort v47, v[10:11], off
	v_add_co_u32_e32 v48, vcc, s26, v10
	v_addc_co_u32_e32 v49, vcc, v11, v46, vcc
	v_add_co_u32_e32 v10, vcc, s26, v12
	v_addc_co_u32_e32 v11, vcc, v13, v46, vcc
	s_waitcnt vmcnt(11)
	v_cvt_f32_f16_e32 v12, v52
	s_waitcnt vmcnt(10)
	v_cvt_f32_f16_e32 v13, v53
	global_load_ushort v52, v[48:49], off
	global_load_ushort v53, v[10:11], off
	v_mul_f32_e32 v12, v12, v13
	ds_bpermute_b32 v13, v20, v45
	s_waitcnt lgkmcnt(0)
	v_fmac_f32_e32 v5, v12, v13
	v_add_co_u32_e32 v12, vcc, s26, v48
	v_addc_co_u32_e32 v13, vcc, v49, v46, vcc
	v_add_co_u32_e32 v48, vcc, s26, v10
	v_addc_co_u32_e32 v49, vcc, v11, v46, vcc
	s_waitcnt vmcnt(11)
	v_cvt_f32_f16_e32 v10, v54
	s_waitcnt vmcnt(10)
	v_cvt_f32_f16_e32 v11, v55
	global_load_ushort v54, v[12:13], off
	global_load_ushort v55, v[48:49], off
	v_mul_f32_e32 v10, v10, v11
	ds_bpermute_b32 v11, v21, v45
	s_waitcnt lgkmcnt(0)
	v_fmac_f32_e32 v5, v10, v11
	v_add_co_u32_e32 v10, vcc, s26, v12
	v_addc_co_u32_e32 v11, vcc, v13, v46, vcc
	v_add_co_u32_e32 v12, vcc, s26, v48
	v_addc_co_u32_e32 v13, vcc, v49, v46, vcc
	s_waitcnt vmcnt(11)
	v_cvt_f32_f16_e32 v48, v56
	s_waitcnt vmcnt(10)
	v_cvt_f32_f16_e32 v49, v57
	global_load_ushort v56, v[10:11], off
	global_load_ushort v57, v[12:13], off
	v_mul_f32_e32 v48, v48, v49
	ds_bpermute_b32 v49, v22, v45
	s_waitcnt lgkmcnt(0)
	v_fmac_f32_e32 v5, v48, v49
	v_add_co_u32_e32 v48, vcc, s26, v10
	v_addc_co_u32_e32 v49, vcc, v11, v46, vcc
	v_add_co_u32_e32 v10, vcc, s26, v12
	v_addc_co_u32_e32 v11, vcc, v13, v46, vcc
	s_waitcnt vmcnt(11)
	v_cvt_f32_f16_e32 v12, v58
	s_waitcnt vmcnt(10)
	v_cvt_f32_f16_e32 v13, v59
	global_load_ushort v58, v[48:49], off
	global_load_ushort v59, v[10:11], off
	v_mul_f32_e32 v12, v12, v13
	ds_bpermute_b32 v13, v23, v45
	s_waitcnt lgkmcnt(0)
	v_fmac_f32_e32 v5, v12, v13
	v_add_co_u32_e32 v12, vcc, s26, v48
	v_addc_co_u32_e32 v13, vcc, v49, v46, vcc
	v_add_co_u32_e32 v48, vcc, s26, v10
	v_addc_co_u32_e32 v49, vcc, v11, v46, vcc
	s_waitcnt vmcnt(11)
	v_cvt_f32_f16_e32 v10, v50
	s_waitcnt vmcnt(10)
	v_cvt_f32_f16_e32 v11, v60
	global_load_ushort v50, v[12:13], off
	global_load_ushort v60, v[48:49], off
	s_waitcnt vmcnt(10)
	v_cvt_f32_f16_e32 v47, v47
	v_mul_f32_e32 v10, v10, v11
	ds_bpermute_b32 v11, v24, v45
	s_waitcnt lgkmcnt(0)
	v_fmac_f32_e32 v5, v10, v11
	v_add_co_u32_e32 v10, vcc, s26, v12
	v_addc_co_u32_e32 v11, vcc, v13, v46, vcc
	v_add_co_u32_e32 v12, vcc, s26, v48
	v_cvt_f32_f16_e32 v48, v51
	v_addc_co_u32_e32 v13, vcc, v49, v46, vcc
	global_load_ushort v51, v[12:13], off
	v_mul_f32_e32 v47, v47, v48
	ds_bpermute_b32 v48, v25, v45
	s_waitcnt lgkmcnt(0)
	v_fmac_f32_e32 v5, v47, v48
	global_load_ushort v47, v[10:11], off
	v_add_co_u32_e32 v48, vcc, s26, v10
	v_addc_co_u32_e32 v49, vcc, v11, v46, vcc
	v_add_co_u32_e32 v10, vcc, s26, v12
	v_addc_co_u32_e32 v11, vcc, v13, v46, vcc
	s_waitcnt vmcnt(11)
	v_cvt_f32_f16_e32 v12, v52
	s_waitcnt vmcnt(10)
	v_cvt_f32_f16_e32 v13, v53
	global_load_ushort v52, v[48:49], off
	global_load_ushort v53, v[10:11], off
	v_mul_f32_e32 v12, v12, v13
	ds_bpermute_b32 v13, v26, v45
	s_waitcnt lgkmcnt(0)
	v_fmac_f32_e32 v5, v12, v13
	v_add_co_u32_e32 v12, vcc, s26, v48
	v_addc_co_u32_e32 v13, vcc, v49, v46, vcc
	v_add_co_u32_e32 v48, vcc, s26, v10
	v_addc_co_u32_e32 v49, vcc, v11, v46, vcc
	s_waitcnt vmcnt(11)
	v_cvt_f32_f16_e32 v10, v54
	s_waitcnt vmcnt(10)
	v_cvt_f32_f16_e32 v11, v55
	global_load_ushort v54, v[12:13], off
	global_load_ushort v55, v[48:49], off
	v_mul_f32_e32 v10, v10, v11
	ds_bpermute_b32 v11, v27, v45
	s_waitcnt lgkmcnt(0)
	v_fmac_f32_e32 v5, v10, v11
	;; [unrolled: 14-line block ×4, first 2 shown]
	v_add_co_u32_e32 v12, vcc, s26, v48
	v_addc_co_u32_e32 v13, vcc, v49, v46, vcc
	v_add_co_u32_e32 v48, vcc, s26, v10
	v_addc_co_u32_e32 v49, vcc, v11, v46, vcc
	s_waitcnt vmcnt(11)
	v_cvt_f32_f16_e32 v10, v50
	s_waitcnt vmcnt(10)
	v_cvt_f32_f16_e32 v11, v60
	global_load_ushort v50, v[12:13], off
	global_load_ushort v60, v[48:49], off
	s_waitcnt vmcnt(10)
	v_cvt_f32_f16_e32 v47, v47
	v_mul_f32_e32 v10, v10, v11
	ds_bpermute_b32 v11, v30, v45
	s_waitcnt lgkmcnt(0)
	v_fmac_f32_e32 v5, v10, v11
	v_add_co_u32_e32 v10, vcc, s26, v12
	v_addc_co_u32_e32 v11, vcc, v13, v46, vcc
	v_add_co_u32_e32 v12, vcc, s26, v48
	v_cvt_f32_f16_e32 v48, v51
	v_addc_co_u32_e32 v13, vcc, v49, v46, vcc
	global_load_ushort v51, v[12:13], off
	v_mul_f32_e32 v47, v47, v48
	ds_bpermute_b32 v48, v31, v45
	s_waitcnt lgkmcnt(0)
	v_fmac_f32_e32 v5, v47, v48
	v_add_co_u32_e32 v48, vcc, s26, v10
	v_addc_co_u32_e32 v49, vcc, v11, v46, vcc
	global_load_ushort v47, v[10:11], off
	v_add_co_u32_e32 v10, vcc, s26, v12
	v_addc_co_u32_e32 v11, vcc, v13, v46, vcc
	s_waitcnt vmcnt(11)
	v_cvt_f32_f16_e32 v12, v52
	s_waitcnt vmcnt(10)
	v_cvt_f32_f16_e32 v13, v53
	global_load_ushort v52, v[48:49], off
	global_load_ushort v53, v[10:11], off
	v_mul_f32_e32 v12, v12, v13
	ds_bpermute_b32 v13, v32, v45
	s_waitcnt lgkmcnt(0)
	v_fmac_f32_e32 v5, v12, v13
	v_add_co_u32_e32 v12, vcc, s26, v48
	v_addc_co_u32_e32 v13, vcc, v49, v46, vcc
	v_add_co_u32_e32 v48, vcc, s26, v10
	v_addc_co_u32_e32 v49, vcc, v11, v46, vcc
	s_waitcnt vmcnt(11)
	v_cvt_f32_f16_e32 v10, v54
	s_waitcnt vmcnt(10)
	v_cvt_f32_f16_e32 v11, v55
	global_load_ushort v54, v[12:13], off
	global_load_ushort v55, v[48:49], off
	v_mul_f32_e32 v10, v10, v11
	ds_bpermute_b32 v11, v33, v45
	s_waitcnt lgkmcnt(0)
	v_fmac_f32_e32 v5, v10, v11
	v_add_co_u32_e32 v10, vcc, s26, v12
	v_addc_co_u32_e32 v11, vcc, v13, v46, vcc
	;; [unrolled: 14-line block ×5, first 2 shown]
	v_add_co_u32_e32 v12, vcc, s26, v48
	v_addc_co_u32_e32 v13, vcc, v49, v46, vcc
	v_add_co_u32_e32 v48, vcc, s26, v10
	v_addc_co_u32_e32 v49, vcc, v11, v46, vcc
	global_load_ushort v61, v[10:11], off
	v_add_co_u32_e32 v10, vcc, s26, v12
	v_addc_co_u32_e32 v11, vcc, v13, v46, vcc
	global_load_ushort v46, v[12:13], off
	global_load_ushort v62, v[48:49], off
	;; [unrolled: 1-line block ×3, first 2 shown]
	s_waitcnt vmcnt(14)
	v_cvt_f32_f16_e32 v10, v47
	v_cvt_f32_f16_e32 v11, v51
	s_waitcnt vmcnt(13)
	v_cvt_f32_f16_e32 v12, v52
	s_waitcnt vmcnt(12)
	;; [unrolled: 2-line block ×3, first 2 shown]
	v_cvt_f32_f16_e32 v47, v54
	v_mul_f32_e32 v10, v10, v11
	ds_bpermute_b32 v11, v38, v45
	s_waitcnt vmcnt(10)
	v_cvt_f32_f16_e32 v48, v55
	v_mul_f32_e32 v12, v12, v13
	ds_bpermute_b32 v13, v44, v45
	v_add_co_u32_e32 v8, vcc, s22, v8
	s_waitcnt vmcnt(9)
	v_cvt_f32_f16_e32 v49, v56
	ds_bpermute_b32 v56, v37, v45
	s_waitcnt vmcnt(8)
	v_cvt_f32_f16_e32 v51, v57
	s_waitcnt lgkmcnt(0)
	v_fmac_f32_e32 v5, v10, v56
	ds_bpermute_b32 v10, v39, v45
	v_fmac_f32_e32 v5, v12, v11
	ds_bpermute_b32 v11, v40, v45
	v_mul_f32_e32 v12, v47, v48
	s_waitcnt lgkmcnt(1)
	v_fmac_f32_e32 v5, v12, v10
	ds_bpermute_b32 v10, v41, v45
	v_mul_f32_e32 v12, v49, v51
	s_waitcnt lgkmcnt(1)
	v_fmac_f32_e32 v5, v12, v11
	ds_bpermute_b32 v12, v42, v45
	s_waitcnt vmcnt(7)
	v_cvt_f32_f16_e32 v52, v58
	s_waitcnt vmcnt(6)
	v_cvt_f32_f16_e32 v53, v59
	v_mul_f32_e32 v11, v52, v53
	s_waitcnt lgkmcnt(1)
	v_fmac_f32_e32 v5, v11, v10
	ds_bpermute_b32 v10, v43, v45
	s_waitcnt vmcnt(5)
	v_cvt_f32_f16_e32 v50, v50
	s_waitcnt vmcnt(4)
	v_cvt_f32_f16_e32 v54, v60
	v_mul_f32_e32 v11, v50, v54
	s_waitcnt lgkmcnt(1)
	v_fmac_f32_e32 v5, v11, v12
	s_waitcnt vmcnt(3)
	v_cvt_f32_f16_e32 v55, v61
	s_waitcnt vmcnt(2)
	v_cvt_f32_f16_e32 v46, v46
	;; [unrolled: 2-line block ×4, first 2 shown]
	v_mul_f32_e32 v11, v55, v46
	s_waitcnt lgkmcnt(0)
	v_fmac_f32_e32 v5, v11, v10
	v_mul_f32_e32 v10, v57, v58
	v_fmac_f32_e32 v5, v10, v13
	v_mov_b32_e32 v10, s23
	v_addc_co_u32_e32 v9, vcc, v9, v10, vcc
	v_mov_b32_e32 v10, s21
	v_add_co_u32_e32 v6, vcc, s20, v6
	v_addc_co_u32_e32 v7, vcc, v7, v10, vcc
	v_mov_b32_e32 v10, s25
	v_add_co_u32_e32 v4, vcc, s24, v4
	v_addc_co_u32_e32 v1, vcc, v1, v10, vcc
	v_pk_mov_b32 v[10:11], s[8:9], s[8:9] op_sel:[0,1]
	v_cmp_lt_i64_e32 vcc, s[18:19], v[10:11]
	s_cbranch_vccz .LBB165_7
.LBB165_4:                              ; =>This Inner Loop Header: Depth=1
	v_mov_b32_e32 v45, 0
	s_and_saveexec_b64 s[28:29], s[0:1]
	s_cbranch_execz .LBB165_3
; %bb.5:                                ;   in Loop: Header=BB165_4 Depth=1
	v_cmp_gt_i64_e32 vcc, s[8:9], v[6:7]
	v_mov_b32_e32 v45, 0
	s_and_saveexec_b64 s[30:31], vcc
	s_cbranch_execz .LBB165_2
; %bb.6:                                ;   in Loop: Header=BB165_4 Depth=1
	global_load_dword v45, v[8:9], off
	s_branch .LBB165_2
.LBB165_7:
	v_cvt_f16_f32_e32 v1, v5
.LBB165_8:
	s_cmp_eq_u64 s[16:17], 0
	s_cbranch_scc1 .LBB165_10
; %bb.9:
	s_load_dword s0, s[4:5], 0x4c
	v_mov_b32_e32 v3, 0
	v_mov_b32_e32 v4, s2
	s_mov_b32 s7, 0
	v_and_b32_e32 v0, 0x3ff, v0
	s_waitcnt lgkmcnt(0)
	s_lshr_b32 s0, s0, 16
	v_mad_u64_u32 v[2:3], s[0:1], s0, v4, v[2:3]
	v_mul_lo_u32 v4, v3, s10
	v_mul_lo_u32 v5, v2, s11
	v_mad_u64_u32 v[2:3], s[0:1], v2, s10, 0
	s_lshl_b64 s[0:1], s[6:7], 7
	v_add3_u32 v3, v3, v5, v4
	s_add_u32 s0, s0, s16
	v_lshlrev_b64 v[2:3], 1, v[2:3]
	s_addc_u32 s1, s1, s17
	v_mov_b32_e32 v4, s1
	v_add_co_u32_e32 v2, vcc, s0, v2
	v_addc_co_u32_e32 v3, vcc, v4, v3, vcc
	v_lshlrev_b32_e32 v0, 1, v0
	v_add_co_u32_e32 v2, vcc, v2, v0
	v_addc_co_u32_e32 v3, vcc, 0, v3, vcc
	global_store_short v[2:3], v1, off
.LBB165_10:
	s_endpgm
	.section	.rodata,"a",@progbits
	.p2align	6, 0x0
	.amdhsa_kernel _ZN2at6native12_GLOBAL__N_135GammaBetaBackwardCUDAKernelTemplateIN3c104HalfEfLj64ELj1ELj32ELb1ELb1ELb1EEEvllPKT_S7_PKT0_SA_PS5_SB_
		.amdhsa_group_segment_fixed_size 0
		.amdhsa_private_segment_fixed_size 0
		.amdhsa_kernarg_size 320
		.amdhsa_user_sgpr_count 6
		.amdhsa_user_sgpr_private_segment_buffer 1
		.amdhsa_user_sgpr_dispatch_ptr 0
		.amdhsa_user_sgpr_queue_ptr 0
		.amdhsa_user_sgpr_kernarg_segment_ptr 1
		.amdhsa_user_sgpr_dispatch_id 0
		.amdhsa_user_sgpr_flat_scratch_init 0
		.amdhsa_user_sgpr_kernarg_preload_length 0
		.amdhsa_user_sgpr_kernarg_preload_offset 0
		.amdhsa_user_sgpr_private_segment_size 0
		.amdhsa_uses_dynamic_stack 0
		.amdhsa_system_sgpr_private_segment_wavefront_offset 0
		.amdhsa_system_sgpr_workgroup_id_x 1
		.amdhsa_system_sgpr_workgroup_id_y 1
		.amdhsa_system_sgpr_workgroup_id_z 0
		.amdhsa_system_sgpr_workgroup_info 0
		.amdhsa_system_vgpr_workitem_id 1
		.amdhsa_next_free_vgpr 64
		.amdhsa_next_free_sgpr 32
		.amdhsa_accum_offset 64
		.amdhsa_reserve_vcc 1
		.amdhsa_reserve_flat_scratch 0
		.amdhsa_float_round_mode_32 0
		.amdhsa_float_round_mode_16_64 0
		.amdhsa_float_denorm_mode_32 3
		.amdhsa_float_denorm_mode_16_64 3
		.amdhsa_dx10_clamp 1
		.amdhsa_ieee_mode 1
		.amdhsa_fp16_overflow 0
		.amdhsa_tg_split 0
		.amdhsa_exception_fp_ieee_invalid_op 0
		.amdhsa_exception_fp_denorm_src 0
		.amdhsa_exception_fp_ieee_div_zero 0
		.amdhsa_exception_fp_ieee_overflow 0
		.amdhsa_exception_fp_ieee_underflow 0
		.amdhsa_exception_fp_ieee_inexact 0
		.amdhsa_exception_int_div_zero 0
	.end_amdhsa_kernel
	.section	.text._ZN2at6native12_GLOBAL__N_135GammaBetaBackwardCUDAKernelTemplateIN3c104HalfEfLj64ELj1ELj32ELb1ELb1ELb1EEEvllPKT_S7_PKT0_SA_PS5_SB_,"axG",@progbits,_ZN2at6native12_GLOBAL__N_135GammaBetaBackwardCUDAKernelTemplateIN3c104HalfEfLj64ELj1ELj32ELb1ELb1ELb1EEEvllPKT_S7_PKT0_SA_PS5_SB_,comdat
.Lfunc_end165:
	.size	_ZN2at6native12_GLOBAL__N_135GammaBetaBackwardCUDAKernelTemplateIN3c104HalfEfLj64ELj1ELj32ELb1ELb1ELb1EEEvllPKT_S7_PKT0_SA_PS5_SB_, .Lfunc_end165-_ZN2at6native12_GLOBAL__N_135GammaBetaBackwardCUDAKernelTemplateIN3c104HalfEfLj64ELj1ELj32ELb1ELb1ELb1EEEvllPKT_S7_PKT0_SA_PS5_SB_
                                        ; -- End function
	.section	.AMDGPU.csdata,"",@progbits
; Kernel info:
; codeLenInByte = 2912
; NumSgprs: 36
; NumVgprs: 64
; NumAgprs: 0
; TotalNumVgprs: 64
; ScratchSize: 0
; MemoryBound: 0
; FloatMode: 240
; IeeeMode: 1
; LDSByteSize: 0 bytes/workgroup (compile time only)
; SGPRBlocks: 4
; VGPRBlocks: 7
; NumSGPRsForWavesPerEU: 36
; NumVGPRsForWavesPerEU: 64
; AccumOffset: 64
; Occupancy: 8
; WaveLimiterHint : 0
; COMPUTE_PGM_RSRC2:SCRATCH_EN: 0
; COMPUTE_PGM_RSRC2:USER_SGPR: 6
; COMPUTE_PGM_RSRC2:TRAP_HANDLER: 0
; COMPUTE_PGM_RSRC2:TGID_X_EN: 1
; COMPUTE_PGM_RSRC2:TGID_Y_EN: 1
; COMPUTE_PGM_RSRC2:TGID_Z_EN: 0
; COMPUTE_PGM_RSRC2:TIDIG_COMP_CNT: 1
; COMPUTE_PGM_RSRC3_GFX90A:ACCUM_OFFSET: 15
; COMPUTE_PGM_RSRC3_GFX90A:TG_SPLIT: 0
	.section	.text._ZN2at6native12_GLOBAL__N_135GammaBetaBackwardCUDAKernelTemplateIN3c104HalfEfLj64ELj1ELj32ELb1ELb0ELb1EEEvllPKT_S7_PKT0_SA_PS5_SB_,"axG",@progbits,_ZN2at6native12_GLOBAL__N_135GammaBetaBackwardCUDAKernelTemplateIN3c104HalfEfLj64ELj1ELj32ELb1ELb0ELb1EEEvllPKT_S7_PKT0_SA_PS5_SB_,comdat
	.globl	_ZN2at6native12_GLOBAL__N_135GammaBetaBackwardCUDAKernelTemplateIN3c104HalfEfLj64ELj1ELj32ELb1ELb0ELb1EEEvllPKT_S7_PKT0_SA_PS5_SB_ ; -- Begin function _ZN2at6native12_GLOBAL__N_135GammaBetaBackwardCUDAKernelTemplateIN3c104HalfEfLj64ELj1ELj32ELb1ELb0ELb1EEEvllPKT_S7_PKT0_SA_PS5_SB_
	.p2align	8
	.type	_ZN2at6native12_GLOBAL__N_135GammaBetaBackwardCUDAKernelTemplateIN3c104HalfEfLj64ELj1ELj32ELb1ELb0ELb1EEEvllPKT_S7_PKT0_SA_PS5_SB_,@function
_ZN2at6native12_GLOBAL__N_135GammaBetaBackwardCUDAKernelTemplateIN3c104HalfEfLj64ELj1ELj32ELb1ELb0ELb1EEEvllPKT_S7_PKT0_SA_PS5_SB_: ; @_ZN2at6native12_GLOBAL__N_135GammaBetaBackwardCUDAKernelTemplateIN3c104HalfEfLj64ELj1ELj32ELb1ELb0ELb1EEEvllPKT_S7_PKT0_SA_PS5_SB_
; %bb.0:
	s_load_dwordx8 s[12:19], s[4:5], 0x0
	s_load_dwordx2 s[20:21], s[4:5], 0x28
	s_lshl_b32 s9, s6, 6
	v_mov_b32_e32 v253, v0
	s_or_b32 s22, s9, 63
	s_mov_b32 s23, 0
	s_waitcnt lgkmcnt(0)
	v_pk_mov_b32 v[0:1], s[14:15], s[14:15] op_sel:[0,1]
	v_cmp_ge_i64_e32 vcc, s[22:23], v[0:1]
	s_lshl_b32 s22, s7, 5
	v_pk_mov_b32 v[0:1], s[12:13], s[12:13] op_sel:[0,1]
	v_cmp_lt_i64_e64 s[0:1], s[22:23], v[0:1]
	v_cndmask_b32_e64 v0, 0, 1, s[0:1]
	s_mov_b32 s8, s7
	v_cmp_ne_u32_e64 s[0:1], 1, v0
	s_cbranch_vccz .LBB166_145
; %bb.1:
	s_and_b64 vcc, exec, s[0:1]
	v_mov_b32_e32 v138, 0
	s_cbranch_vccnz .LBB166_146
; %bb.2:
	v_bfe_u32 v0, v253, 10, 10
	v_lshlrev_b32_e32 v2, 5, v0
	v_mov_b32_e32 v1, s23
	v_add_co_u32_e32 v121, vcc, s22, v2
	v_addc_co_u32_e32 v123, vcc, 0, v1, vcc
	v_add_co_u32_e32 v1, vcc, 31, v121
	v_addc_co_u32_e32 v3, vcc, 0, v123, vcc
	v_mul_lo_u32 v6, s15, v1
	v_mul_lo_u32 v3, s14, v3
	v_mad_u64_u32 v[4:5], s[2:3], s14, v1, 0
	v_add3_u32 v5, v5, v3, v6
	v_lshlrev_b64 v[6:7], 1, v[4:5]
	v_mov_b32_e32 v125, s17
	v_add_co_u32_e32 v4, vcc, s16, v6
	v_addc_co_u32_e32 v1, vcc, v125, v7, vcc
	v_mov_b32_e32 v127, s19
	v_add_co_u32_e32 v6, vcc, s18, v6
	v_addc_co_u32_e32 v3, vcc, v127, v7, vcc
	v_add_co_u32_e32 v5, vcc, 30, v121
	v_addc_co_u32_e32 v7, vcc, 0, v123, vcc
	v_mul_lo_u32 v10, s15, v5
	v_mul_lo_u32 v7, s14, v7
	v_mad_u64_u32 v[8:9], s[2:3], s14, v5, 0
	v_add3_u32 v9, v9, v7, v10
	v_lshlrev_b64 v[10:11], 1, v[8:9]
	v_add_co_u32_e32 v8, vcc, s16, v10
	v_addc_co_u32_e32 v5, vcc, v125, v11, vcc
	v_add_co_u32_e32 v10, vcc, s18, v10
	v_addc_co_u32_e32 v7, vcc, v127, v11, vcc
	v_add_co_u32_e32 v9, vcc, 29, v121
	v_addc_co_u32_e32 v11, vcc, 0, v123, vcc
	v_mul_lo_u32 v14, s15, v9
	v_mul_lo_u32 v11, s14, v11
	v_mad_u64_u32 v[12:13], s[2:3], s14, v9, 0
	v_add3_u32 v13, v13, v11, v14
	v_lshlrev_b64 v[14:15], 1, v[12:13]
	v_add_co_u32_e32 v12, vcc, s16, v14
	v_addc_co_u32_e32 v9, vcc, v125, v15, vcc
	;; [unrolled: 11-line block ×29, first 2 shown]
	v_add_co_u32_e32 v122, vcc, s18, v128
	v_addc_co_u32_e32 v119, vcc, v127, v129, vcc
	v_pk_mov_b32 v[128:129], s[14:15], s[14:15] op_sel:[0,1]
	v_mad_u64_u32 v[128:129], s[2:3], s14, v121, v[128:129]
	v_mul_lo_u32 v123, s14, v123
	v_mul_lo_u32 v124, s15, v121
	v_add3_u32 v129, v124, v129, v123
	v_lshlrev_b64 v[128:129], 1, v[128:129]
	v_mad_u64_u32 v[130:131], s[2:3], s14, v121, 0
	v_add3_u32 v131, v131, v123, v124
	v_add_co_u32_e32 v124, vcc, s16, v128
	v_addc_co_u32_e32 v121, vcc, v125, v129, vcc
	s_load_dword s10, s[4:5], 0x44
	v_add_co_u32_e32 v126, vcc, s18, v128
	v_addc_co_u32_e32 v123, vcc, v127, v129, vcc
	v_lshlrev_b64 v[130:131], 1, v[130:131]
	v_add_co_u32_e32 v128, vcc, s16, v130
	v_addc_co_u32_e32 v125, vcc, v125, v131, vcc
	s_add_u32 s24, s4, 64
	v_add_co_u32_e32 v130, vcc, s18, v130
	s_addc_u32 s25, s5, 0
	s_waitcnt lgkmcnt(0)
	s_lshl_b32 s33, s10, 5
	v_mbcnt_lo_u32_b32 v129, -1, 0
	v_addc_co_u32_e32 v127, vcc, v127, v131, vcc
	v_and_b32_e32 v131, 0x3ff, v253
	s_mul_i32 s10, s15, s33
	s_mul_hi_u32 s11, s14, s33
	v_mbcnt_hi_u32_b32 v129, -1, v129
	v_add_u32_e32 v132, s9, v131
	v_mov_b32_e32 v133, 0
	s_add_i32 s11, s11, s10
	s_mul_i32 s10, s14, s33
	v_lshlrev_b32_e32 v129, 2, v129
	s_mov_b32 s7, 0
	v_cmp_gt_i64_e64 s[2:3], s[14:15], v[132:133]
	s_mov_b64 s[26:27], 31
	s_lshl_b64 s[28:29], s[10:11], 1
	v_and_b32_e32 v162, 0x100, v129
	s_mov_b64 s[30:31], s[22:23]
	v_mov_b32_e32 v163, 0
	v_mov_b32_e32 v129, v133
	v_lshlrev_b64 v[134:135], 1, v[132:133]
.LBB166_3:                              ; =>This Inner Loop Header: Depth=1
	s_add_u32 s10, s22, s26
	s_addc_u32 s11, 0, s27
	v_pk_mov_b32 v[136:137], s[12:13], s[12:13] op_sel:[0,1]
	v_cmp_ge_i64_e32 vcc, s[10:11], v[136:137]
	v_mov_b32_e32 v132, s23
	v_add_co_u32_e64 v136, s[10:11], s22, v2
	v_addc_co_u32_e64 v137, s[10:11], v132, v129, s[10:11]
	s_cbranch_vccz .LBB166_73
; %bb.4:                                ;   in Loop: Header=BB166_3 Depth=1
	s_load_dword s10, s[24:25], 0xc
	v_mov_b32_e32 v164, 0
	s_waitcnt lgkmcnt(0)
	s_and_b32 s10, s10, 0xffff
	v_mad_u32_u24 v132, v0, s10, v131
	v_and_b32_e32 v138, 63, v132
	v_cmp_gt_u32_e32 vcc, 32, v138
	v_mov_b32_e32 v132, 0
	s_and_saveexec_b64 s[10:11], vcc
	s_cbranch_execz .LBB166_8
; %bb.5:                                ;   in Loop: Header=BB166_3 Depth=1
	v_add_co_u32_e32 v138, vcc, v136, v138
	v_addc_co_u32_e32 v139, vcc, 0, v137, vcc
	v_cmp_gt_i64_e32 vcc, s[12:13], v[138:139]
	v_mov_b32_e32 v132, 0
	s_and_saveexec_b64 s[34:35], vcc
	s_cbranch_execz .LBB166_7
; %bb.6:                                ;   in Loop: Header=BB166_3 Depth=1
	v_lshlrev_b64 v[138:139], 2, v[138:139]
	v_mov_b32_e32 v132, s21
	v_add_co_u32_e32 v138, vcc, s20, v138
	v_addc_co_u32_e32 v139, vcc, v132, v139, vcc
	global_load_dword v132, v[138:139], off
.LBB166_7:                              ;   in Loop: Header=BB166_3 Depth=1
	s_or_b64 exec, exec, s[34:35]
.LBB166_8:                              ;   in Loop: Header=BB166_3 Depth=1
	s_or_b64 exec, exec, s[10:11]
	v_cmp_gt_i64_e32 vcc, s[12:13], v[136:137]
	s_and_b64 s[34:35], s[2:3], vcc
	v_mov_b32_e32 v165, 0
	s_and_saveexec_b64 s[10:11], s[34:35]
	s_cbranch_execz .LBB166_10
; %bb.9:                                ;   in Loop: Header=BB166_3 Depth=1
	v_add_co_u32_e32 v138, vcc, v128, v134
	v_addc_co_u32_e32 v139, vcc, v125, v135, vcc
	global_load_ushort v140, v[138:139], off
	v_add_co_u32_e32 v138, vcc, v130, v134
	v_addc_co_u32_e32 v139, vcc, v127, v135, vcc
	global_load_ushort v138, v[138:139], off
	s_waitcnt vmcnt(1)
	v_cvt_f32_f16_e32 v164, v140
	s_waitcnt vmcnt(0)
	v_cvt_f32_f16_e32 v165, v138
.LBB166_10:                             ;   in Loop: Header=BB166_3 Depth=1
	s_or_b64 exec, exec, s[10:11]
	v_add_co_u32_e32 v138, vcc, 1, v136
	v_addc_co_u32_e32 v139, vcc, 0, v137, vcc
	v_cmp_gt_i64_e32 vcc, s[12:13], v[138:139]
	s_and_b64 s[34:35], s[2:3], vcc
	v_mov_b32_e32 v166, 0
	v_mov_b32_e32 v167, 0
	v_mov_b32_e32 v168, 0
	s_and_saveexec_b64 s[10:11], s[34:35]
	s_cbranch_execz .LBB166_12
; %bb.11:                               ;   in Loop: Header=BB166_3 Depth=1
	v_add_co_u32_e32 v138, vcc, v124, v134
	v_addc_co_u32_e32 v139, vcc, v121, v135, vcc
	global_load_ushort v140, v[138:139], off
	v_add_co_u32_e32 v138, vcc, v126, v134
	v_addc_co_u32_e32 v139, vcc, v123, v135, vcc
	global_load_ushort v138, v[138:139], off
	s_waitcnt vmcnt(1)
	v_cvt_f32_f16_e32 v167, v140
	s_waitcnt vmcnt(0)
	v_cvt_f32_f16_e32 v168, v138
.LBB166_12:                             ;   in Loop: Header=BB166_3 Depth=1
	s_or_b64 exec, exec, s[10:11]
	v_add_co_u32_e32 v138, vcc, 2, v136
	v_addc_co_u32_e32 v139, vcc, 0, v137, vcc
	v_cmp_gt_i64_e32 vcc, s[12:13], v[138:139]
	s_and_b64 s[34:35], s[2:3], vcc
	v_mov_b32_e32 v169, 0
	s_and_saveexec_b64 s[10:11], s[34:35]
	s_cbranch_execz .LBB166_14
; %bb.13:                               ;   in Loop: Header=BB166_3 Depth=1
	v_add_co_u32_e32 v138, vcc, v120, v134
	v_addc_co_u32_e32 v139, vcc, v117, v135, vcc
	global_load_ushort v140, v[138:139], off
	v_add_co_u32_e32 v138, vcc, v122, v134
	v_addc_co_u32_e32 v139, vcc, v119, v135, vcc
	global_load_ushort v138, v[138:139], off
	s_waitcnt vmcnt(1)
	v_cvt_f32_f16_e32 v166, v140
	s_waitcnt vmcnt(0)
	v_cvt_f32_f16_e32 v169, v138
.LBB166_14:                             ;   in Loop: Header=BB166_3 Depth=1
	s_or_b64 exec, exec, s[10:11]
	v_add_co_u32_e32 v138, vcc, 3, v136
	v_addc_co_u32_e32 v139, vcc, 0, v137, vcc
	v_cmp_gt_i64_e32 vcc, s[12:13], v[138:139]
	s_and_b64 s[34:35], s[2:3], vcc
	v_mov_b32_e32 v170, 0
	v_mov_b32_e32 v171, 0
	v_mov_b32_e32 v172, 0
	s_and_saveexec_b64 s[10:11], s[34:35]
	s_cbranch_execz .LBB166_16
; %bb.15:                               ;   in Loop: Header=BB166_3 Depth=1
	v_add_co_u32_e32 v138, vcc, v116, v134
	v_addc_co_u32_e32 v139, vcc, v113, v135, vcc
	global_load_ushort v140, v[138:139], off
	v_add_co_u32_e32 v138, vcc, v118, v134
	v_addc_co_u32_e32 v139, vcc, v115, v135, vcc
	global_load_ushort v138, v[138:139], off
	s_waitcnt vmcnt(1)
	v_cvt_f32_f16_e32 v171, v140
	s_waitcnt vmcnt(0)
	v_cvt_f32_f16_e32 v172, v138
.LBB166_16:                             ;   in Loop: Header=BB166_3 Depth=1
	s_or_b64 exec, exec, s[10:11]
	v_add_co_u32_e32 v138, vcc, 4, v136
	v_addc_co_u32_e32 v139, vcc, 0, v137, vcc
	v_cmp_gt_i64_e32 vcc, s[12:13], v[138:139]
	s_and_b64 s[34:35], s[2:3], vcc
	v_mov_b32_e32 v173, 0
	s_and_saveexec_b64 s[10:11], s[34:35]
	s_cbranch_execz .LBB166_18
; %bb.17:                               ;   in Loop: Header=BB166_3 Depth=1
	v_add_co_u32_e32 v138, vcc, v112, v134
	v_addc_co_u32_e32 v139, vcc, v109, v135, vcc
	global_load_ushort v140, v[138:139], off
	v_add_co_u32_e32 v138, vcc, v114, v134
	v_addc_co_u32_e32 v139, vcc, v111, v135, vcc
	global_load_ushort v138, v[138:139], off
	s_waitcnt vmcnt(1)
	v_cvt_f32_f16_e32 v170, v140
	s_waitcnt vmcnt(0)
	v_cvt_f32_f16_e32 v173, v138
.LBB166_18:                             ;   in Loop: Header=BB166_3 Depth=1
	;; [unrolled: 42-line block ×15, first 2 shown]
	s_or_b64 exec, exec, s[10:11]
	v_add_co_u32_e32 v202, vcc, 31, v136
	v_addc_co_u32_e32 v203, vcc, 0, v137, vcc
	v_cmp_gt_i64_e32 vcc, s[12:13], v[202:203]
	s_and_b64 s[34:35], s[2:3], vcc
	v_mov_b32_e32 v202, 0
	s_and_saveexec_b64 s[10:11], s[34:35]
	s_cbranch_execz .LBB166_72
; %bb.71:                               ;   in Loop: Header=BB166_3 Depth=1
	v_add_co_u32_e32 v202, vcc, v4, v134
	v_addc_co_u32_e32 v203, vcc, v1, v135, vcc
	global_load_ushort v204, v[202:203], off
	v_add_co_u32_e32 v202, vcc, v6, v134
	v_addc_co_u32_e32 v203, vcc, v3, v135, vcc
	global_load_ushort v202, v[202:203], off
	s_waitcnt vmcnt(1)
	v_cvt_f32_f16_e32 v203, v204
	s_waitcnt vmcnt(0)
	v_cvt_f32_f16_e32 v202, v202
	v_mul_f32_e32 v202, v203, v202
.LBB166_72:                             ;   in Loop: Header=BB166_3 Depth=1
	s_or_b64 exec, exec, s[10:11]
	s_waitcnt vmcnt(0)
	ds_bpermute_b32 v203, v162, v132
	ds_bpermute_b32 v204, v162, v132 offset:4
	v_mul_f32_e32 v164, v164, v165
	v_mul_f32_e32 v165, v167, v168
	ds_bpermute_b32 v167, v162, v132 offset:8
	s_waitcnt lgkmcnt(2)
	v_fma_f32 v168, v164, v203, v163
	ds_bpermute_b32 v164, v162, v132 offset:12
	s_waitcnt lgkmcnt(2)
	v_fmac_f32_e32 v168, v165, v204
	v_mul_f32_e32 v165, v166, v169
	s_waitcnt lgkmcnt(1)
	v_fmac_f32_e32 v168, v165, v167
	ds_bpermute_b32 v165, v162, v132 offset:16
	v_mul_f32_e32 v166, v171, v172
	s_waitcnt lgkmcnt(1)
	v_fmac_f32_e32 v168, v166, v164
	ds_bpermute_b32 v164, v162, v132 offset:20
	;; [unrolled: 4-line block ×10, first 2 shown]
	v_mul_f32_e32 v166, v186, v189
	s_waitcnt lgkmcnt(1)
	v_fmac_f32_e32 v168, v166, v165
	v_mul_f32_e32 v165, v191, v192
	ds_bpermute_b32 v166, v162, v132 offset:56
	s_waitcnt lgkmcnt(1)
	v_fmac_f32_e32 v168, v165, v164
	ds_bpermute_b32 v164, v162, v132 offset:60
	ds_bpermute_b32 v167, v162, v132 offset:64
	v_mul_f32_e32 v165, v190, v193
	s_waitcnt lgkmcnt(2)
	v_fmac_f32_e32 v168, v165, v166
	v_mul_f32_e32 v165, v195, v196
	s_waitcnt lgkmcnt(1)
	v_fmac_f32_e32 v168, v165, v164
	v_mul_f32_e32 v164, v194, v197
	ds_bpermute_b32 v166, v162, v132 offset:68
	s_waitcnt lgkmcnt(1)
	v_fmac_f32_e32 v168, v164, v167
	ds_bpermute_b32 v169, v162, v132 offset:72
	ds_bpermute_b32 v164, v162, v132 offset:76
	ds_bpermute_b32 v165, v162, v132 offset:80
	v_mul_f32_e32 v167, v199, v200
	s_waitcnt lgkmcnt(3)
	v_fmac_f32_e32 v168, v167, v166
	v_mul_f32_e32 v166, v198, v201
	v_pk_mul_f32 v[138:139], v[138:139], v[140:141]
	ds_bpermute_b32 v140, v162, v132 offset:84
	ds_bpermute_b32 v141, v162, v132 offset:88
	s_waitcnt lgkmcnt(4)
	v_fmac_f32_e32 v168, v166, v169
	s_waitcnt lgkmcnt(2)
	v_pk_mul_f32 v[138:139], v[138:139], v[164:165]
	v_add_f32_e32 v138, v168, v138
	v_add_f32_e32 v164, v138, v139
	v_pk_mul_f32 v[138:139], v[142:143], v[144:145]
	ds_bpermute_b32 v142, v162, v132 offset:92
	ds_bpermute_b32 v143, v162, v132 offset:96
	s_waitcnt lgkmcnt(2)
	v_pk_mul_f32 v[138:139], v[138:139], v[140:141]
	v_add_f32_e32 v138, v164, v138
	v_add_f32_e32 v140, v138, v139
	v_pk_mul_f32 v[138:139], v[146:147], v[148:149]
	s_waitcnt lgkmcnt(0)
	v_pk_mul_f32 v[138:139], v[138:139], v[142:143]
	v_add_f32_e32 v138, v140, v138
	ds_bpermute_b32 v140, v162, v132 offset:100
	ds_bpermute_b32 v141, v162, v132 offset:104
	;; [unrolled: 1-line block ×4, first 2 shown]
	v_add_f32_e32 v144, v138, v139
	v_pk_mul_f32 v[138:139], v[150:151], v[152:153]
	s_waitcnt lgkmcnt(2)
	v_pk_mul_f32 v[138:139], v[138:139], v[140:141]
	v_add_f32_e32 v138, v144, v138
	ds_bpermute_b32 v140, v162, v132 offset:116
	ds_bpermute_b32 v141, v162, v132 offset:120
	v_add_f32_e32 v144, v138, v139
	v_pk_mul_f32 v[138:139], v[154:155], v[156:157]
	s_waitcnt lgkmcnt(2)
	v_pk_mul_f32 v[138:139], v[138:139], v[142:143]
	v_add_f32_e32 v138, v144, v138
	ds_bpermute_b32 v132, v162, v132 offset:124
	v_add_f32_e32 v142, v138, v139
	v_pk_mul_f32 v[138:139], v[158:159], v[160:161]
	s_waitcnt lgkmcnt(1)
	v_pk_mul_f32 v[138:139], v[138:139], v[140:141]
	v_add_f32_e32 v138, v142, v138
	v_add_f32_e32 v138, v138, v139
	s_branch .LBB166_141
.LBB166_73:                             ;   in Loop: Header=BB166_3 Depth=1
                                        ; implicit-def: $vgpr138
                                        ; implicit-def: $vgpr202
                                        ; implicit-def: $vgpr132
	s_cbranch_execz .LBB166_141
; %bb.74:                               ;   in Loop: Header=BB166_3 Depth=1
	s_load_dword s10, s[24:25], 0x0
	v_mov_b32_e32 v160, 0
	s_waitcnt lgkmcnt(0)
	s_cmp_lt_u32 s6, s10
	s_cselect_b32 s10, 12, 18
	s_add_u32 s10, s24, s10
	s_addc_u32 s11, s25, 0
	global_load_ushort v132, v133, s[10:11]
	s_waitcnt vmcnt(0)
	v_mad_u32_u24 v132, v0, v132, v131
	v_and_b32_e32 v138, 63, v132
	v_cmp_gt_u32_e32 vcc, 32, v138
	v_mov_b32_e32 v132, 0
	s_and_saveexec_b64 s[10:11], vcc
	s_cbranch_execz .LBB166_78
; %bb.75:                               ;   in Loop: Header=BB166_3 Depth=1
	v_add_co_u32_e32 v136, vcc, v136, v138
	v_addc_co_u32_e32 v137, vcc, 0, v137, vcc
	v_cmp_gt_i64_e32 vcc, s[12:13], v[136:137]
	v_mov_b32_e32 v132, 0
	s_and_saveexec_b64 s[34:35], vcc
	s_cbranch_execz .LBB166_77
; %bb.76:                               ;   in Loop: Header=BB166_3 Depth=1
	v_lshlrev_b64 v[136:137], 2, v[136:137]
	v_mov_b32_e32 v132, s21
	v_add_co_u32_e32 v136, vcc, s20, v136
	v_addc_co_u32_e32 v137, vcc, v132, v137, vcc
	global_load_dword v132, v[136:137], off
.LBB166_77:                             ;   in Loop: Header=BB166_3 Depth=1
	s_or_b64 exec, exec, s[34:35]
.LBB166_78:                             ;   in Loop: Header=BB166_3 Depth=1
	s_or_b64 exec, exec, s[10:11]
	v_mov_b32_e32 v161, 0
	s_and_saveexec_b64 s[10:11], s[2:3]
	s_cbranch_execz .LBB166_80
; %bb.79:                               ;   in Loop: Header=BB166_3 Depth=1
	v_add_co_u32_e32 v136, vcc, v128, v134
	v_addc_co_u32_e32 v137, vcc, v125, v135, vcc
	global_load_ushort v138, v[136:137], off
	v_add_co_u32_e32 v136, vcc, v130, v134
	v_addc_co_u32_e32 v137, vcc, v127, v135, vcc
	global_load_ushort v136, v[136:137], off
	s_waitcnt vmcnt(1)
	v_cvt_f32_f16_e32 v160, v138
	s_waitcnt vmcnt(0)
	v_cvt_f32_f16_e32 v161, v136
.LBB166_80:                             ;   in Loop: Header=BB166_3 Depth=1
	s_or_b64 exec, exec, s[10:11]
	v_mov_b32_e32 v164, 0
	v_mov_b32_e32 v165, 0
	v_mov_b32_e32 v166, 0
	s_and_saveexec_b64 s[10:11], s[2:3]
	s_cbranch_execz .LBB166_82
; %bb.81:                               ;   in Loop: Header=BB166_3 Depth=1
	v_add_co_u32_e32 v136, vcc, v124, v134
	v_addc_co_u32_e32 v137, vcc, v121, v135, vcc
	global_load_ushort v138, v[136:137], off
	v_add_co_u32_e32 v136, vcc, v126, v134
	v_addc_co_u32_e32 v137, vcc, v123, v135, vcc
	global_load_ushort v136, v[136:137], off
	s_waitcnt vmcnt(1)
	v_cvt_f32_f16_e32 v165, v138
	s_waitcnt vmcnt(0)
	v_cvt_f32_f16_e32 v166, v136
.LBB166_82:                             ;   in Loop: Header=BB166_3 Depth=1
	s_or_b64 exec, exec, s[10:11]
	v_mov_b32_e32 v167, 0
	s_and_saveexec_b64 s[10:11], s[2:3]
	s_cbranch_execz .LBB166_84
; %bb.83:                               ;   in Loop: Header=BB166_3 Depth=1
	v_add_co_u32_e32 v136, vcc, v120, v134
	v_addc_co_u32_e32 v137, vcc, v117, v135, vcc
	global_load_ushort v138, v[136:137], off
	v_add_co_u32_e32 v136, vcc, v122, v134
	v_addc_co_u32_e32 v137, vcc, v119, v135, vcc
	global_load_ushort v136, v[136:137], off
	s_waitcnt vmcnt(1)
	v_cvt_f32_f16_e32 v164, v138
	s_waitcnt vmcnt(0)
	v_cvt_f32_f16_e32 v167, v136
.LBB166_84:                             ;   in Loop: Header=BB166_3 Depth=1
	s_or_b64 exec, exec, s[10:11]
	v_mov_b32_e32 v168, 0
	v_mov_b32_e32 v169, 0
	v_mov_b32_e32 v170, 0
	s_and_saveexec_b64 s[10:11], s[2:3]
	s_cbranch_execz .LBB166_86
; %bb.85:                               ;   in Loop: Header=BB166_3 Depth=1
	v_add_co_u32_e32 v136, vcc, v116, v134
	v_addc_co_u32_e32 v137, vcc, v113, v135, vcc
	global_load_ushort v138, v[136:137], off
	v_add_co_u32_e32 v136, vcc, v118, v134
	v_addc_co_u32_e32 v137, vcc, v115, v135, vcc
	global_load_ushort v136, v[136:137], off
	s_waitcnt vmcnt(1)
	v_cvt_f32_f16_e32 v169, v138
	s_waitcnt vmcnt(0)
	v_cvt_f32_f16_e32 v170, v136
.LBB166_86:                             ;   in Loop: Header=BB166_3 Depth=1
	;; [unrolled: 34-line block ×5, first 2 shown]
	s_or_b64 exec, exec, s[10:11]
	v_mov_b32_e32 v183, 0
	s_and_saveexec_b64 s[10:11], s[2:3]
	s_cbranch_execz .LBB166_100
; %bb.99:                               ;   in Loop: Header=BB166_3 Depth=1
	v_add_co_u32_e32 v136, vcc, v88, v134
	v_addc_co_u32_e32 v137, vcc, v85, v135, vcc
	global_load_ushort v138, v[136:137], off
	v_add_co_u32_e32 v136, vcc, v90, v134
	v_addc_co_u32_e32 v137, vcc, v87, v135, vcc
	global_load_ushort v136, v[136:137], off
	s_waitcnt vmcnt(1)
	v_cvt_f32_f16_e32 v180, v138
	s_waitcnt vmcnt(0)
	v_cvt_f32_f16_e32 v183, v136
.LBB166_100:                            ;   in Loop: Header=BB166_3 Depth=1
	s_or_b64 exec, exec, s[10:11]
	v_mov_b32_e32 v184, 0
	v_mov_b32_e32 v185, 0
	v_mov_b32_e32 v186, 0
	s_and_saveexec_b64 s[10:11], s[2:3]
	s_cbranch_execz .LBB166_102
; %bb.101:                              ;   in Loop: Header=BB166_3 Depth=1
	v_add_co_u32_e32 v136, vcc, v84, v134
	v_addc_co_u32_e32 v137, vcc, v81, v135, vcc
	global_load_ushort v138, v[136:137], off
	v_add_co_u32_e32 v136, vcc, v86, v134
	v_addc_co_u32_e32 v137, vcc, v83, v135, vcc
	global_load_ushort v136, v[136:137], off
	s_waitcnt vmcnt(1)
	v_cvt_f32_f16_e32 v185, v138
	s_waitcnt vmcnt(0)
	v_cvt_f32_f16_e32 v186, v136
.LBB166_102:                            ;   in Loop: Header=BB166_3 Depth=1
	s_or_b64 exec, exec, s[10:11]
	v_mov_b32_e32 v187, 0
	s_and_saveexec_b64 s[10:11], s[2:3]
	s_cbranch_execz .LBB166_104
; %bb.103:                              ;   in Loop: Header=BB166_3 Depth=1
	v_add_co_u32_e32 v136, vcc, v80, v134
	v_addc_co_u32_e32 v137, vcc, v77, v135, vcc
	global_load_ushort v138, v[136:137], off
	v_add_co_u32_e32 v136, vcc, v82, v134
	v_addc_co_u32_e32 v137, vcc, v79, v135, vcc
	global_load_ushort v136, v[136:137], off
	s_waitcnt vmcnt(1)
	v_cvt_f32_f16_e32 v184, v138
	s_waitcnt vmcnt(0)
	v_cvt_f32_f16_e32 v187, v136
.LBB166_104:                            ;   in Loop: Header=BB166_3 Depth=1
	s_or_b64 exec, exec, s[10:11]
	v_mov_b32_e32 v188, 0
	v_mov_b32_e32 v189, 0
	v_mov_b32_e32 v190, 0
	s_and_saveexec_b64 s[10:11], s[2:3]
	s_cbranch_execz .LBB166_106
; %bb.105:                              ;   in Loop: Header=BB166_3 Depth=1
	v_add_co_u32_e32 v136, vcc, v76, v134
	v_addc_co_u32_e32 v137, vcc, v73, v135, vcc
	global_load_ushort v138, v[136:137], off
	v_add_co_u32_e32 v136, vcc, v78, v134
	v_addc_co_u32_e32 v137, vcc, v75, v135, vcc
	global_load_ushort v136, v[136:137], off
	s_waitcnt vmcnt(1)
	v_cvt_f32_f16_e32 v189, v138
	s_waitcnt vmcnt(0)
	v_cvt_f32_f16_e32 v190, v136
.LBB166_106:                            ;   in Loop: Header=BB166_3 Depth=1
	s_or_b64 exec, exec, s[10:11]
	v_mov_b32_e32 v191, 0
	s_and_saveexec_b64 s[10:11], s[2:3]
	s_cbranch_execz .LBB166_108
; %bb.107:                              ;   in Loop: Header=BB166_3 Depth=1
	v_add_co_u32_e32 v136, vcc, v72, v134
	v_addc_co_u32_e32 v137, vcc, v69, v135, vcc
	global_load_ushort v138, v[136:137], off
	v_add_co_u32_e32 v136, vcc, v74, v134
	v_addc_co_u32_e32 v137, vcc, v71, v135, vcc
	global_load_ushort v136, v[136:137], off
	s_waitcnt vmcnt(1)
	v_cvt_f32_f16_e32 v188, v138
	s_waitcnt vmcnt(0)
	v_cvt_f32_f16_e32 v191, v136
.LBB166_108:                            ;   in Loop: Header=BB166_3 Depth=1
	;; [unrolled: 34-line block ×9, first 2 shown]
	s_or_b64 exec, exec, s[10:11]
	v_mov_b32_e32 v157, 0
	v_mov_b32_e32 v156, 0
	;; [unrolled: 1-line block ×3, first 2 shown]
	s_and_saveexec_b64 s[10:11], s[2:3]
	s_cbranch_execnz .LBB166_143
; %bb.137:                              ;   in Loop: Header=BB166_3 Depth=1
	s_or_b64 exec, exec, s[10:11]
	v_mov_b32_e32 v159, 0
	s_and_saveexec_b64 s[10:11], s[2:3]
	s_cbranch_execnz .LBB166_144
.LBB166_138:                            ;   in Loop: Header=BB166_3 Depth=1
	s_or_b64 exec, exec, s[10:11]
	v_mov_b32_e32 v202, 0
	s_and_saveexec_b64 s[10:11], s[2:3]
	s_cbranch_execz .LBB166_140
.LBB166_139:                            ;   in Loop: Header=BB166_3 Depth=1
	v_add_co_u32_e32 v200, vcc, v4, v134
	v_addc_co_u32_e32 v201, vcc, v1, v135, vcc
	global_load_ushort v202, v[200:201], off
	v_add_co_u32_e32 v200, vcc, v6, v134
	v_addc_co_u32_e32 v201, vcc, v3, v135, vcc
	global_load_ushort v200, v[200:201], off
	s_waitcnt vmcnt(1)
	v_cvt_f32_f16_e32 v201, v202
	s_waitcnt vmcnt(0)
	v_cvt_f32_f16_e32 v200, v200
	v_mul_f32_e32 v202, v201, v200
.LBB166_140:                            ;   in Loop: Header=BB166_3 Depth=1
	s_or_b64 exec, exec, s[10:11]
	s_waitcnt vmcnt(0)
	ds_bpermute_b32 v200, v162, v132
	ds_bpermute_b32 v201, v162, v132 offset:4
	v_mul_f32_e32 v160, v160, v161
	v_mul_f32_e32 v161, v165, v166
	ds_bpermute_b32 v165, v162, v132 offset:8
	s_waitcnt lgkmcnt(2)
	v_fmac_f32_e32 v163, v160, v200
	ds_bpermute_b32 v160, v162, v132 offset:12
	s_waitcnt lgkmcnt(2)
	v_fmac_f32_e32 v163, v161, v201
	v_mul_f32_e32 v161, v164, v167
	s_waitcnt lgkmcnt(1)
	v_fmac_f32_e32 v163, v161, v165
	ds_bpermute_b32 v161, v162, v132 offset:16
	v_mul_f32_e32 v164, v169, v170
	s_waitcnt lgkmcnt(1)
	v_fmac_f32_e32 v163, v164, v160
	ds_bpermute_b32 v160, v162, v132 offset:20
	;; [unrolled: 4-line block ×10, first 2 shown]
	v_mul_f32_e32 v164, v184, v187
	s_waitcnt lgkmcnt(1)
	v_fmac_f32_e32 v163, v164, v161
	v_mul_f32_e32 v161, v189, v190
	ds_bpermute_b32 v164, v162, v132 offset:56
	s_waitcnt lgkmcnt(1)
	v_fmac_f32_e32 v163, v161, v160
	ds_bpermute_b32 v160, v162, v132 offset:60
	ds_bpermute_b32 v165, v162, v132 offset:64
	v_mul_f32_e32 v161, v188, v191
	s_waitcnt lgkmcnt(2)
	v_fmac_f32_e32 v163, v161, v164
	v_mul_f32_e32 v161, v193, v194
	s_waitcnt lgkmcnt(1)
	v_fmac_f32_e32 v163, v161, v160
	v_mul_f32_e32 v160, v192, v195
	ds_bpermute_b32 v164, v162, v132 offset:68
	s_waitcnt lgkmcnt(1)
	v_fmac_f32_e32 v163, v160, v165
	ds_bpermute_b32 v166, v162, v132 offset:72
	ds_bpermute_b32 v160, v162, v132 offset:76
	;; [unrolled: 1-line block ×3, first 2 shown]
	v_mul_f32_e32 v165, v197, v198
	s_waitcnt lgkmcnt(3)
	v_fmac_f32_e32 v163, v165, v164
	v_mul_f32_e32 v164, v196, v199
	v_pk_mul_f32 v[136:137], v[136:137], v[138:139]
	ds_bpermute_b32 v138, v162, v132 offset:84
	ds_bpermute_b32 v139, v162, v132 offset:88
	s_waitcnt lgkmcnt(4)
	v_fmac_f32_e32 v163, v164, v166
	s_waitcnt lgkmcnt(2)
	v_pk_mul_f32 v[136:137], v[136:137], v[160:161]
	v_add_f32_e32 v136, v163, v136
	v_add_f32_e32 v160, v136, v137
	v_pk_mul_f32 v[136:137], v[140:141], v[142:143]
	ds_bpermute_b32 v140, v162, v132 offset:92
	ds_bpermute_b32 v141, v162, v132 offset:96
	s_waitcnt lgkmcnt(2)
	v_pk_mul_f32 v[136:137], v[136:137], v[138:139]
	v_add_f32_e32 v136, v160, v136
	v_add_f32_e32 v138, v136, v137
	v_pk_mul_f32 v[136:137], v[144:145], v[146:147]
	s_waitcnt lgkmcnt(0)
	v_pk_mul_f32 v[136:137], v[136:137], v[140:141]
	v_add_f32_e32 v136, v138, v136
	ds_bpermute_b32 v138, v162, v132 offset:100
	ds_bpermute_b32 v139, v162, v132 offset:104
	;; [unrolled: 1-line block ×4, first 2 shown]
	v_add_f32_e32 v142, v136, v137
	v_pk_mul_f32 v[136:137], v[148:149], v[150:151]
	s_waitcnt lgkmcnt(2)
	v_pk_mul_f32 v[136:137], v[136:137], v[138:139]
	v_add_f32_e32 v136, v142, v136
	ds_bpermute_b32 v138, v162, v132 offset:116
	ds_bpermute_b32 v139, v162, v132 offset:120
	v_add_f32_e32 v142, v136, v137
	v_pk_mul_f32 v[136:137], v[152:153], v[154:155]
	s_waitcnt lgkmcnt(2)
	v_pk_mul_f32 v[136:137], v[136:137], v[140:141]
	v_add_f32_e32 v136, v142, v136
	v_add_f32_e32 v140, v136, v137
	v_pk_mul_f32 v[136:137], v[156:157], v[158:159]
	s_waitcnt lgkmcnt(0)
	v_pk_mul_f32 v[136:137], v[136:137], v[138:139]
	v_add_f32_e32 v136, v140, v136
	ds_bpermute_b32 v132, v162, v132 offset:124
	v_add_f32_e32 v138, v136, v137
.LBB166_141:                            ;   in Loop: Header=BB166_3 Depth=1
	s_waitcnt lgkmcnt(0)
	v_fmac_f32_e32 v138, v202, v132
	v_mov_b32_e32 v132, s7
	v_add_co_u32_e64 v2, s[10:11], s33, v2
	v_addc_co_u32_e64 v129, s[10:11], v129, v132, s[10:11]
	v_mov_b32_e32 v132, s29
	v_add_co_u32_e64 v4, s[10:11], s28, v4
	v_addc_co_u32_e64 v1, s[10:11], v1, v132, s[10:11]
	v_add_co_u32_e64 v6, s[10:11], s28, v6
	v_addc_co_u32_e64 v3, s[10:11], v3, v132, s[10:11]
	;; [unrolled: 2-line block ×62, first 2 shown]
	s_add_u32 s30, s30, s33
	v_add_co_u32_e64 v128, s[10:11], s28, v128
	s_addc_u32 s31, s31, 0
	v_pk_mov_b32 v[136:137], s[12:13], s[12:13] op_sel:[0,1]
	v_addc_co_u32_e64 v125, s[10:11], v125, v132, s[10:11]
	v_cmp_lt_i64_e32 vcc, s[30:31], v[136:137]
	v_add_co_u32_e64 v130, s[10:11], s28, v130
	s_add_u32 s26, s26, s33
	v_addc_co_u32_e64 v127, s[10:11], v127, v132, s[10:11]
	s_addc_u32 s27, s27, 0
	s_cbranch_vccz .LBB166_146
; %bb.142:                              ;   in Loop: Header=BB166_3 Depth=1
	v_mov_b32_e32 v163, v138
	s_branch .LBB166_3
.LBB166_143:                            ;   in Loop: Header=BB166_3 Depth=1
	v_add_co_u32_e32 v158, vcc, v12, v134
	v_addc_co_u32_e32 v159, vcc, v9, v135, vcc
	global_load_ushort v156, v[158:159], off
	v_add_co_u32_e32 v158, vcc, v14, v134
	v_addc_co_u32_e32 v159, vcc, v11, v135, vcc
	global_load_ushort v158, v[158:159], off
	s_waitcnt vmcnt(1)
	v_cvt_f32_f16_e32 v156, v156
	s_waitcnt vmcnt(0)
	v_cvt_f32_f16_e32 v158, v158
	s_or_b64 exec, exec, s[10:11]
	v_mov_b32_e32 v159, 0
	s_and_saveexec_b64 s[10:11], s[2:3]
	s_cbranch_execz .LBB166_138
.LBB166_144:                            ;   in Loop: Header=BB166_3 Depth=1
	v_add_co_u32_e32 v200, vcc, v8, v134
	v_addc_co_u32_e32 v201, vcc, v5, v135, vcc
	global_load_ushort v157, v[200:201], off
	v_add_co_u32_e32 v200, vcc, v10, v134
	v_addc_co_u32_e32 v201, vcc, v7, v135, vcc
	global_load_ushort v159, v[200:201], off
	s_waitcnt vmcnt(1)
	v_cvt_f32_f16_e32 v157, v157
	s_waitcnt vmcnt(0)
	v_cvt_f32_f16_e32 v159, v159
	s_or_b64 exec, exec, s[10:11]
	v_mov_b32_e32 v202, 0
	s_and_saveexec_b64 s[10:11], s[2:3]
	s_cbranch_execnz .LBB166_139
	s_branch .LBB166_140
.LBB166_145:
                                        ; implicit-def: $vgpr138
	s_load_dwordx2 s[2:3], s[4:5], 0x30
	s_branch .LBB166_147
.LBB166_146:
	s_load_dwordx2 s[2:3], s[4:5], 0x30
	s_cbranch_execnz .LBB166_228
.LBB166_147:
	s_and_b64 vcc, exec, s[0:1]
	v_mov_b32_e32 v138, 0
	s_cbranch_vccnz .LBB166_228
; %bb.148:
	v_bfe_u32 v128, v253, 10, 10
	s_add_u32 s10, s4, 64
	s_addc_u32 s11, s5, 0
	v_lshlrev_b32_e32 v0, 6, v128
	s_lshl_b64 s[0:1], s[22:23], 1
	v_mov_b32_e32 v1, s1
	v_add_co_u32_e32 v0, vcc, s0, v0
	v_addc_co_u32_e32 v1, vcc, 0, v1, vcc
	v_add_co_u32_e32 v22, vcc, 2, v0
	v_addc_co_u32_e32 v4, vcc, 0, v1, vcc
	;; [unrolled: 2-line block ×10, first 2 shown]
	v_add_co_u32_e32 v50, vcc, 20, v0
	v_pk_mov_b32 v[122:123], s[16:17], s[16:17] op_sel:[0,1]
	v_addc_co_u32_e32 v23, vcc, 0, v1, vcc
	v_pk_mov_b32 v[124:125], s[18:19], s[18:19] op_sel:[0,1]
	v_mad_u64_u32 v[2:3], s[0:1], s14, v22, v[122:123]
	v_mul_lo_u32 v24, s14, v4
	v_mul_lo_u32 v25, s15, v22
	;; [unrolled: 1-line block ×3, first 2 shown]
	v_mad_u64_u32 v[22:23], s[0:1], s14, v22, v[124:125]
	v_add3_u32 v3, v25, v3, v24
	v_mad_u64_u32 v[4:5], s[0:1], s14, v26, v[122:123]
	v_mul_lo_u32 v27, s14, v6
	v_mul_lo_u32 v28, s15, v26
	v_add3_u32 v23, v25, v23, v24
	v_mad_u64_u32 v[24:25], s[0:1], s14, v26, v[124:125]
	v_add3_u32 v5, v28, v5, v27
	v_mad_u64_u32 v[6:7], s[0:1], s14, v29, v[122:123]
	v_mul_lo_u32 v30, s14, v8
	v_mul_lo_u32 v31, s15, v29
	v_add3_u32 v25, v28, v25, v27
	v_mad_u64_u32 v[26:27], s[0:1], s14, v29, v[124:125]
	v_add3_u32 v7, v31, v7, v30
	v_mad_u64_u32 v[8:9], s[0:1], s14, v32, v[122:123]
	v_mul_lo_u32 v33, s14, v10
	v_mul_lo_u32 v34, s15, v32
	v_add_co_u32_e32 v53, vcc, 22, v0
	v_add3_u32 v27, v31, v27, v30
	v_mad_u64_u32 v[30:31], s[0:1], s14, v32, v[124:125]
	v_add3_u32 v9, v34, v9, v33
	v_mad_u64_u32 v[10:11], s[0:1], s14, v35, v[122:123]
	v_mul_lo_u32 v36, s14, v12
	v_mul_lo_u32 v37, s15, v35
	v_mad_u64_u32 v[12:13], s[0:1], s14, v38, v[122:123]
	v_mul_lo_u32 v39, s14, v14
	v_mul_lo_u32 v40, s15, v38
	v_addc_co_u32_e32 v54, vcc, 0, v1, vcc
	v_add3_u32 v31, v34, v31, v33
	v_mad_u64_u32 v[32:33], s[0:1], s14, v35, v[124:125]
	v_mad_u64_u32 v[34:35], s[0:1], s14, v38, v[124:125]
	v_add3_u32 v13, v40, v13, v39
	v_mul_lo_u32 v42, s14, v16
	v_mad_u64_u32 v[16:17], s[0:1], s14, v44, v[122:123]
	v_mul_lo_u32 v45, s14, v18
	v_mul_lo_u32 v46, s15, v44
	v_add3_u32 v35, v40, v35, v39
	v_add_co_u32_e32 v56, vcc, 24, v0
	v_mad_u64_u32 v[38:39], s[0:1], s14, v44, v[124:125]
	v_add3_u32 v17, v46, v17, v45
	v_mul_lo_u32 v48, s14, v20
	v_mad_u64_u32 v[20:21], s[0:1], s14, v50, v[122:123]
	v_mul_lo_u32 v52, s15, v50
	v_addc_co_u32_e32 v57, vcc, 0, v1, vcc
	v_add3_u32 v39, v46, v39, v45
	v_mad_u64_u32 v[44:45], s[0:1], s14, v50, v[124:125]
	v_add3_u32 v11, v37, v11, v36
	v_mad_u64_u32 v[14:15], s[0:1], s14, v41, v[122:123]
	v_mul_lo_u32 v43, s15, v41
	v_add3_u32 v21, v52, v21, v51
	v_add3_u32 v33, v37, v33, v36
	v_mad_u64_u32 v[36:37], s[0:1], s14, v41, v[124:125]
	v_add3_u32 v45, v52, v45, v51
	v_add_co_u32_e32 v52, vcc, 26, v0
	v_add3_u32 v15, v43, v15, v42
	v_mad_u64_u32 v[18:19], s[0:1], s14, v47, v[122:123]
	v_mul_lo_u32 v49, s15, v47
	v_mad_u64_u32 v[28:29], s[0:1], s14, v53, v[122:123]
	v_mul_lo_u32 v54, s14, v54
	v_mul_lo_u32 v55, s15, v53
	v_add3_u32 v37, v43, v37, v42
	v_mad_u64_u32 v[42:43], s[0:1], s14, v47, v[124:125]
	v_mad_u64_u32 v[46:47], s[0:1], s14, v53, v[124:125]
	v_addc_co_u32_e32 v53, vcc, 0, v1, vcc
	v_add3_u32 v19, v49, v19, v48
	v_add3_u32 v29, v55, v29, v54
	v_mad_u64_u32 v[40:41], s[0:1], s14, v56, v[122:123]
	v_add3_u32 v43, v49, v43, v48
	v_mul_lo_u32 v58, s15, v56
	v_add3_u32 v47, v55, v47, v54
	v_mad_u64_u32 v[48:49], s[0:1], s14, v56, v[124:125]
	v_mad_u64_u32 v[50:51], s[0:1], s14, v52, v[122:123]
	v_mul_lo_u32 v54, s14, v53
	v_mul_lo_u32 v55, s15, v52
	v_mad_u64_u32 v[52:53], s[0:1], s14, v52, v[124:125]
	v_add_co_u32_e32 v56, vcc, 28, v0
	v_mul_lo_u32 v57, s14, v57
	v_add3_u32 v51, v55, v51, v54
	v_add3_u32 v53, v55, v53, v54
	v_addc_co_u32_e32 v54, vcc, 0, v1, vcc
	v_add3_u32 v41, v58, v41, v57
	v_add3_u32 v49, v58, v49, v57
	v_mul_lo_u32 v58, s14, v54
	v_mul_lo_u32 v59, s15, v56
	v_mad_u64_u32 v[54:55], s[0:1], s14, v56, v[122:123]
	v_mad_u64_u32 v[56:57], s[0:1], s14, v56, v[124:125]
	v_add_co_u32_e32 v60, vcc, 30, v0
	v_add3_u32 v55, v59, v55, v58
	v_add3_u32 v57, v59, v57, v58
	v_addc_co_u32_e32 v58, vcc, 0, v1, vcc
	v_mul_lo_u32 v62, s14, v58
	v_mul_lo_u32 v63, s15, v60
	v_mad_u64_u32 v[58:59], s[0:1], s14, v60, v[122:123]
	v_mad_u64_u32 v[60:61], s[0:1], s14, v60, v[124:125]
	v_add_co_u32_e32 v64, vcc, 32, v0
	v_add3_u32 v59, v63, v59, v62
	v_add3_u32 v61, v63, v61, v62
	v_addc_co_u32_e32 v62, vcc, 0, v1, vcc
	;; [unrolled: 8-line block ×16, first 2 shown]
	v_add_co_u32_e32 v0, vcc, 62, v0
	v_mul_lo_u32 v126, s14, v118
	v_mul_lo_u32 v127, s15, v120
	v_mad_u64_u32 v[118:119], s[0:1], s14, v120, v[122:123]
	v_mad_u64_u32 v[120:121], s[0:1], s14, v120, v[124:125]
	v_addc_co_u32_e32 v1, vcc, 0, v1, vcc
	v_add3_u32 v119, v127, v119, v126
	v_add3_u32 v121, v127, v121, v126
	v_mad_u64_u32 v[122:123], s[0:1], s14, v0, v[122:123]
	v_mul_lo_u32 v1, s14, v1
	v_mad_u64_u32 v[124:125], s[0:1], s14, v0, v[124:125]
	v_mul_lo_u32 v0, s15, v0
	v_lshlrev_b32_e32 v126, 5, v128
	v_add3_u32 v123, v0, v123, v1
	v_add3_u32 v125, v0, v125, v1
	v_mov_b32_e32 v1, s23
	v_add_co_u32_e32 v0, vcc, s22, v126
	v_addc_co_u32_e32 v1, vcc, 0, v1, vcc
	v_add_co_u32_e32 v127, vcc, 31, v0
	v_accvgpr_write_b32 a1, v128
	v_addc_co_u32_e32 v128, vcc, 0, v1, vcc
	v_mul_lo_u32 v128, s14, v128
	v_mul_lo_u32 v129, s15, v127
	v_mad_u64_u32 v[132:133], s[0:1], s14, v127, 0
	v_add_co_u32_e32 v127, vcc, 30, v0
	v_add3_u32 v133, v133, v128, v129
	v_addc_co_u32_e32 v128, vcc, 0, v1, vcc
	v_mul_lo_u32 v128, s14, v128
	v_mul_lo_u32 v129, s15, v127
	v_mad_u64_u32 v[134:135], s[0:1], s14, v127, 0
	v_add_co_u32_e32 v127, vcc, 29, v0
	v_add3_u32 v135, v135, v128, v129
	;; [unrolled: 6-line block ×29, first 2 shown]
	v_addc_co_u32_e32 v128, vcc, 0, v1, vcc
	v_mul_lo_u32 v128, s14, v128
	v_mul_lo_u32 v129, s15, v127
	v_mad_u64_u32 v[170:171], s[0:1], s14, v127, 0
	v_add3_u32 v171, v171, v128, v129
	v_pk_mov_b32 v[128:129], s[14:15], s[14:15] op_sel:[0,1]
	v_mul_lo_u32 v127, s14, v1
	v_mad_u64_u32 v[172:173], s[0:1], s14, v0, v[128:129]
	v_mul_lo_u32 v128, s15, v0
	v_mad_u64_u32 v[0:1], s[0:1], s14, v0, 0
	v_add3_u32 v1, v1, v127, v128
	v_lshlrev_b64 v[130:131], 1, v[0:1]
	v_add3_u32 v173, v128, v173, v127
	v_mov_b32_e32 v0, s17
	v_add_co_u32_e32 v128, vcc, s16, v130
	v_addc_co_u32_e32 v1, vcc, v0, v131, vcc
	v_mov_b32_e32 v129, s19
	v_add_co_u32_e32 v130, vcc, s18, v130
	v_addc_co_u32_e32 v127, vcc, v129, v131, vcc
	v_lshlrev_b64 v[132:133], 1, v[132:133]
	v_add_co_u32_e32 v174, vcc, s16, v132
	v_addc_co_u32_e32 v131, vcc, v0, v133, vcc
	v_add_co_u32_e32 v132, vcc, s18, v132
	v_accvgpr_write_b32 a3, v131
	v_accvgpr_write_b32 a4, v132
	v_addc_co_u32_e32 v131, vcc, v129, v133, vcc
	v_lshlrev_b64 v[132:133], 1, v[134:135]
	v_add_co_u32_e32 v134, vcc, s16, v132
	v_accvgpr_write_b32 a5, v131
	v_addc_co_u32_e32 v131, vcc, v0, v133, vcc
	v_add_co_u32_e32 v132, vcc, s18, v132
	v_accvgpr_write_b32 a7, v131
	v_accvgpr_write_b32 a8, v132
	v_addc_co_u32_e32 v131, vcc, v129, v133, vcc
	v_lshlrev_b64 v[132:133], 1, v[136:137]
	v_accvgpr_write_b32 a6, v134
	v_add_co_u32_e32 v134, vcc, s16, v132
	v_accvgpr_write_b32 a9, v131
	v_addc_co_u32_e32 v131, vcc, v0, v133, vcc
	v_add_co_u32_e32 v132, vcc, s18, v132
	v_accvgpr_write_b32 a11, v131
	v_accvgpr_write_b32 a12, v132
	v_addc_co_u32_e32 v131, vcc, v129, v133, vcc
	v_lshlrev_b64 v[132:133], 1, v[138:139]
	v_accvgpr_write_b32 a10, v134
	;; [unrolled: 9-line block ×16, first 2 shown]
	v_add_co_u32_e32 v134, vcc, s16, v132
	v_addc_co_u32_e32 v197, vcc, v0, v133, vcc
	v_add_co_u32_e32 v202, vcc, s18, v132
	v_accvgpr_write_b32 a69, v131
	v_addc_co_u32_e32 v131, vcc, v129, v133, vcc
	v_lshlrev_b64 v[132:133], 1, v[204:205]
	v_add_co_u32_e32 v204, vcc, s16, v132
	v_accvgpr_write_b32 a71, v131
	v_addc_co_u32_e32 v131, vcc, v0, v133, vcc
	v_add_co_u32_e32 v206, vcc, s18, v132
	v_addc_co_u32_e32 v203, vcc, v129, v133, vcc
	v_lshlrev_b64 v[132:133], 1, v[208:209]
	v_add_co_u32_e32 v208, vcc, s16, v132
	v_addc_co_u32_e32 v205, vcc, v0, v133, vcc
	v_add_co_u32_e32 v210, vcc, s18, v132
	v_addc_co_u32_e32 v207, vcc, v129, v133, vcc
	v_lshlrev_b64 v[132:133], 1, v[212:213]
	v_add_co_u32_e32 v212, vcc, s16, v132
	;; [unrolled: 5-line block ×11, first 2 shown]
	v_addc_co_u32_e32 v245, vcc, v0, v133, vcc
	s_load_dword s0, s[4:5], 0x44
	v_add_co_u32_e32 v250, vcc, s18, v132
	v_addc_co_u32_e32 v247, vcc, v129, v133, vcc
	v_lshlrev_b64 v[132:133], 1, v[172:173]
	v_add_co_u32_e32 v252, vcc, s16, v132
	v_addc_co_u32_e32 v249, vcc, v0, v133, vcc
	v_and_b32_e32 v0, 0x3ff, v253
	v_add_co_u32_e32 v254, vcc, s18, v132
	v_accvgpr_write_b32 a72, v0
	v_add_u32_e32 v132, s9, v0
	s_waitcnt lgkmcnt(0)
	s_lshl_b32 s9, s0, 5
	v_mbcnt_lo_u32_b32 v0, -1, 0
	s_mul_i32 s0, s15, s9
	s_mul_hi_u32 s1, s14, s9
	v_mbcnt_hi_u32_b32 v0, -1, v0
	v_addc_co_u32_e32 v251, vcc, v129, v133, vcc
	v_mov_b32_e32 v133, 0
	s_add_i32 s1, s1, s0
	s_mul_i32 s0, s14, s9
	v_lshlrev_b32_e32 v0, 2, v0
	v_accvgpr_write_b32 a2, v174
	v_accvgpr_write_b32 a70, v134
	;; [unrolled: 1-line block ×3, first 2 shown]
	s_mov_b32 s7, 0
	v_accvgpr_write_b32 a0, v253
	s_lshl_b64 s[16:17], s[0:1], 1
	s_mov_b64 s[18:19], 31
	v_and_b32_e32 v0, 0x100, v0
	s_mov_b64 s[24:25], s[22:23]
	v_mov_b32_e32 v129, 0
	v_mov_b32_e32 v253, v133
	v_accvgpr_write_b32 a75, v133
	v_lshlrev_b64 v[132:133], 1, v[132:133]
.LBB166_149:                            ; =>This Inner Loop Header: Depth=1
	s_add_u32 s0, s22, s18
	s_addc_u32 s1, 0, s19
	v_pk_mov_b32 v[134:135], s[12:13], s[12:13] op_sel:[0,1]
	v_cmp_ge_i64_e32 vcc, s[0:1], v[134:135]
	v_mov_b32_e32 v131, s23
	v_add_co_u32_e64 v134, s[0:1], s22, v126
	v_addc_co_u32_e64 v135, s[0:1], v131, v253, s[0:1]
	s_cbranch_vccz .LBB166_219
; %bb.150:                              ;   in Loop: Header=BB166_149 Depth=1
	s_load_dword s0, s[10:11], 0xc
	v_accvgpr_read_b32 v131, a1
	v_accvgpr_read_b32 v136, a72
	v_mov_b32_e32 v156, 0
	s_waitcnt lgkmcnt(0)
	s_and_b32 s0, s0, 0xffff
	v_mad_u32_u24 v131, v131, s0, v136
	v_and_b32_e32 v136, 63, v131
	v_cmp_gt_u32_e32 vcc, 32, v136
	v_mov_b32_e32 v131, 0
	s_and_saveexec_b64 s[0:1], vcc
	s_cbranch_execz .LBB166_154
; %bb.151:                              ;   in Loop: Header=BB166_149 Depth=1
	v_add_co_u32_e32 v136, vcc, v134, v136
	v_addc_co_u32_e32 v137, vcc, 0, v135, vcc
	v_cmp_gt_i64_e32 vcc, s[12:13], v[136:137]
	v_mov_b32_e32 v131, 0
	s_and_saveexec_b64 s[26:27], vcc
	s_cbranch_execz .LBB166_153
; %bb.152:                              ;   in Loop: Header=BB166_149 Depth=1
	v_lshlrev_b64 v[136:137], 2, v[136:137]
	v_mov_b32_e32 v131, s21
	v_add_co_u32_e32 v136, vcc, s20, v136
	v_addc_co_u32_e32 v137, vcc, v131, v137, vcc
	global_load_dword v131, v[136:137], off
.LBB166_153:                            ;   in Loop: Header=BB166_149 Depth=1
	s_or_b64 exec, exec, s[26:27]
.LBB166_154:                            ;   in Loop: Header=BB166_149 Depth=1
	s_or_b64 exec, exec, s[0:1]
	v_cmp_gt_i64_e32 vcc, s[12:13], v[134:135]
	v_mov_b32_e32 v255, 0
	s_and_saveexec_b64 s[0:1], vcc
	s_cbranch_execz .LBB166_156
; %bb.155:                              ;   in Loop: Header=BB166_149 Depth=1
	v_add_co_u32_e32 v136, vcc, v128, v132
	v_addc_co_u32_e32 v137, vcc, v1, v133, vcc
	global_load_ushort v138, v[136:137], off
	v_add_co_u32_e32 v136, vcc, v130, v132
	v_addc_co_u32_e32 v137, vcc, v127, v133, vcc
	global_load_ushort v136, v[136:137], off
	s_waitcnt vmcnt(1)
	v_cvt_f32_f16_e32 v156, v138
	s_waitcnt vmcnt(0)
	v_cvt_f32_f16_e32 v255, v136
.LBB166_156:                            ;   in Loop: Header=BB166_149 Depth=1
	s_or_b64 exec, exec, s[0:1]
	v_add_co_u32_e32 v136, vcc, 1, v134
	v_addc_co_u32_e32 v137, vcc, 0, v135, vcc
	v_cmp_gt_i64_e32 vcc, s[12:13], v[136:137]
	v_mov_b32_e32 v158, 0
	v_mov_b32_e32 v160, 0
	v_mov_b32_e32 v162, 0
	s_and_saveexec_b64 s[0:1], vcc
	s_cbranch_execz .LBB166_158
; %bb.157:                              ;   in Loop: Header=BB166_149 Depth=1
	v_add_co_u32_e32 v136, vcc, v252, v132
	v_addc_co_u32_e32 v137, vcc, v249, v133, vcc
	global_load_ushort v138, v[136:137], off
	v_add_co_u32_e32 v136, vcc, v254, v132
	v_addc_co_u32_e32 v137, vcc, v251, v133, vcc
	global_load_ushort v136, v[136:137], off
	s_waitcnt vmcnt(1)
	v_cvt_f32_f16_e32 v160, v138
	s_waitcnt vmcnt(0)
	v_cvt_f32_f16_e32 v162, v136
.LBB166_158:                            ;   in Loop: Header=BB166_149 Depth=1
	s_or_b64 exec, exec, s[0:1]
	v_add_co_u32_e32 v136, vcc, 2, v134
	v_addc_co_u32_e32 v137, vcc, 0, v135, vcc
	v_cmp_gt_i64_e32 vcc, s[12:13], v[136:137]
	v_mov_b32_e32 v164, 0
	s_and_saveexec_b64 s[0:1], vcc
	s_cbranch_execz .LBB166_160
; %bb.159:                              ;   in Loop: Header=BB166_149 Depth=1
	v_add_co_u32_e32 v136, vcc, v248, v132
	v_addc_co_u32_e32 v137, vcc, v245, v133, vcc
	global_load_ushort v138, v[136:137], off
	v_add_co_u32_e32 v136, vcc, v250, v132
	v_addc_co_u32_e32 v137, vcc, v247, v133, vcc
	global_load_ushort v136, v[136:137], off
	s_waitcnt vmcnt(1)
	v_cvt_f32_f16_e32 v158, v138
	s_waitcnt vmcnt(0)
	v_cvt_f32_f16_e32 v164, v136
.LBB166_160:                            ;   in Loop: Header=BB166_149 Depth=1
	s_or_b64 exec, exec, s[0:1]
	v_add_co_u32_e32 v136, vcc, 3, v134
	v_addc_co_u32_e32 v137, vcc, 0, v135, vcc
	v_cmp_gt_i64_e32 vcc, s[12:13], v[136:137]
	v_mov_b32_e32 v159, 0
	v_mov_b32_e32 v161, 0
	v_mov_b32_e32 v166, 0
	s_and_saveexec_b64 s[0:1], vcc
	s_cbranch_execz .LBB166_162
; %bb.161:                              ;   in Loop: Header=BB166_149 Depth=1
	v_add_co_u32_e32 v136, vcc, v244, v132
	v_addc_co_u32_e32 v137, vcc, v241, v133, vcc
	global_load_ushort v138, v[136:137], off
	v_add_co_u32_e32 v136, vcc, v246, v132
	v_addc_co_u32_e32 v137, vcc, v243, v133, vcc
	global_load_ushort v136, v[136:137], off
	s_waitcnt vmcnt(1)
	v_cvt_f32_f16_e32 v161, v138
	s_waitcnt vmcnt(0)
	v_cvt_f32_f16_e32 v166, v136
.LBB166_162:                            ;   in Loop: Header=BB166_149 Depth=1
	s_or_b64 exec, exec, s[0:1]
	v_add_co_u32_e32 v136, vcc, 4, v134
	v_addc_co_u32_e32 v137, vcc, 0, v135, vcc
	;; [unrolled: 40-line block ×6, first 2 shown]
	v_cmp_gt_i64_e32 vcc, s[12:13], v[136:137]
	v_mov_b32_e32 v184, 0
	s_and_saveexec_b64 s[0:1], vcc
	s_cbranch_execz .LBB166_180
; %bb.179:                              ;   in Loop: Header=BB166_149 Depth=1
	v_add_co_u32_e32 v136, vcc, v208, v132
	v_addc_co_u32_e32 v137, vcc, v205, v133, vcc
	global_load_ushort v138, v[136:137], off
	v_add_co_u32_e32 v136, vcc, v210, v132
	v_addc_co_u32_e32 v137, vcc, v207, v133, vcc
	global_load_ushort v136, v[136:137], off
	s_waitcnt vmcnt(1)
	v_cvt_f32_f16_e32 v175, v138
	s_waitcnt vmcnt(0)
	v_cvt_f32_f16_e32 v184, v136
.LBB166_180:                            ;   in Loop: Header=BB166_149 Depth=1
	s_or_b64 exec, exec, s[0:1]
	v_add_co_u32_e32 v136, vcc, 13, v134
	v_addc_co_u32_e32 v137, vcc, 0, v135, vcc
	v_cmp_gt_i64_e32 vcc, s[12:13], v[136:137]
	v_mov_b32_e32 v179, 0
	v_mov_b32_e32 v181, 0
	;; [unrolled: 1-line block ×3, first 2 shown]
	s_and_saveexec_b64 s[0:1], vcc
	s_cbranch_execz .LBB166_182
; %bb.181:                              ;   in Loop: Header=BB166_149 Depth=1
	v_add_co_u32_e32 v136, vcc, v204, v132
	v_accvgpr_read_b32 v137, a73
	v_addc_co_u32_e32 v137, vcc, v137, v133, vcc
	global_load_ushort v138, v[136:137], off
	v_add_co_u32_e32 v136, vcc, v206, v132
	v_addc_co_u32_e32 v137, vcc, v203, v133, vcc
	global_load_ushort v136, v[136:137], off
	s_waitcnt vmcnt(1)
	v_cvt_f32_f16_e32 v181, v138
	s_waitcnt vmcnt(0)
	v_cvt_f32_f16_e32 v186, v136
.LBB166_182:                            ;   in Loop: Header=BB166_149 Depth=1
	s_or_b64 exec, exec, s[0:1]
	v_add_co_u32_e32 v136, vcc, 14, v134
	v_addc_co_u32_e32 v137, vcc, 0, v135, vcc
	v_cmp_gt_i64_e32 vcc, s[12:13], v[136:137]
	v_mov_b32_e32 v188, 0
	s_and_saveexec_b64 s[0:1], vcc
	s_cbranch_execz .LBB166_184
; %bb.183:                              ;   in Loop: Header=BB166_149 Depth=1
	v_accvgpr_read_b32 v136, a70
	v_add_co_u32_e32 v136, vcc, v136, v132
	v_addc_co_u32_e32 v137, vcc, v197, v133, vcc
	global_load_ushort v138, v[136:137], off
	v_add_co_u32_e32 v136, vcc, v202, v132
	v_accvgpr_read_b32 v137, a71
	v_addc_co_u32_e32 v137, vcc, v137, v133, vcc
	global_load_ushort v136, v[136:137], off
	s_waitcnt vmcnt(1)
	v_cvt_f32_f16_e32 v179, v138
	s_waitcnt vmcnt(0)
	v_cvt_f32_f16_e32 v188, v136
.LBB166_184:                            ;   in Loop: Header=BB166_149 Depth=1
	s_or_b64 exec, exec, s[0:1]
	v_add_co_u32_e32 v136, vcc, 15, v134
	v_addc_co_u32_e32 v137, vcc, 0, v135, vcc
	v_cmp_gt_i64_e32 vcc, s[12:13], v[136:137]
	v_mov_b32_e32 v183, 0
	v_mov_b32_e32 v185, 0
	v_mov_b32_e32 v190, 0
	s_and_saveexec_b64 s[0:1], vcc
	s_cbranch_execz .LBB166_186
; %bb.185:                              ;   in Loop: Header=BB166_149 Depth=1
	v_accvgpr_read_b32 v136, a66
	v_add_co_u32_e32 v136, vcc, v136, v132
	v_accvgpr_read_b32 v137, a67
	v_addc_co_u32_e32 v137, vcc, v137, v133, vcc
	global_load_ushort v138, v[136:137], off
	v_accvgpr_read_b32 v136, a68
	v_add_co_u32_e32 v136, vcc, v136, v132
	v_accvgpr_read_b32 v137, a69
	v_addc_co_u32_e32 v137, vcc, v137, v133, vcc
	global_load_ushort v136, v[136:137], off
	s_waitcnt vmcnt(1)
	v_cvt_f32_f16_e32 v185, v138
	s_waitcnt vmcnt(0)
	v_cvt_f32_f16_e32 v190, v136
.LBB166_186:                            ;   in Loop: Header=BB166_149 Depth=1
	s_or_b64 exec, exec, s[0:1]
	v_add_co_u32_e32 v136, vcc, 16, v134
	v_addc_co_u32_e32 v137, vcc, 0, v135, vcc
	v_cmp_gt_i64_e32 vcc, s[12:13], v[136:137]
	v_mov_b32_e32 v192, 0
	s_and_saveexec_b64 s[0:1], vcc
	s_cbranch_execz .LBB166_188
; %bb.187:                              ;   in Loop: Header=BB166_149 Depth=1
	v_accvgpr_read_b32 v136, a62
	v_add_co_u32_e32 v136, vcc, v136, v132
	v_accvgpr_read_b32 v137, a63
	v_addc_co_u32_e32 v137, vcc, v137, v133, vcc
	global_load_ushort v138, v[136:137], off
	v_accvgpr_read_b32 v136, a64
	v_add_co_u32_e32 v136, vcc, v136, v132
	v_accvgpr_read_b32 v137, a65
	v_addc_co_u32_e32 v137, vcc, v137, v133, vcc
	global_load_ushort v136, v[136:137], off
	s_waitcnt vmcnt(1)
	v_cvt_f32_f16_e32 v183, v138
	s_waitcnt vmcnt(0)
	v_cvt_f32_f16_e32 v192, v136
.LBB166_188:                            ;   in Loop: Header=BB166_149 Depth=1
	s_or_b64 exec, exec, s[0:1]
	v_add_co_u32_e32 v136, vcc, 17, v134
	v_addc_co_u32_e32 v137, vcc, 0, v135, vcc
	v_cmp_gt_i64_e32 vcc, s[12:13], v[136:137]
	v_mov_b32_e32 v187, 0
	v_mov_b32_e32 v189, 0
	v_mov_b32_e32 v194, 0
	s_and_saveexec_b64 s[0:1], vcc
	s_cbranch_execz .LBB166_190
; %bb.189:                              ;   in Loop: Header=BB166_149 Depth=1
	v_accvgpr_read_b32 v136, a58
	v_add_co_u32_e32 v136, vcc, v136, v132
	v_accvgpr_read_b32 v137, a59
	v_addc_co_u32_e32 v137, vcc, v137, v133, vcc
	global_load_ushort v138, v[136:137], off
	v_accvgpr_read_b32 v136, a60
	v_add_co_u32_e32 v136, vcc, v136, v132
	v_accvgpr_read_b32 v137, a61
	v_addc_co_u32_e32 v137, vcc, v137, v133, vcc
	global_load_ushort v136, v[136:137], off
	s_waitcnt vmcnt(1)
	v_cvt_f32_f16_e32 v189, v138
	s_waitcnt vmcnt(0)
	v_cvt_f32_f16_e32 v194, v136
.LBB166_190:                            ;   in Loop: Header=BB166_149 Depth=1
	s_or_b64 exec, exec, s[0:1]
	v_add_co_u32_e32 v136, vcc, 18, v134
	v_addc_co_u32_e32 v137, vcc, 0, v135, vcc
	v_cmp_gt_i64_e32 vcc, s[12:13], v[136:137]
	v_mov_b32_e32 v191, 0
	s_and_saveexec_b64 s[0:1], vcc
	s_cbranch_execz .LBB166_192
; %bb.191:                              ;   in Loop: Header=BB166_149 Depth=1
	v_accvgpr_read_b32 v136, a54
	v_add_co_u32_e32 v136, vcc, v136, v132
	v_accvgpr_read_b32 v137, a55
	v_addc_co_u32_e32 v137, vcc, v137, v133, vcc
	global_load_ushort v138, v[136:137], off
	v_accvgpr_read_b32 v136, a56
	v_add_co_u32_e32 v136, vcc, v136, v132
	v_accvgpr_read_b32 v137, a57
	v_addc_co_u32_e32 v137, vcc, v137, v133, vcc
	global_load_ushort v136, v[136:137], off
	s_waitcnt vmcnt(1)
	v_cvt_f32_f16_e32 v187, v138
	s_waitcnt vmcnt(0)
	v_cvt_f32_f16_e32 v191, v136
.LBB166_192:                            ;   in Loop: Header=BB166_149 Depth=1
	;; [unrolled: 48-line block ×8, first 2 shown]
	s_or_b64 exec, exec, s[0:1]
	v_add_co_u32_e32 v200, vcc, 31, v134
	v_addc_co_u32_e32 v201, vcc, 0, v135, vcc
	v_cmp_gt_i64_e32 vcc, s[12:13], v[200:201]
	v_mov_b32_e32 v157, 0
	s_and_saveexec_b64 s[0:1], vcc
	s_cbranch_execz .LBB166_218
; %bb.217:                              ;   in Loop: Header=BB166_149 Depth=1
	v_accvgpr_read_b32 v200, a2
	v_add_co_u32_e32 v200, vcc, v200, v132
	v_accvgpr_read_b32 v157, a3
	v_addc_co_u32_e32 v201, vcc, v157, v133, vcc
	global_load_ushort v157, v[200:201], off
	v_accvgpr_read_b32 v200, a4
	v_add_co_u32_e32 v200, vcc, v200, v132
	v_accvgpr_read_b32 v199, a5
	v_addc_co_u32_e32 v201, vcc, v199, v133, vcc
	global_load_ushort v199, v[200:201], off
	s_waitcnt vmcnt(1)
	v_cvt_f32_f16_e32 v157, v157
	s_waitcnt vmcnt(0)
	v_cvt_f32_f16_e32 v199, v199
	v_mul_f32_e32 v157, v157, v199
.LBB166_218:                            ;   in Loop: Header=BB166_149 Depth=1
	s_or_b64 exec, exec, s[0:1]
	s_waitcnt vmcnt(0)
	ds_bpermute_b32 v199, v0, v131
	v_mul_f32_e32 v156, v156, v255
	v_mul_f32_e32 v160, v160, v162
	;; [unrolled: 1-line block ×4, first 2 shown]
	s_waitcnt lgkmcnt(0)
	v_fma_f32 v156, v156, v199, v129
	ds_bpermute_b32 v199, v0, v131 offset:4
	v_pk_mul_f32 v[136:137], v[136:137], v[140:141]
	v_pk_mul_f32 v[138:139], v[138:139], v[144:145]
	s_waitcnt lgkmcnt(0)
	v_fmac_f32_e32 v156, v160, v199
	ds_bpermute_b32 v160, v0, v131 offset:8
	s_waitcnt lgkmcnt(0)
	v_fmac_f32_e32 v156, v158, v160
	ds_bpermute_b32 v158, v0, v131 offset:12
	v_mul_f32_e32 v160, v161, v166
	s_waitcnt lgkmcnt(0)
	v_fmac_f32_e32 v156, v160, v158
	ds_bpermute_b32 v158, v0, v131 offset:16
	s_waitcnt lgkmcnt(0)
	v_fmac_f32_e32 v156, v159, v158
	ds_bpermute_b32 v158, v0, v131 offset:20
	v_mul_f32_e32 v159, v165, v170
	s_waitcnt lgkmcnt(0)
	v_fmac_f32_e32 v156, v159, v158
	ds_bpermute_b32 v158, v0, v131 offset:24
	v_mul_f32_e32 v159, v163, v172
	;; [unrolled: 4-line block ×15, first 2 shown]
	s_waitcnt lgkmcnt(0)
	v_fmac_f32_e32 v156, v159, v158
	ds_bpermute_b32 v158, v0, v131 offset:80
	ds_bpermute_b32 v159, v0, v131 offset:84
	s_waitcnt lgkmcnt(0)
	v_pk_mul_f32 v[136:137], v[136:137], v[158:159]
	v_add_f32_e32 v136, v156, v136
	v_add_f32_e32 v140, v136, v137
	ds_bpermute_b32 v136, v0, v131 offset:88
	ds_bpermute_b32 v137, v0, v131 offset:92
	v_mul_f32_e32 v156, v198, v195
	s_waitcnt lgkmcnt(0)
	v_pk_mul_f32 v[136:137], v[138:139], v[136:137]
	v_add_f32_e32 v136, v140, v136
	v_add_f32_e32 v140, v136, v137
	ds_bpermute_b32 v136, v0, v131 offset:96
	ds_bpermute_b32 v137, v0, v131 offset:100
	v_pk_mul_f32 v[138:139], v[142:143], v[148:149]
	s_waitcnt lgkmcnt(0)
	v_pk_mul_f32 v[136:137], v[138:139], v[136:137]
	v_add_f32_e32 v136, v140, v136
	v_add_f32_e32 v140, v136, v137
	ds_bpermute_b32 v136, v0, v131 offset:104
	ds_bpermute_b32 v137, v0, v131 offset:108
	v_pk_mul_f32 v[138:139], v[146:147], v[152:153]
	;; [unrolled: 7-line block ×3, first 2 shown]
	s_waitcnt lgkmcnt(0)
	v_pk_mul_f32 v[136:137], v[138:139], v[136:137]
	v_add_f32_e32 v136, v140, v136
	v_add_f32_e32 v138, v136, v137
	ds_bpermute_b32 v136, v0, v131 offset:120
	ds_bpermute_b32 v137, v0, v131 offset:124
	s_waitcnt lgkmcnt(0)
	v_pk_mul_f32 v[136:137], v[156:157], v[136:137]
	v_add_f32_e32 v131, v138, v136
	v_add_f32_e32 v138, v131, v137
	s_branch .LBB166_225
.LBB166_219:                            ;   in Loop: Header=BB166_149 Depth=1
                                        ; implicit-def: $vgpr138
	s_cbranch_execz .LBB166_225
; %bb.220:                              ;   in Loop: Header=BB166_149 Depth=1
	s_load_dword s0, s[10:11], 0x0
	v_accvgpr_read_b32 v131, a75
	v_accvgpr_read_b32 v136, a1
	;; [unrolled: 1-line block ×3, first 2 shown]
	s_waitcnt lgkmcnt(0)
	s_cmp_lt_u32 s6, s0
	s_cselect_b32 s0, 12, 18
	s_add_u32 s0, s10, s0
	s_addc_u32 s1, s11, 0
	global_load_ushort v131, v131, s[0:1]
	s_waitcnt vmcnt(0)
	v_mad_u32_u24 v131, v136, v131, v137
	v_and_b32_e32 v136, 63, v131
	v_cmp_gt_u32_e32 vcc, 32, v136
	v_mov_b32_e32 v131, 0
	s_and_saveexec_b64 s[0:1], vcc
	s_cbranch_execz .LBB166_224
; %bb.221:                              ;   in Loop: Header=BB166_149 Depth=1
	v_add_co_u32_e32 v134, vcc, v134, v136
	v_addc_co_u32_e32 v135, vcc, 0, v135, vcc
	v_cmp_gt_i64_e32 vcc, s[12:13], v[134:135]
	v_mov_b32_e32 v131, 0
	s_and_saveexec_b64 s[26:27], vcc
	s_cbranch_execz .LBB166_223
; %bb.222:                              ;   in Loop: Header=BB166_149 Depth=1
	v_lshlrev_b64 v[134:135], 2, v[134:135]
	v_mov_b32_e32 v131, s21
	v_add_co_u32_e32 v134, vcc, s20, v134
	v_addc_co_u32_e32 v135, vcc, v131, v135, vcc
	global_load_dword v131, v[134:135], off
.LBB166_223:                            ;   in Loop: Header=BB166_149 Depth=1
	s_or_b64 exec, exec, s[26:27]
.LBB166_224:                            ;   in Loop: Header=BB166_149 Depth=1
	s_or_b64 exec, exec, s[0:1]
	v_add_co_u32_e32 v134, vcc, v128, v132
	v_addc_co_u32_e32 v135, vcc, v1, v133, vcc
	global_load_ushort v134, v[134:135], off
	s_waitcnt vmcnt(0)
	v_cvt_f32_f16_e32 v199, v134
	v_add_co_u32_e32 v134, vcc, v130, v132
	v_addc_co_u32_e32 v135, vcc, v127, v133, vcc
	global_load_ushort v134, v[134:135], off
	s_waitcnt vmcnt(0)
	v_cvt_f32_f16_e32 v139, v134
	v_add_co_u32_e32 v134, vcc, v2, v132
	v_addc_co_u32_e32 v135, vcc, v3, v133, vcc
	global_load_ushort v134, v[134:135], off
	v_add_co_u32_e32 v136, vcc, v22, v132
	v_addc_co_u32_e32 v137, vcc, v23, v133, vcc
	s_waitcnt vmcnt(0)
	v_cvt_f32_f16_e32 v200, v134
	global_load_ushort v134, v[136:137], off
	v_add_co_u32_e32 v136, vcc, v4, v132
	v_addc_co_u32_e32 v137, vcc, v5, v133, vcc
	v_add_co_u32_e32 v142, vcc, v24, v132
	v_addc_co_u32_e32 v143, vcc, v25, v133, vcc
	;; [unrolled: 2-line block ×3, first 2 shown]
	s_waitcnt vmcnt(0)
	v_cvt_f32_f16_e32 v141, v134
	global_load_ushort v134, v[136:137], off
	s_waitcnt vmcnt(0)
	v_cvt_f32_f16_e32 v198, v134
	global_load_ushort v134, v[142:143], off
	;; [unrolled: 3-line block ×3, first 2 shown]
	v_add_co_u32_e32 v144, vcc, v26, v132
	v_addc_co_u32_e32 v145, vcc, v27, v133, vcc
	v_add_co_u32_e32 v146, vcc, v8, v132
	v_addc_co_u32_e32 v147, vcc, v9, v133, vcc
	s_waitcnt vmcnt(0)
	v_cvt_f32_f16_e32 v195, v134
	global_load_ushort v134, v[144:145], off
	s_waitcnt vmcnt(0)
	v_cvt_f32_f16_e32 v145, v134
	global_load_ushort v134, v[146:147], off
	v_add_co_u32_e32 v146, vcc, v30, v132
	v_addc_co_u32_e32 v147, vcc, v31, v133, vcc
	v_add_co_u32_e32 v148, vcc, v10, v132
	v_addc_co_u32_e32 v149, vcc, v11, v133, vcc
	s_waitcnt vmcnt(0)
	v_cvt_f32_f16_e32 v138, v134
	global_load_ushort v134, v[146:147], off
	s_waitcnt vmcnt(0)
	v_cvt_f32_f16_e32 v147, v134
	global_load_ushort v134, v[148:149], off
	;; [unrolled: 10-line block ×18, first 2 shown]
	v_add_co_u32_e32 v180, vcc, v84, v132
	v_addc_co_u32_e32 v181, vcc, v85, v133, vcc
	s_waitcnt vmcnt(0)
	v_cvt_f32_f16_e32 v172, v134
	global_load_ushort v134, v[180:181], off
	v_add_co_u32_e32 v180, vcc, v86, v132
	v_addc_co_u32_e32 v181, vcc, v87, v133, vcc
	s_waitcnt vmcnt(0)
	v_cvt_f32_f16_e32 v182, v134
	global_load_ushort v134, v[180:181], off
	v_add_co_u32_e32 v180, vcc, v88, v132
	v_addc_co_u32_e32 v181, vcc, v89, v133, vcc
	s_waitcnt vmcnt(0)
	v_cvt_f32_f16_e32 v174, v134
	global_load_ushort v134, v[180:181], off
	v_add_co_u32_e32 v180, vcc, v90, v132
	v_addc_co_u32_e32 v181, vcc, v91, v133, vcc
	s_waitcnt vmcnt(0)
	v_cvt_f32_f16_e32 v184, v134
	global_load_ushort v134, v[180:181], off
	v_add_co_u32_e32 v180, vcc, v92, v132
	v_addc_co_u32_e32 v181, vcc, v93, v133, vcc
	s_waitcnt vmcnt(0)
	v_cvt_f32_f16_e32 v176, v134
	global_load_ushort v134, v[180:181], off
	v_add_co_u32_e32 v180, vcc, v94, v132
	v_addc_co_u32_e32 v181, vcc, v95, v133, vcc
	s_waitcnt vmcnt(0)
	v_cvt_f32_f16_e32 v186, v134
	global_load_ushort v134, v[180:181], off
	v_add_co_u32_e32 v180, vcc, v96, v132
	v_addc_co_u32_e32 v181, vcc, v97, v133, vcc
	s_waitcnt vmcnt(0)
	v_cvt_f32_f16_e32 v178, v134
	global_load_ushort v134, v[180:181], off
	v_add_co_u32_e32 v180, vcc, v98, v132
	v_addc_co_u32_e32 v181, vcc, v99, v133, vcc
	v_add_co_u32_e32 v188, vcc, v100, v132
	v_addc_co_u32_e32 v189, vcc, v101, v133, vcc
	v_add_co_u32_e32 v190, vcc, v102, v132
	v_addc_co_u32_e32 v191, vcc, v103, v133, vcc
	s_waitcnt vmcnt(0)
	v_cvt_f32_f16_e32 v187, v134
	global_load_ushort v134, v[180:181], off
	s_waitcnt vmcnt(0)
	v_cvt_f32_f16_e32 v180, v134
	global_load_ushort v134, v[188:189], off
	;; [unrolled: 3-line block ×3, first 2 shown]
	v_add_co_u32_e32 v190, vcc, v104, v132
	v_addc_co_u32_e32 v191, vcc, v105, v133, vcc
	v_add_co_u32_e32 v192, vcc, v106, v132
	v_addc_co_u32_e32 v193, vcc, v107, v133, vcc
	s_waitcnt vmcnt(0)
	v_cvt_f32_f16_e32 v183, v134
	global_load_ushort v134, v[190:191], off
	s_waitcnt vmcnt(0)
	v_cvt_f32_f16_e32 v190, v134
	global_load_ushort v134, v[192:193], off
	v_add_co_u32_e32 v192, vcc, v108, v132
	v_addc_co_u32_e32 v193, vcc, v109, v133, vcc
	s_waitcnt vmcnt(0)
	v_cvt_f32_f16_e32 v185, v134
	global_load_ushort v134, v[192:193], off
	v_add_co_u32_e32 v192, vcc, v110, v132
	v_addc_co_u32_e32 v193, vcc, v111, v133, vcc
	;; [unrolled: 5-line block ×6, first 2 shown]
	s_waitcnt vmcnt(0)
	v_cvt_f32_f16_e32 v196, v134
	global_load_ushort v134, v[192:193], off
	s_waitcnt vmcnt(0)
	v_cvt_f32_f16_e32 v193, v134
	v_add_co_u32_e32 v134, vcc, v120, v132
	v_addc_co_u32_e32 v135, vcc, v121, v133, vcc
	v_add_co_u32_e32 v136, vcc, v122, v132
	v_addc_co_u32_e32 v137, vcc, v123, v133, vcc
	global_load_ushort v134, v[134:135], off
	s_waitcnt vmcnt(0)
	v_cvt_f32_f16_e32 v134, v134
	global_load_ushort v135, v[136:137], off
	v_add_co_u32_e32 v136, vcc, v124, v132
	v_addc_co_u32_e32 v137, vcc, v125, v133, vcc
	v_mul_f32_e32 v134, v193, v134
	s_waitcnt vmcnt(0)
	v_cvt_f32_f16_e32 v192, v135
	global_load_ushort v135, v[136:137], off
	v_mul_f32_e32 v136, v199, v139
	s_waitcnt vmcnt(0)
	v_cvt_f32_f16_e32 v255, v135
	ds_bpermute_b32 v135, v0, v131
	s_waitcnt lgkmcnt(0)
	v_fmac_f32_e32 v129, v136, v135
	ds_bpermute_b32 v135, v0, v131 offset:4
	v_mul_f32_e32 v136, v200, v141
	s_waitcnt lgkmcnt(0)
	v_fmac_f32_e32 v129, v136, v135
	ds_bpermute_b32 v135, v0, v131 offset:8
	v_mul_f32_e32 v136, v198, v143
	;; [unrolled: 4-line block ×29, first 2 shown]
	s_waitcnt lgkmcnt(0)
	v_fmac_f32_e32 v129, v136, v135
	ds_bpermute_b32 v135, v0, v131 offset:120
	ds_bpermute_b32 v131, v0, v131 offset:124
	s_waitcnt lgkmcnt(1)
	v_fmac_f32_e32 v129, v134, v135
	v_mul_f32_e32 v134, v192, v255
	s_waitcnt lgkmcnt(0)
	v_fmac_f32_e32 v129, v134, v131
	v_mov_b32_e32 v138, v129
.LBB166_225:                            ;   in Loop: Header=BB166_149 Depth=1
	v_add_co_u32_e32 v126, vcc, s9, v126
	v_mov_b32_e32 v129, s7
	v_addc_co_u32_e32 v253, vcc, v253, v129, vcc
	v_add_co_u32_e32 v2, vcc, s16, v2
	v_mov_b32_e32 v129, s17
	v_addc_co_u32_e32 v3, vcc, v3, v129, vcc
	v_add_co_u32_e32 v4, vcc, s16, v4
	v_addc_co_u32_e32 v5, vcc, v5, v129, vcc
	v_add_co_u32_e32 v6, vcc, s16, v6
	;; [unrolled: 2-line block ×63, first 2 shown]
	v_addc_co_u32_e32 v127, vcc, v127, v129, vcc
	v_accvgpr_read_b32 v134, a2
	v_add_co_u32_e32 v134, vcc, s16, v134
	v_accvgpr_read_b32 v131, a3
	v_accvgpr_write_b32 a2, v134
	v_addc_co_u32_e32 v131, vcc, v131, v129, vcc
	v_accvgpr_read_b32 v134, a4
	v_accvgpr_write_b32 a3, v131
	v_add_co_u32_e32 v134, vcc, s16, v134
	v_accvgpr_read_b32 v131, a5
	v_accvgpr_write_b32 a4, v134
	v_addc_co_u32_e32 v131, vcc, v131, v129, vcc
	v_accvgpr_read_b32 v134, a6
	v_accvgpr_write_b32 a5, v131
	;; [unrolled: 6-line block ×33, first 2 shown]
	v_add_co_u32_e32 v134, vcc, s16, v134
	v_accvgpr_read_b32 v131, a69
	v_accvgpr_write_b32 a68, v134
	v_addc_co_u32_e32 v131, vcc, v131, v129, vcc
	v_accvgpr_read_b32 v134, a70
	v_add_co_u32_e32 v134, vcc, s16, v134
	v_addc_co_u32_e32 v197, vcc, v197, v129, vcc
	v_accvgpr_write_b32 a69, v131
	v_add_co_u32_e32 v202, vcc, s16, v202
	v_accvgpr_read_b32 v131, a71
	v_addc_co_u32_e32 v131, vcc, v131, v129, vcc
	v_accvgpr_write_b32 a71, v131
	v_add_co_u32_e32 v204, vcc, s16, v204
	v_accvgpr_read_b32 v131, a73
	v_addc_co_u32_e32 v131, vcc, v131, v129, vcc
	v_add_co_u32_e32 v206, vcc, s16, v206
	v_addc_co_u32_e32 v203, vcc, v203, v129, vcc
	v_add_co_u32_e32 v208, vcc, s16, v208
	;; [unrolled: 2-line block ×24, first 2 shown]
	v_addc_co_u32_e32 v249, vcc, v249, v129, vcc
	s_add_u32 s24, s24, s9
	v_add_co_u32_e32 v254, vcc, s16, v254
	s_addc_u32 s25, s25, 0
	v_accvgpr_write_b32 a70, v134
	v_addc_co_u32_e32 v251, vcc, v251, v129, vcc
	v_pk_mov_b32 v[134:135], s[12:13], s[12:13] op_sel:[0,1]
	s_add_u32 s18, s18, s9
	v_cmp_ge_i64_e32 vcc, s[24:25], v[134:135]
	s_addc_u32 s19, s19, 0
	s_cbranch_vccnz .LBB166_227
; %bb.226:                              ;   in Loop: Header=BB166_149 Depth=1
	v_accvgpr_write_b32 a73, v131
	v_mov_b32_e32 v129, v138
	s_branch .LBB166_149
.LBB166_227:
	v_accvgpr_read_b32 v253, a0
.LBB166_228:
	s_mov_b32 s7, 0
	s_lshl_b64 s[0:1], s[6:7], 6
	v_and_b32_e32 v0, 0x3ff, v253
	v_or_b32_e32 v2, s0, v0
	v_mov_b32_e32 v3, s1
	s_waitcnt lgkmcnt(0)
	s_cmp_lg_u64 s[2:3], 0
	v_cmp_gt_i64_e32 vcc, s[14:15], v[2:3]
	s_cselect_b64 s[0:1], -1, 0
	s_and_b64 s[0:1], vcc, s[0:1]
	s_and_saveexec_b64 s[6:7], s[0:1]
	s_cbranch_execz .LBB166_230
; %bb.229:
	s_load_dword s0, s[4:5], 0x4c
	v_bfe_u32 v0, v253, 10, 10
	v_mov_b32_e32 v1, 0
	v_mov_b32_e32 v4, s8
	s_waitcnt lgkmcnt(0)
	s_lshr_b32 s0, s0, 16
	v_mad_u64_u32 v[0:1], s[0:1], s0, v4, v[0:1]
	v_mul_lo_u32 v5, v1, s14
	v_mul_lo_u32 v6, v0, s15
	v_mad_u64_u32 v[0:1], s[0:1], v0, s14, 0
	v_add3_u32 v1, v1, v6, v5
	v_lshlrev_b64 v[0:1], 1, v[0:1]
	v_cvt_f16_f32_e32 v4, v138
	v_mov_b32_e32 v5, s3
	v_add_co_u32_e32 v6, vcc, s2, v0
	v_addc_co_u32_e32 v5, vcc, v5, v1, vcc
	v_lshlrev_b64 v[0:1], 1, v[2:3]
	v_add_co_u32_e32 v0, vcc, v6, v0
	v_addc_co_u32_e32 v1, vcc, v5, v1, vcc
	global_store_short v[0:1], v4, off
.LBB166_230:
	s_endpgm
	.section	.rodata,"a",@progbits
	.p2align	6, 0x0
	.amdhsa_kernel _ZN2at6native12_GLOBAL__N_135GammaBetaBackwardCUDAKernelTemplateIN3c104HalfEfLj64ELj1ELj32ELb1ELb0ELb1EEEvllPKT_S7_PKT0_SA_PS5_SB_
		.amdhsa_group_segment_fixed_size 0
		.amdhsa_private_segment_fixed_size 0
		.amdhsa_kernarg_size 320
		.amdhsa_user_sgpr_count 6
		.amdhsa_user_sgpr_private_segment_buffer 1
		.amdhsa_user_sgpr_dispatch_ptr 0
		.amdhsa_user_sgpr_queue_ptr 0
		.amdhsa_user_sgpr_kernarg_segment_ptr 1
		.amdhsa_user_sgpr_dispatch_id 0
		.amdhsa_user_sgpr_flat_scratch_init 0
		.amdhsa_user_sgpr_kernarg_preload_length 0
		.amdhsa_user_sgpr_kernarg_preload_offset 0
		.amdhsa_user_sgpr_private_segment_size 0
		.amdhsa_uses_dynamic_stack 0
		.amdhsa_system_sgpr_private_segment_wavefront_offset 0
		.amdhsa_system_sgpr_workgroup_id_x 1
		.amdhsa_system_sgpr_workgroup_id_y 1
		.amdhsa_system_sgpr_workgroup_id_z 0
		.amdhsa_system_sgpr_workgroup_info 0
		.amdhsa_system_vgpr_workitem_id 1
		.amdhsa_next_free_vgpr 332
		.amdhsa_next_free_sgpr 36
		.amdhsa_accum_offset 256
		.amdhsa_reserve_vcc 1
		.amdhsa_reserve_flat_scratch 0
		.amdhsa_float_round_mode_32 0
		.amdhsa_float_round_mode_16_64 0
		.amdhsa_float_denorm_mode_32 3
		.amdhsa_float_denorm_mode_16_64 3
		.amdhsa_dx10_clamp 1
		.amdhsa_ieee_mode 1
		.amdhsa_fp16_overflow 0
		.amdhsa_tg_split 0
		.amdhsa_exception_fp_ieee_invalid_op 0
		.amdhsa_exception_fp_denorm_src 0
		.amdhsa_exception_fp_ieee_div_zero 0
		.amdhsa_exception_fp_ieee_overflow 0
		.amdhsa_exception_fp_ieee_underflow 0
		.amdhsa_exception_fp_ieee_inexact 0
		.amdhsa_exception_int_div_zero 0
	.end_amdhsa_kernel
	.section	.text._ZN2at6native12_GLOBAL__N_135GammaBetaBackwardCUDAKernelTemplateIN3c104HalfEfLj64ELj1ELj32ELb1ELb0ELb1EEEvllPKT_S7_PKT0_SA_PS5_SB_,"axG",@progbits,_ZN2at6native12_GLOBAL__N_135GammaBetaBackwardCUDAKernelTemplateIN3c104HalfEfLj64ELj1ELj32ELb1ELb0ELb1EEEvllPKT_S7_PKT0_SA_PS5_SB_,comdat
.Lfunc_end166:
	.size	_ZN2at6native12_GLOBAL__N_135GammaBetaBackwardCUDAKernelTemplateIN3c104HalfEfLj64ELj1ELj32ELb1ELb0ELb1EEEvllPKT_S7_PKT0_SA_PS5_SB_, .Lfunc_end166-_ZN2at6native12_GLOBAL__N_135GammaBetaBackwardCUDAKernelTemplateIN3c104HalfEfLj64ELj1ELj32ELb1ELb0ELb1EEEvllPKT_S7_PKT0_SA_PS5_SB_
                                        ; -- End function
	.section	.AMDGPU.csdata,"",@progbits
; Kernel info:
; codeLenInByte = 23136
; NumSgprs: 40
; NumVgprs: 256
; NumAgprs: 76
; TotalNumVgprs: 332
; ScratchSize: 0
; MemoryBound: 0
; FloatMode: 240
; IeeeMode: 1
; LDSByteSize: 0 bytes/workgroup (compile time only)
; SGPRBlocks: 4
; VGPRBlocks: 41
; NumSGPRsForWavesPerEU: 40
; NumVGPRsForWavesPerEU: 332
; AccumOffset: 256
; Occupancy: 1
; WaveLimiterHint : 0
; COMPUTE_PGM_RSRC2:SCRATCH_EN: 0
; COMPUTE_PGM_RSRC2:USER_SGPR: 6
; COMPUTE_PGM_RSRC2:TRAP_HANDLER: 0
; COMPUTE_PGM_RSRC2:TGID_X_EN: 1
; COMPUTE_PGM_RSRC2:TGID_Y_EN: 1
; COMPUTE_PGM_RSRC2:TGID_Z_EN: 0
; COMPUTE_PGM_RSRC2:TIDIG_COMP_CNT: 1
; COMPUTE_PGM_RSRC3_GFX90A:ACCUM_OFFSET: 63
; COMPUTE_PGM_RSRC3_GFX90A:TG_SPLIT: 0
	.section	.text._ZN2at6native12_GLOBAL__N_135GammaBetaBackwardCUDAKernelTemplateIN3c104HalfEfLj64ELj1ELj8ELb1ELb1ELb1EEEvllPKT_S7_PKT0_SA_PS5_SB_,"axG",@progbits,_ZN2at6native12_GLOBAL__N_135GammaBetaBackwardCUDAKernelTemplateIN3c104HalfEfLj64ELj1ELj8ELb1ELb1ELb1EEEvllPKT_S7_PKT0_SA_PS5_SB_,comdat
	.globl	_ZN2at6native12_GLOBAL__N_135GammaBetaBackwardCUDAKernelTemplateIN3c104HalfEfLj64ELj1ELj8ELb1ELb1ELb1EEEvllPKT_S7_PKT0_SA_PS5_SB_ ; -- Begin function _ZN2at6native12_GLOBAL__N_135GammaBetaBackwardCUDAKernelTemplateIN3c104HalfEfLj64ELj1ELj8ELb1ELb1ELb1EEEvllPKT_S7_PKT0_SA_PS5_SB_
	.p2align	8
	.type	_ZN2at6native12_GLOBAL__N_135GammaBetaBackwardCUDAKernelTemplateIN3c104HalfEfLj64ELj1ELj8ELb1ELb1ELb1EEEvllPKT_S7_PKT0_SA_PS5_SB_,@function
_ZN2at6native12_GLOBAL__N_135GammaBetaBackwardCUDAKernelTemplateIN3c104HalfEfLj64ELj1ELj8ELb1ELb1ELb1EEEvllPKT_S7_PKT0_SA_PS5_SB_: ; @_ZN2at6native12_GLOBAL__N_135GammaBetaBackwardCUDAKernelTemplateIN3c104HalfEfLj64ELj1ELj8ELb1ELb1ELb1EEEvllPKT_S7_PKT0_SA_PS5_SB_
; %bb.0:
	s_load_dwordx4 s[8:11], s[4:5], 0x0
	s_load_dwordx2 s[16:17], s[4:5], 0x30
	s_lshl_b32 s18, s7, 3
	s_mov_b32 s19, 0
	s_mov_b32 s2, s7
	s_waitcnt lgkmcnt(0)
	v_pk_mov_b32 v[2:3], s[8:9], s[8:9] op_sel:[0,1]
	v_cmp_ge_i64_e32 vcc, s[18:19], v[2:3]
	v_mov_b32_e32 v1, 0
	v_bfe_u32 v2, v0, 10, 10
	s_cbranch_vccnz .LBB167_8
; %bb.1:
	s_load_dword s0, s[4:5], 0x4c
	s_load_dword s3, s[4:5], 0x44
	s_load_dwordx4 s[12:15], s[4:5], 0x10
	s_load_dwordx2 s[22:23], s[4:5], 0x28
	v_and_b32_e32 v1, 0x3ff, v0
	s_waitcnt lgkmcnt(0)
	s_and_b32 s0, s0, 0xffff
	v_mad_u32_u24 v3, v2, s0, v1
	v_lshl_or_b32 v4, s6, 6, v1
	v_mbcnt_lo_u32_b32 v1, -1, 0
	v_mbcnt_hi_u32_b32 v1, -1, v1
	v_lshlrev_b32_e32 v7, 3, v2
	v_lshlrev_b32_e32 v1, 2, v1
	v_and_b32_e32 v6, 63, v3
	v_and_b32_e32 v3, 0x100, v1
	v_mov_b32_e32 v1, s19
	v_add_co_u32_e32 v10, vcc, s18, v7
	v_addc_co_u32_e32 v1, vcc, 0, v1, vcc
	v_cmp_gt_u32_e64 s[0:1], 8, v6
	v_add_co_u32_e32 v6, vcc, v10, v6
	v_addc_co_u32_e32 v7, vcc, 0, v1, vcc
	v_lshlrev_b64 v[8:9], 2, v[6:7]
	v_mov_b32_e32 v11, s23
	v_add_co_u32_e32 v8, vcc, s22, v8
	s_lshl_b32 s20, s3, 3
	v_addc_co_u32_e32 v9, vcc, v11, v9, vcc
	v_mul_lo_u32 v19, s11, v10
	v_mul_lo_u32 v1, s10, v1
	v_mad_u64_u32 v[10:11], s[24:25], s10, v10, 0
	v_mov_b32_e32 v5, 0
	v_add3_u32 v11, v11, v1, v19
	s_mul_i32 s3, s11, s20
	s_mul_hi_u32 s7, s10, s20
	s_mov_b32 s21, s19
	v_lshlrev_b64 v[10:11], 1, v[10:11]
	v_lshlrev_b64 v[20:21], 1, v[4:5]
	s_add_i32 s25, s7, s3
	s_mul_i32 s24, s10, s20
	s_lshl_b64 s[22:23], s[20:21], 2
	v_add_co_u32_e32 v4, vcc, v10, v20
	s_lshl_b64 s[24:25], s[24:25], 1
	s_lshl_b64 s[26:27], s[10:11], 1
	v_or_b32_e32 v12, 4, v3
	v_or_b32_e32 v13, 8, v3
	;; [unrolled: 1-line block ×7, first 2 shown]
	v_addc_co_u32_e32 v1, vcc, v11, v21, vcc
	v_mov_b32_e32 v19, s13
	v_mov_b32_e32 v20, s15
	v_mov_b32_e32 v21, s27
	v_mov_b32_e32 v22, s23
	v_mov_b32_e32 v23, s19
	v_mov_b32_e32 v24, s25
	v_pk_mov_b32 v[10:11], s[8:9], s[8:9] op_sel:[0,1]
	s_branch .LBB167_4
.LBB167_2:                              ;   in Loop: Header=BB167_4 Depth=1
	s_or_b64 exec, exec, s[30:31]
.LBB167_3:                              ;   in Loop: Header=BB167_4 Depth=1
	s_or_b64 exec, exec, s[28:29]
	v_add_co_u32_e32 v26, vcc, s12, v4
	v_addc_co_u32_e32 v27, vcc, v19, v1, vcc
	v_add_co_u32_e32 v28, vcc, s14, v4
	v_addc_co_u32_e32 v29, vcc, v20, v1, vcc
	global_load_ushort v30, v[26:27], off
	v_add_co_u32_e32 v26, vcc, s26, v26
	v_addc_co_u32_e32 v27, vcc, v27, v21, vcc
	global_load_ushort v31, v[28:29], off
	;; [unrolled: 3-line block ×11, first 2 shown]
	global_load_ushort v41, v[28:29], off
	v_add_co_u32_e32 v26, vcc, s26, v26
	v_addc_co_u32_e32 v27, vcc, v27, v21, vcc
	v_add_co_u32_e32 v28, vcc, s26, v28
	v_addc_co_u32_e32 v29, vcc, v29, v21, vcc
	global_load_ushort v43, v[28:29], off
	global_load_ushort v42, v[26:27], off
	v_add_co_u32_e32 v26, vcc, s26, v26
	v_addc_co_u32_e32 v27, vcc, v27, v21, vcc
	global_load_ushort v44, v[26:27], off
	v_add_co_u32_e32 v26, vcc, s26, v28
	v_addc_co_u32_e32 v27, vcc, v29, v21, vcc
	;; [unrolled: 3-line block ×3, first 2 shown]
	v_add_co_u32_e32 v6, vcc, s20, v6
	v_addc_co_u32_e32 v7, vcc, v7, v23, vcc
	s_waitcnt vmcnt(15)
	v_cvt_f32_f16_e32 v27, v30
	s_add_u32 s18, s18, s20
	v_add_co_u32_e32 v4, vcc, s24, v4
	s_addc_u32 s19, s19, 0
	s_waitcnt vmcnt(14)
	v_cvt_f32_f16_e32 v28, v31
	v_addc_co_u32_e32 v1, vcc, v1, v24, vcc
	v_cmp_lt_i64_e32 vcc, s[18:19], v[10:11]
	v_mul_f32_e32 v27, v27, v28
	s_waitcnt vmcnt(13)
	v_cvt_f32_f16_e32 v29, v32
	s_and_b64 vcc, exec, vcc
	s_waitcnt vmcnt(12)
	v_cvt_f32_f16_e32 v30, v33
	v_mul_f32_e32 v28, v29, v30
	s_waitcnt vmcnt(11)
	v_cvt_f32_f16_e32 v31, v34
	s_waitcnt vmcnt(10)
	v_cvt_f32_f16_e32 v32, v35
	v_mul_f32_e32 v29, v31, v32
	s_waitcnt vmcnt(9)
	v_cvt_f32_f16_e32 v33, v36
	s_waitcnt vmcnt(8)
	v_cvt_f32_f16_e32 v34, v37
	;; [unrolled: 2-line block ×6, first 2 shown]
	ds_bpermute_b32 v41, v3, v25
	s_waitcnt lgkmcnt(0)
	v_fmac_f32_e32 v5, v27, v41
	ds_bpermute_b32 v27, v13, v25
	s_waitcnt vmcnt(3)
	v_cvt_f32_f16_e32 v40, v43
	ds_bpermute_b32 v43, v12, v25
	s_waitcnt vmcnt(2)
	v_cvt_f32_f16_e32 v39, v42
	s_waitcnt lgkmcnt(0)
	v_fmac_f32_e32 v5, v28, v43
	ds_bpermute_b32 v28, v14, v25
	v_fmac_f32_e32 v5, v29, v27
	ds_bpermute_b32 v27, v15, v25
	v_mul_f32_e32 v29, v33, v34
	s_waitcnt vmcnt(1)
	v_cvt_f32_f16_e32 v42, v44
	s_waitcnt lgkmcnt(1)
	v_fmac_f32_e32 v5, v29, v28
	v_mul_f32_e32 v28, v35, v36
	ds_bpermute_b32 v29, v16, v25
	s_waitcnt lgkmcnt(1)
	v_fmac_f32_e32 v5, v28, v27
	ds_bpermute_b32 v27, v17, v25
	s_waitcnt vmcnt(0)
	v_cvt_f32_f16_e32 v26, v26
	ds_bpermute_b32 v25, v18, v25
	v_mul_f32_e32 v28, v37, v38
	s_waitcnt lgkmcnt(2)
	v_fmac_f32_e32 v5, v28, v29
	v_mul_f32_e32 v28, v39, v40
	s_waitcnt lgkmcnt(1)
	v_fmac_f32_e32 v5, v28, v27
	;; [unrolled: 3-line block ×3, first 2 shown]
	s_cbranch_vccz .LBB167_7
.LBB167_4:                              ; =>This Inner Loop Header: Depth=1
	v_mov_b32_e32 v25, 0
	s_and_saveexec_b64 s[28:29], s[0:1]
	s_cbranch_execz .LBB167_3
; %bb.5:                                ;   in Loop: Header=BB167_4 Depth=1
	v_cmp_gt_i64_e32 vcc, s[8:9], v[6:7]
	v_mov_b32_e32 v25, 0
	s_and_saveexec_b64 s[30:31], vcc
	s_cbranch_execz .LBB167_2
; %bb.6:                                ;   in Loop: Header=BB167_4 Depth=1
	global_load_dword v25, v[8:9], off
	s_branch .LBB167_2
.LBB167_7:
	v_cvt_f16_f32_e32 v1, v5
.LBB167_8:
	s_cmp_eq_u64 s[16:17], 0
	s_cbranch_scc1 .LBB167_10
; %bb.9:
	s_load_dword s0, s[4:5], 0x4c
	v_mov_b32_e32 v3, 0
	v_mov_b32_e32 v4, s2
	s_mov_b32 s7, 0
	v_and_b32_e32 v0, 0x3ff, v0
	s_waitcnt lgkmcnt(0)
	s_lshr_b32 s0, s0, 16
	v_mad_u64_u32 v[2:3], s[0:1], s0, v4, v[2:3]
	v_mul_lo_u32 v4, v3, s10
	v_mul_lo_u32 v5, v2, s11
	v_mad_u64_u32 v[2:3], s[0:1], v2, s10, 0
	s_lshl_b64 s[0:1], s[6:7], 7
	v_add3_u32 v3, v3, v5, v4
	s_add_u32 s0, s0, s16
	v_lshlrev_b64 v[2:3], 1, v[2:3]
	s_addc_u32 s1, s1, s17
	v_mov_b32_e32 v4, s1
	v_add_co_u32_e32 v2, vcc, s0, v2
	v_addc_co_u32_e32 v3, vcc, v4, v3, vcc
	v_lshlrev_b32_e32 v0, 1, v0
	v_add_co_u32_e32 v2, vcc, v2, v0
	v_addc_co_u32_e32 v3, vcc, 0, v3, vcc
	global_store_short v[2:3], v1, off
.LBB167_10:
	s_endpgm
	.section	.rodata,"a",@progbits
	.p2align	6, 0x0
	.amdhsa_kernel _ZN2at6native12_GLOBAL__N_135GammaBetaBackwardCUDAKernelTemplateIN3c104HalfEfLj64ELj1ELj8ELb1ELb1ELb1EEEvllPKT_S7_PKT0_SA_PS5_SB_
		.amdhsa_group_segment_fixed_size 0
		.amdhsa_private_segment_fixed_size 0
		.amdhsa_kernarg_size 320
		.amdhsa_user_sgpr_count 6
		.amdhsa_user_sgpr_private_segment_buffer 1
		.amdhsa_user_sgpr_dispatch_ptr 0
		.amdhsa_user_sgpr_queue_ptr 0
		.amdhsa_user_sgpr_kernarg_segment_ptr 1
		.amdhsa_user_sgpr_dispatch_id 0
		.amdhsa_user_sgpr_flat_scratch_init 0
		.amdhsa_user_sgpr_kernarg_preload_length 0
		.amdhsa_user_sgpr_kernarg_preload_offset 0
		.amdhsa_user_sgpr_private_segment_size 0
		.amdhsa_uses_dynamic_stack 0
		.amdhsa_system_sgpr_private_segment_wavefront_offset 0
		.amdhsa_system_sgpr_workgroup_id_x 1
		.amdhsa_system_sgpr_workgroup_id_y 1
		.amdhsa_system_sgpr_workgroup_id_z 0
		.amdhsa_system_sgpr_workgroup_info 0
		.amdhsa_system_vgpr_workitem_id 1
		.amdhsa_next_free_vgpr 45
		.amdhsa_next_free_sgpr 32
		.amdhsa_accum_offset 48
		.amdhsa_reserve_vcc 1
		.amdhsa_reserve_flat_scratch 0
		.amdhsa_float_round_mode_32 0
		.amdhsa_float_round_mode_16_64 0
		.amdhsa_float_denorm_mode_32 3
		.amdhsa_float_denorm_mode_16_64 3
		.amdhsa_dx10_clamp 1
		.amdhsa_ieee_mode 1
		.amdhsa_fp16_overflow 0
		.amdhsa_tg_split 0
		.amdhsa_exception_fp_ieee_invalid_op 0
		.amdhsa_exception_fp_denorm_src 0
		.amdhsa_exception_fp_ieee_div_zero 0
		.amdhsa_exception_fp_ieee_overflow 0
		.amdhsa_exception_fp_ieee_underflow 0
		.amdhsa_exception_fp_ieee_inexact 0
		.amdhsa_exception_int_div_zero 0
	.end_amdhsa_kernel
	.section	.text._ZN2at6native12_GLOBAL__N_135GammaBetaBackwardCUDAKernelTemplateIN3c104HalfEfLj64ELj1ELj8ELb1ELb1ELb1EEEvllPKT_S7_PKT0_SA_PS5_SB_,"axG",@progbits,_ZN2at6native12_GLOBAL__N_135GammaBetaBackwardCUDAKernelTemplateIN3c104HalfEfLj64ELj1ELj8ELb1ELb1ELb1EEEvllPKT_S7_PKT0_SA_PS5_SB_,comdat
.Lfunc_end167:
	.size	_ZN2at6native12_GLOBAL__N_135GammaBetaBackwardCUDAKernelTemplateIN3c104HalfEfLj64ELj1ELj8ELb1ELb1ELb1EEEvllPKT_S7_PKT0_SA_PS5_SB_, .Lfunc_end167-_ZN2at6native12_GLOBAL__N_135GammaBetaBackwardCUDAKernelTemplateIN3c104HalfEfLj64ELj1ELj8ELb1ELb1ELb1EEEvllPKT_S7_PKT0_SA_PS5_SB_
                                        ; -- End function
	.section	.AMDGPU.csdata,"",@progbits
; Kernel info:
; codeLenInByte = 1148
; NumSgprs: 36
; NumVgprs: 45
; NumAgprs: 0
; TotalNumVgprs: 45
; ScratchSize: 0
; MemoryBound: 0
; FloatMode: 240
; IeeeMode: 1
; LDSByteSize: 0 bytes/workgroup (compile time only)
; SGPRBlocks: 4
; VGPRBlocks: 5
; NumSGPRsForWavesPerEU: 36
; NumVGPRsForWavesPerEU: 45
; AccumOffset: 48
; Occupancy: 8
; WaveLimiterHint : 0
; COMPUTE_PGM_RSRC2:SCRATCH_EN: 0
; COMPUTE_PGM_RSRC2:USER_SGPR: 6
; COMPUTE_PGM_RSRC2:TRAP_HANDLER: 0
; COMPUTE_PGM_RSRC2:TGID_X_EN: 1
; COMPUTE_PGM_RSRC2:TGID_Y_EN: 1
; COMPUTE_PGM_RSRC2:TGID_Z_EN: 0
; COMPUTE_PGM_RSRC2:TIDIG_COMP_CNT: 1
; COMPUTE_PGM_RSRC3_GFX90A:ACCUM_OFFSET: 11
; COMPUTE_PGM_RSRC3_GFX90A:TG_SPLIT: 0
	.section	.text._ZN2at6native12_GLOBAL__N_135GammaBetaBackwardCUDAKernelTemplateIN3c104HalfEfLj64ELj1ELj8ELb1ELb0ELb1EEEvllPKT_S7_PKT0_SA_PS5_SB_,"axG",@progbits,_ZN2at6native12_GLOBAL__N_135GammaBetaBackwardCUDAKernelTemplateIN3c104HalfEfLj64ELj1ELj8ELb1ELb0ELb1EEEvllPKT_S7_PKT0_SA_PS5_SB_,comdat
	.globl	_ZN2at6native12_GLOBAL__N_135GammaBetaBackwardCUDAKernelTemplateIN3c104HalfEfLj64ELj1ELj8ELb1ELb0ELb1EEEvllPKT_S7_PKT0_SA_PS5_SB_ ; -- Begin function _ZN2at6native12_GLOBAL__N_135GammaBetaBackwardCUDAKernelTemplateIN3c104HalfEfLj64ELj1ELj8ELb1ELb0ELb1EEEvllPKT_S7_PKT0_SA_PS5_SB_
	.p2align	8
	.type	_ZN2at6native12_GLOBAL__N_135GammaBetaBackwardCUDAKernelTemplateIN3c104HalfEfLj64ELj1ELj8ELb1ELb0ELb1EEEvllPKT_S7_PKT0_SA_PS5_SB_,@function
_ZN2at6native12_GLOBAL__N_135GammaBetaBackwardCUDAKernelTemplateIN3c104HalfEfLj64ELj1ELj8ELb1ELb0ELb1EEEvllPKT_S7_PKT0_SA_PS5_SB_: ; @_ZN2at6native12_GLOBAL__N_135GammaBetaBackwardCUDAKernelTemplateIN3c104HalfEfLj64ELj1ELj8ELb1ELb0ELb1EEEvllPKT_S7_PKT0_SA_PS5_SB_
; %bb.0:
	s_load_dwordx8 s[12:19], s[4:5], 0x0
	s_load_dwordx2 s[28:29], s[4:5], 0x28
	s_mov_b32 s8, s7
	s_lshl_b32 s7, s6, 6
	s_or_b32 s30, s7, 63
	s_mov_b32 s31, 0
	s_waitcnt lgkmcnt(0)
	v_pk_mov_b32 v[2:3], s[14:15], s[14:15] op_sel:[0,1]
	v_cmp_ge_i64_e32 vcc, s[30:31], v[2:3]
	s_lshl_b32 s30, s8, 3
	v_pk_mov_b32 v[2:3], s[12:13], s[12:13] op_sel:[0,1]
	v_cmp_lt_i64_e64 s[0:1], s[30:31], v[2:3]
	v_cndmask_b32_e64 v1, 0, 1, s[0:1]
	v_cmp_ne_u32_e64 s[0:1], 1, v1
	s_cbranch_vccz .LBB168_49
; %bb.1:
	s_and_b64 vcc, exec, s[0:1]
	v_mov_b32_e32 v4, 0
	s_cbranch_vccnz .LBB168_50
; %bb.2:
	v_and_b32_e32 v61, 0x3ff, v0
	v_bfe_u32 v64, v0, 10, 10
	v_add_u32_e32 v2, s7, v61
	v_mov_b32_e32 v3, 0
	v_lshlrev_b32_e32 v26, 3, v64
	v_cmp_gt_i64_e64 s[2:3], s[14:15], v[2:3]
	v_lshlrev_b64 v[28:29], 1, v[2:3]
	v_mov_b32_e32 v2, s31
	v_add_co_u32_e32 v6, vcc, s30, v26
	v_addc_co_u32_e32 v2, vcc, 0, v2, vcc
	v_add_co_u32_e32 v4, vcc, 7, v6
	v_addc_co_u32_e32 v5, vcc, 0, v2, vcc
	v_mul_lo_u32 v7, s15, v4
	v_mul_lo_u32 v8, s14, v5
	v_mad_u64_u32 v[4:5], s[10:11], s14, v4, 0
	s_load_dword s9, s[4:5], 0x44
	v_add3_u32 v5, v5, v8, v7
	v_lshlrev_b64 v[4:5], 1, v[4:5]
	v_mov_b32_e32 v7, s17
	v_add_co_u32_e32 v30, vcc, s16, v4
	v_addc_co_u32_e32 v27, vcc, v7, v5, vcc
	s_add_u32 s34, s4, 64
	v_mov_b32_e32 v8, s19
	v_add_co_u32_e32 v32, vcc, s18, v4
	s_addc_u32 s35, s5, 0
	s_waitcnt lgkmcnt(0)
	s_lshl_b32 s9, s9, 3
	v_addc_co_u32_e32 v31, vcc, v8, v5, vcc
	s_mul_i32 s10, s15, s9
	s_mul_hi_u32 s11, s14, s9
	v_add_co_u32_e32 v4, vcc, 6, v6
	s_add_i32 s11, s11, s10
	s_mul_i32 s10, s14, s9
	v_addc_co_u32_e32 v5, vcc, 0, v2, vcc
	s_lshl_b64 s[38:39], s[10:11], 1
	v_mul_lo_u32 v9, s15, v4
	v_mul_lo_u32 v10, s14, v5
	v_mad_u64_u32 v[4:5], s[10:11], s14, v4, 0
	v_add3_u32 v5, v5, v10, v9
	v_lshlrev_b64 v[4:5], 1, v[4:5]
	v_add_co_u32_e32 v34, vcc, s16, v4
	v_addc_co_u32_e32 v33, vcc, v7, v5, vcc
	v_add_co_u32_e32 v36, vcc, s18, v4
	v_addc_co_u32_e32 v35, vcc, v8, v5, vcc
	v_add_co_u32_e32 v4, vcc, 5, v6
	v_addc_co_u32_e32 v5, vcc, 0, v2, vcc
	v_mul_lo_u32 v9, s15, v4
	v_mul_lo_u32 v10, s14, v5
	v_mad_u64_u32 v[4:5], s[10:11], s14, v4, 0
	v_add3_u32 v5, v5, v10, v9
	v_lshlrev_b64 v[4:5], 1, v[4:5]
	v_add_co_u32_e32 v38, vcc, s16, v4
	v_addc_co_u32_e32 v37, vcc, v7, v5, vcc
	v_add_co_u32_e32 v40, vcc, s18, v4
	v_addc_co_u32_e32 v39, vcc, v8, v5, vcc
	v_add_co_u32_e32 v4, vcc, 4, v6
	v_addc_co_u32_e32 v5, vcc, 0, v2, vcc
	;; [unrolled: 11-line block ×4, first 2 shown]
	v_mul_lo_u32 v9, s15, v4
	v_mul_lo_u32 v10, s14, v5
	v_mad_u64_u32 v[4:5], s[10:11], s14, v4, 0
	v_add3_u32 v5, v5, v10, v9
	v_lshlrev_b64 v[4:5], 1, v[4:5]
	v_add_co_u32_e32 v50, vcc, s16, v4
	v_addc_co_u32_e32 v49, vcc, v7, v5, vcc
	v_add_co_u32_e32 v52, vcc, s18, v4
	v_addc_co_u32_e32 v51, vcc, v8, v5, vcc
	v_pk_mov_b32 v[4:5], s[14:15], s[14:15] op_sel:[0,1]
	v_mad_u64_u32 v[4:5], s[10:11], s14, v6, v[4:5]
	v_mul_lo_u32 v2, s14, v2
	v_mul_lo_u32 v9, s15, v6
	v_add3_u32 v5, v9, v5, v2
	v_lshlrev_b64 v[4:5], 1, v[4:5]
	v_add_co_u32_e32 v54, vcc, s16, v4
	v_addc_co_u32_e32 v53, vcc, v7, v5, vcc
	v_add_co_u32_e32 v56, vcc, s18, v4
	v_addc_co_u32_e32 v55, vcc, v8, v5, vcc
	v_mad_u64_u32 v[4:5], s[10:11], s14, v6, 0
	v_add3_u32 v5, v5, v2, v9
	v_lshlrev_b64 v[4:5], 1, v[4:5]
	v_add_co_u32_e32 v58, vcc, s16, v4
	v_mbcnt_lo_u32_b32 v2, -1, 0
	v_addc_co_u32_e32 v57, vcc, v7, v5, vcc
	v_mbcnt_hi_u32_b32 v2, -1, v2
	s_mov_b32 s20, 0
	v_add_co_u32_e32 v60, vcc, s18, v4
	v_lshlrev_b32_e32 v2, 2, v2
	v_mov_b32_e32 v1, v3
	s_mov_b32 s33, s20
	s_mov_b64 s[36:37], 7
	v_addc_co_u32_e32 v59, vcc, v8, v5, vcc
	v_and_b32_e32 v65, 0x100, v2
	s_mov_b64 s[40:41], s[30:31]
	v_mov_b32_e32 v66, 0
.LBB168_3:                              ; =>This Inner Loop Header: Depth=1
	s_add_u32 s10, s30, s36
	s_addc_u32 s11, 0, s37
	v_pk_mov_b32 v[4:5], s[12:13], s[12:13] op_sel:[0,1]
	v_cmp_ge_i64_e32 vcc, s[10:11], v[4:5]
	v_mov_b32_e32 v2, s31
	v_add_co_u32_e64 v62, s[10:11], s30, v26
	v_addc_co_u32_e64 v63, s[10:11], v2, v1, s[10:11]
	s_cbranch_vccz .LBB168_25
; %bb.4:                                ;   in Loop: Header=BB168_3 Depth=1
	s_load_dword s10, s[34:35], 0xc
	v_mov_b32_e32 v67, 0
	s_waitcnt lgkmcnt(0)
	s_and_b32 s10, s10, 0xffff
	v_mad_u32_u24 v2, v64, s10, v61
	v_and_b32_e32 v2, 63, v2
	v_cmp_gt_u32_e32 vcc, 8, v2
	s_and_saveexec_b64 s[10:11], vcc
	s_cbranch_execz .LBB168_8
; %bb.5:                                ;   in Loop: Header=BB168_3 Depth=1
	v_add_co_u32_e32 v4, vcc, v62, v2
	v_addc_co_u32_e32 v5, vcc, 0, v63, vcc
	v_cmp_gt_i64_e32 vcc, s[12:13], v[4:5]
	v_mov_b32_e32 v67, 0
	s_and_saveexec_b64 s[22:23], vcc
	s_cbranch_execz .LBB168_7
; %bb.6:                                ;   in Loop: Header=BB168_3 Depth=1
	v_lshlrev_b64 v[4:5], 2, v[4:5]
	v_mov_b32_e32 v2, s29
	v_add_co_u32_e32 v4, vcc, s28, v4
	v_addc_co_u32_e32 v5, vcc, v2, v5, vcc
	global_load_dword v67, v[4:5], off
.LBB168_7:                              ;   in Loop: Header=BB168_3 Depth=1
	s_or_b64 exec, exec, s[22:23]
.LBB168_8:                              ;   in Loop: Header=BB168_3 Depth=1
	s_or_b64 exec, exec, s[10:11]
	s_mov_b32 s21, s20
	s_mov_b32 s22, s20
	;; [unrolled: 1-line block ×7, first 2 shown]
	v_pk_mov_b32 v[10:11], s[20:21], s[20:21] op_sel:[0,1]
	v_pk_mov_b32 v[16:17], s[26:27], s[26:27] op_sel:[0,1]
	v_cmp_gt_i64_e32 vcc, s[12:13], v[62:63]
	v_pk_mov_b32 v[12:13], s[22:23], s[22:23] op_sel:[0,1]
	v_pk_mov_b32 v[14:15], s[24:25], s[24:25] op_sel:[0,1]
	;; [unrolled: 1-line block ×3, first 2 shown]
	s_and_b64 s[42:43], s[2:3], vcc
	v_pk_mov_b32 v[22:23], v[14:15], v[14:15] op_sel:[0,1]
	v_pk_mov_b32 v[20:21], v[12:13], v[12:13] op_sel:[0,1]
	;; [unrolled: 1-line block ×3, first 2 shown]
	s_and_saveexec_b64 s[10:11], s[42:43]
	s_cbranch_execz .LBB168_10
; %bb.9:                                ;   in Loop: Header=BB168_3 Depth=1
	v_add_co_u32_e32 v4, vcc, v58, v28
	v_addc_co_u32_e32 v5, vcc, v57, v29, vcc
	global_load_ushort v2, v[4:5], off
	v_add_co_u32_e32 v4, vcc, v60, v28
	v_addc_co_u32_e32 v5, vcc, v59, v29, vcc
	global_load_ushort v10, v[4:5], off
	v_mov_b32_e32 v8, v3
	v_mov_b32_e32 v9, v3
	v_mov_b32_e32 v4, v3
	v_mov_b32_e32 v5, v3
	v_mov_b32_e32 v6, v3
	v_mov_b32_e32 v7, v3
	v_mov_b32_e32 v11, v3
	v_mov_b32_e32 v12, v3
	v_mov_b32_e32 v13, v3
	v_mov_b32_e32 v14, v3
	v_mov_b32_e32 v15, v3
	v_mov_b32_e32 v16, v3
	v_mov_b32_e32 v17, v3
	s_waitcnt vmcnt(1)
	v_cvt_f32_f16_e32 v2, v2
	v_pk_mov_b32 v[24:25], v[8:9], v[8:9] op_sel:[0,1]
	v_pk_mov_b32 v[22:23], v[6:7], v[6:7] op_sel:[0,1]
	;; [unrolled: 1-line block ×4, first 2 shown]
	s_waitcnt vmcnt(0)
	v_cvt_f32_f16_e32 v10, v10
.LBB168_10:                             ;   in Loop: Header=BB168_3 Depth=1
	s_or_b64 exec, exec, s[10:11]
	v_add_co_u32_e32 v4, vcc, 1, v62
	v_addc_co_u32_e32 v5, vcc, 0, v63, vcc
	v_cmp_gt_i64_e32 vcc, s[12:13], v[4:5]
	s_and_b64 s[22:23], s[2:3], vcc
	s_and_saveexec_b64 s[10:11], s[22:23]
	s_cbranch_execz .LBB168_12
; %bb.11:                               ;   in Loop: Header=BB168_3 Depth=1
	v_add_co_u32_e32 v4, vcc, v54, v28
	v_addc_co_u32_e32 v5, vcc, v53, v29, vcc
	global_load_ushort v2, v[4:5], off
	v_add_co_u32_e32 v4, vcc, v56, v28
	v_addc_co_u32_e32 v5, vcc, v55, v29, vcc
	global_load_ushort v4, v[4:5], off
	s_waitcnt vmcnt(1)
	v_cvt_f32_f16_e32 v19, v2
	s_waitcnt vmcnt(0)
	v_cvt_f32_f16_e32 v11, v4
.LBB168_12:                             ;   in Loop: Header=BB168_3 Depth=1
	s_or_b64 exec, exec, s[10:11]
	v_add_co_u32_e32 v4, vcc, 2, v62
	v_addc_co_u32_e32 v5, vcc, 0, v63, vcc
	v_cmp_gt_i64_e32 vcc, s[12:13], v[4:5]
	s_and_b64 s[22:23], s[2:3], vcc
	s_and_saveexec_b64 s[10:11], s[22:23]
	s_cbranch_execz .LBB168_14
; %bb.13:                               ;   in Loop: Header=BB168_3 Depth=1
	v_add_co_u32_e32 v4, vcc, v50, v28
	v_addc_co_u32_e32 v5, vcc, v49, v29, vcc
	global_load_ushort v2, v[4:5], off
	v_add_co_u32_e32 v4, vcc, v52, v28
	v_addc_co_u32_e32 v5, vcc, v51, v29, vcc
	global_load_ushort v4, v[4:5], off
	s_waitcnt vmcnt(1)
	v_cvt_f32_f16_e32 v20, v2
	s_waitcnt vmcnt(0)
	v_cvt_f32_f16_e32 v12, v4
.LBB168_14:                             ;   in Loop: Header=BB168_3 Depth=1
	;; [unrolled: 19-line block ×7, first 2 shown]
	s_or_b64 exec, exec, s[10:11]
	s_waitcnt vmcnt(0)
	ds_bpermute_b32 v4, v65, v67 offset:4
	ds_bpermute_b32 v5, v65, v67 offset:8
	ds_bpermute_b32 v2, v65, v67
	v_mul_f32_e32 v8, v10, v18
	v_pk_mul_f32 v[10:11], v[10:11], v[18:19]
	v_pk_mul_f32 v[12:13], v[12:13], v[20:21]
	v_mov_b32_e32 v10, v11
	v_mov_b32_e32 v11, v12
	s_waitcnt lgkmcnt(1)
	v_pk_mul_f32 v[4:5], v[10:11], v[4:5]
	ds_bpermute_b32 v10, v65, v67 offset:12
	ds_bpermute_b32 v11, v65, v67 offset:16
	s_waitcnt lgkmcnt(2)
	v_fma_f32 v2, v8, v2, v66
	v_pk_mul_f32 v[8:9], v[14:15], v[22:23]
	v_add_f32_e32 v2, v2, v4
	v_add_f32_e32 v2, v2, v5
	v_mov_b32_e32 v4, v13
	v_mov_b32_e32 v5, v8
	s_waitcnt lgkmcnt(0)
	v_pk_mul_f32 v[4:5], v[4:5], v[10:11]
	ds_bpermute_b32 v10, v65, v67 offset:20
	ds_bpermute_b32 v11, v65, v67 offset:24
	v_pk_mul_f32 v[6:7], v[16:17], v[24:25]
	v_add_f32_e32 v2, v2, v4
	v_add_f32_e32 v7, v2, v5
	ds_bpermute_b32 v2, v65, v67 offset:28
	v_mov_b32_e32 v4, v9
	v_mov_b32_e32 v5, v6
	s_waitcnt lgkmcnt(1)
	v_pk_mul_f32 v[4:5], v[4:5], v[10:11]
	v_add_f32_e32 v4, v7, v4
	v_add_f32_e32 v4, v4, v5
	s_branch .LBB168_40
.LBB168_25:                             ;   in Loop: Header=BB168_3 Depth=1
                                        ; implicit-def: $vgpr4
                                        ; implicit-def: $vgpr10_vgpr11_vgpr12_vgpr13_vgpr14_vgpr15_vgpr16_vgpr17
                                        ; implicit-def: $vgpr18_vgpr19_vgpr20_vgpr21_vgpr22_vgpr23_vgpr24_vgpr25
                                        ; implicit-def: $vgpr2
	s_cbranch_execz .LBB168_40
; %bb.26:                               ;   in Loop: Header=BB168_3 Depth=1
	s_load_dword s10, s[34:35], 0x0
	v_mov_b32_e32 v67, 0
	s_waitcnt lgkmcnt(0)
	s_cmp_lt_u32 s6, s10
	s_cselect_b32 s10, 12, 18
	s_add_u32 s10, s34, s10
	s_addc_u32 s11, s35, 0
	global_load_ushort v2, v3, s[10:11]
	s_waitcnt vmcnt(0)
	v_mad_u32_u24 v2, v64, v2, v61
	v_and_b32_e32 v2, 63, v2
	v_cmp_gt_u32_e32 vcc, 8, v2
	s_and_saveexec_b64 s[10:11], vcc
	s_cbranch_execz .LBB168_30
; %bb.27:                               ;   in Loop: Header=BB168_3 Depth=1
	v_add_co_u32_e32 v4, vcc, v62, v2
	v_addc_co_u32_e32 v5, vcc, 0, v63, vcc
	v_cmp_gt_i64_e32 vcc, s[12:13], v[4:5]
	v_mov_b32_e32 v67, 0
	s_and_saveexec_b64 s[22:23], vcc
	s_cbranch_execz .LBB168_29
; %bb.28:                               ;   in Loop: Header=BB168_3 Depth=1
	v_lshlrev_b64 v[4:5], 2, v[4:5]
	v_mov_b32_e32 v2, s29
	v_add_co_u32_e32 v4, vcc, s28, v4
	v_addc_co_u32_e32 v5, vcc, v2, v5, vcc
	global_load_dword v67, v[4:5], off
.LBB168_29:                             ;   in Loop: Header=BB168_3 Depth=1
	s_or_b64 exec, exec, s[22:23]
.LBB168_30:                             ;   in Loop: Header=BB168_3 Depth=1
	s_or_b64 exec, exec, s[10:11]
	s_mov_b32 s21, s20
	s_mov_b32 s22, s20
	;; [unrolled: 1-line block ×7, first 2 shown]
	v_pk_mov_b32 v[10:11], s[20:21], s[20:21] op_sel:[0,1]
	v_pk_mov_b32 v[16:17], s[26:27], s[26:27] op_sel:[0,1]
	;; [unrolled: 1-line block ×8, first 2 shown]
	s_and_saveexec_b64 s[10:11], s[2:3]
	s_cbranch_execnz .LBB168_42
; %bb.31:                               ;   in Loop: Header=BB168_3 Depth=1
	s_or_b64 exec, exec, s[10:11]
	s_and_saveexec_b64 s[10:11], s[2:3]
	s_cbranch_execnz .LBB168_43
.LBB168_32:                             ;   in Loop: Header=BB168_3 Depth=1
	s_or_b64 exec, exec, s[10:11]
	s_and_saveexec_b64 s[10:11], s[2:3]
	s_cbranch_execnz .LBB168_44
.LBB168_33:                             ;   in Loop: Header=BB168_3 Depth=1
	s_or_b64 exec, exec, s[10:11]
	s_and_saveexec_b64 s[10:11], s[2:3]
	s_cbranch_execnz .LBB168_45
.LBB168_34:                             ;   in Loop: Header=BB168_3 Depth=1
	s_or_b64 exec, exec, s[10:11]
	s_and_saveexec_b64 s[10:11], s[2:3]
	s_cbranch_execnz .LBB168_46
.LBB168_35:                             ;   in Loop: Header=BB168_3 Depth=1
	s_or_b64 exec, exec, s[10:11]
	s_and_saveexec_b64 s[10:11], s[2:3]
	s_cbranch_execnz .LBB168_47
.LBB168_36:                             ;   in Loop: Header=BB168_3 Depth=1
	s_or_b64 exec, exec, s[10:11]
	s_and_saveexec_b64 s[10:11], s[2:3]
	s_cbranch_execnz .LBB168_48
.LBB168_37:                             ;   in Loop: Header=BB168_3 Depth=1
	s_or_b64 exec, exec, s[10:11]
	s_and_saveexec_b64 s[10:11], s[2:3]
	s_cbranch_execz .LBB168_39
.LBB168_38:                             ;   in Loop: Header=BB168_3 Depth=1
	v_add_co_u32_e32 v4, vcc, v30, v28
	v_addc_co_u32_e32 v5, vcc, v27, v29, vcc
	global_load_ushort v2, v[4:5], off
	v_add_co_u32_e32 v4, vcc, v32, v28
	v_addc_co_u32_e32 v5, vcc, v31, v29, vcc
	global_load_ushort v4, v[4:5], off
	s_waitcnt vmcnt(1)
	v_cvt_f32_f16_e32 v25, v2
	s_waitcnt vmcnt(0)
	v_cvt_f32_f16_e32 v17, v4
.LBB168_39:                             ;   in Loop: Header=BB168_3 Depth=1
	s_or_b64 exec, exec, s[10:11]
	s_waitcnt vmcnt(0)
	ds_bpermute_b32 v4, v65, v67 offset:4
	ds_bpermute_b32 v5, v65, v67 offset:8
	ds_bpermute_b32 v2, v65, v67
	v_mul_f32_e32 v8, v10, v18
	v_pk_mul_f32 v[10:11], v[10:11], v[18:19]
	v_pk_mul_f32 v[12:13], v[12:13], v[20:21]
	v_mov_b32_e32 v10, v11
	v_mov_b32_e32 v11, v12
	s_waitcnt lgkmcnt(1)
	v_pk_mul_f32 v[4:5], v[10:11], v[4:5]
	ds_bpermute_b32 v10, v65, v67 offset:12
	ds_bpermute_b32 v11, v65, v67 offset:16
	s_waitcnt lgkmcnt(2)
	v_fmac_f32_e32 v66, v8, v2
	v_pk_mul_f32 v[8:9], v[14:15], v[22:23]
	v_add_f32_e32 v2, v66, v4
	v_add_f32_e32 v2, v2, v5
	v_mov_b32_e32 v4, v13
	v_mov_b32_e32 v5, v8
	s_waitcnt lgkmcnt(0)
	v_pk_mul_f32 v[4:5], v[4:5], v[10:11]
	ds_bpermute_b32 v10, v65, v67 offset:20
	ds_bpermute_b32 v11, v65, v67 offset:24
	v_pk_mul_f32 v[6:7], v[16:17], v[24:25]
	v_add_f32_e32 v2, v2, v4
	v_add_f32_e32 v7, v2, v5
	v_mov_b32_e32 v4, v9
	v_mov_b32_e32 v5, v6
	s_waitcnt lgkmcnt(0)
	v_pk_mul_f32 v[4:5], v[4:5], v[10:11]
	v_add_f32_e32 v4, v7, v4
	ds_bpermute_b32 v2, v65, v67 offset:28
	v_add_f32_e32 v4, v4, v5
.LBB168_40:                             ;   in Loop: Header=BB168_3 Depth=1
	v_mul_f32_e32 v5, v25, v17
	s_waitcnt lgkmcnt(0)
	v_fmac_f32_e32 v4, v5, v2
	v_mov_b32_e32 v2, s39
	v_add_co_u32_e32 v30, vcc, s38, v30
	v_addc_co_u32_e32 v27, vcc, v27, v2, vcc
	v_add_co_u32_e32 v32, vcc, s38, v32
	v_addc_co_u32_e32 v31, vcc, v31, v2, vcc
	;; [unrolled: 2-line block ×14, first 2 shown]
	v_mov_b32_e32 v5, s33
	v_add_co_u32_e32 v26, vcc, s9, v26
	v_addc_co_u32_e32 v1, vcc, v1, v5, vcc
	v_add_co_u32_e32 v58, vcc, s38, v58
	v_addc_co_u32_e32 v57, vcc, v57, v2, vcc
	s_add_u32 s40, s40, s9
	v_add_co_u32_e32 v60, vcc, s38, v60
	s_addc_u32 s41, s41, 0
	v_addc_co_u32_e32 v59, vcc, v59, v2, vcc
	v_pk_mov_b32 v[6:7], s[12:13], s[12:13] op_sel:[0,1]
	s_add_u32 s36, s36, s9
	v_cmp_lt_i64_e32 vcc, s[40:41], v[6:7]
	s_addc_u32 s37, s37, 0
	s_cbranch_vccz .LBB168_50
; %bb.41:                               ;   in Loop: Header=BB168_3 Depth=1
	v_mov_b32_e32 v66, v4
	s_branch .LBB168_3
.LBB168_42:                             ;   in Loop: Header=BB168_3 Depth=1
	v_add_co_u32_e32 v4, vcc, v58, v28
	v_addc_co_u32_e32 v5, vcc, v57, v29, vcc
	global_load_ushort v2, v[4:5], off
	v_add_co_u32_e32 v4, vcc, v60, v28
	v_addc_co_u32_e32 v5, vcc, v59, v29, vcc
	global_load_ushort v10, v[4:5], off
	v_mov_b32_e32 v8, v3
	v_mov_b32_e32 v9, v3
	v_mov_b32_e32 v4, v3
	v_mov_b32_e32 v5, v3
	v_mov_b32_e32 v6, v3
	v_mov_b32_e32 v7, v3
	v_mov_b32_e32 v11, v3
	v_mov_b32_e32 v12, v3
	v_mov_b32_e32 v13, v3
	v_mov_b32_e32 v14, v3
	v_mov_b32_e32 v15, v3
	v_mov_b32_e32 v16, v3
	v_mov_b32_e32 v17, v3
	s_waitcnt vmcnt(1)
	v_cvt_f32_f16_e32 v2, v2
	v_pk_mov_b32 v[24:25], v[8:9], v[8:9] op_sel:[0,1]
	v_pk_mov_b32 v[22:23], v[6:7], v[6:7] op_sel:[0,1]
	;; [unrolled: 1-line block ×4, first 2 shown]
	s_waitcnt vmcnt(0)
	v_cvt_f32_f16_e32 v10, v10
	s_or_b64 exec, exec, s[10:11]
	s_and_saveexec_b64 s[10:11], s[2:3]
	s_cbranch_execz .LBB168_32
.LBB168_43:                             ;   in Loop: Header=BB168_3 Depth=1
	v_add_co_u32_e32 v4, vcc, v54, v28
	v_addc_co_u32_e32 v5, vcc, v53, v29, vcc
	global_load_ushort v2, v[4:5], off
	v_add_co_u32_e32 v4, vcc, v56, v28
	v_addc_co_u32_e32 v5, vcc, v55, v29, vcc
	global_load_ushort v4, v[4:5], off
	s_waitcnt vmcnt(1)
	v_cvt_f32_f16_e32 v19, v2
	s_waitcnt vmcnt(0)
	v_cvt_f32_f16_e32 v11, v4
	s_or_b64 exec, exec, s[10:11]
	s_and_saveexec_b64 s[10:11], s[2:3]
	s_cbranch_execz .LBB168_33
.LBB168_44:                             ;   in Loop: Header=BB168_3 Depth=1
	v_add_co_u32_e32 v4, vcc, v50, v28
	v_addc_co_u32_e32 v5, vcc, v49, v29, vcc
	global_load_ushort v2, v[4:5], off
	v_add_co_u32_e32 v4, vcc, v52, v28
	v_addc_co_u32_e32 v5, vcc, v51, v29, vcc
	global_load_ushort v4, v[4:5], off
	s_waitcnt vmcnt(1)
	v_cvt_f32_f16_e32 v20, v2
	s_waitcnt vmcnt(0)
	v_cvt_f32_f16_e32 v12, v4
	s_or_b64 exec, exec, s[10:11]
	s_and_saveexec_b64 s[10:11], s[2:3]
	s_cbranch_execz .LBB168_34
.LBB168_45:                             ;   in Loop: Header=BB168_3 Depth=1
	v_add_co_u32_e32 v4, vcc, v46, v28
	v_addc_co_u32_e32 v5, vcc, v45, v29, vcc
	global_load_ushort v2, v[4:5], off
	v_add_co_u32_e32 v4, vcc, v48, v28
	v_addc_co_u32_e32 v5, vcc, v47, v29, vcc
	global_load_ushort v4, v[4:5], off
	s_waitcnt vmcnt(1)
	v_cvt_f32_f16_e32 v21, v2
	s_waitcnt vmcnt(0)
	v_cvt_f32_f16_e32 v13, v4
	s_or_b64 exec, exec, s[10:11]
	s_and_saveexec_b64 s[10:11], s[2:3]
	s_cbranch_execz .LBB168_35
.LBB168_46:                             ;   in Loop: Header=BB168_3 Depth=1
	v_add_co_u32_e32 v4, vcc, v42, v28
	v_addc_co_u32_e32 v5, vcc, v41, v29, vcc
	global_load_ushort v2, v[4:5], off
	v_add_co_u32_e32 v4, vcc, v44, v28
	v_addc_co_u32_e32 v5, vcc, v43, v29, vcc
	global_load_ushort v4, v[4:5], off
	s_waitcnt vmcnt(1)
	v_cvt_f32_f16_e32 v22, v2
	s_waitcnt vmcnt(0)
	v_cvt_f32_f16_e32 v14, v4
	s_or_b64 exec, exec, s[10:11]
	s_and_saveexec_b64 s[10:11], s[2:3]
	s_cbranch_execz .LBB168_36
.LBB168_47:                             ;   in Loop: Header=BB168_3 Depth=1
	v_add_co_u32_e32 v4, vcc, v38, v28
	v_addc_co_u32_e32 v5, vcc, v37, v29, vcc
	global_load_ushort v2, v[4:5], off
	v_add_co_u32_e32 v4, vcc, v40, v28
	v_addc_co_u32_e32 v5, vcc, v39, v29, vcc
	global_load_ushort v4, v[4:5], off
	s_waitcnt vmcnt(1)
	v_cvt_f32_f16_e32 v23, v2
	s_waitcnt vmcnt(0)
	v_cvt_f32_f16_e32 v15, v4
	s_or_b64 exec, exec, s[10:11]
	s_and_saveexec_b64 s[10:11], s[2:3]
	s_cbranch_execz .LBB168_37
.LBB168_48:                             ;   in Loop: Header=BB168_3 Depth=1
	v_add_co_u32_e32 v4, vcc, v34, v28
	v_addc_co_u32_e32 v5, vcc, v33, v29, vcc
	global_load_ushort v2, v[4:5], off
	v_add_co_u32_e32 v4, vcc, v36, v28
	v_addc_co_u32_e32 v5, vcc, v35, v29, vcc
	global_load_ushort v4, v[4:5], off
	s_waitcnt vmcnt(1)
	v_cvt_f32_f16_e32 v24, v2
	s_waitcnt vmcnt(0)
	v_cvt_f32_f16_e32 v16, v4
	s_or_b64 exec, exec, s[10:11]
	s_and_saveexec_b64 s[10:11], s[2:3]
	s_cbranch_execnz .LBB168_38
	s_branch .LBB168_39
.LBB168_49:
                                        ; implicit-def: $vgpr4
	s_load_dwordx2 s[2:3], s[4:5], 0x30
	s_branch .LBB168_51
.LBB168_50:
	s_load_dwordx2 s[2:3], s[4:5], 0x30
	s_cbranch_execnz .LBB168_83
.LBB168_51:
	s_and_b64 vcc, exec, s[0:1]
	v_mov_b32_e32 v4, 0
	s_cbranch_vccnz .LBB168_83
; %bb.52:
	v_bfe_u32 v87, v0, 10, 10
	s_add_u32 s10, s4, 64
	s_addc_u32 s11, s5, 0
	v_lshlrev_b32_e32 v1, 4, v87
	s_lshl_b64 s[0:1], s[30:31], 1
	v_mov_b32_e32 v2, s1
	v_add_co_u32_e32 v1, vcc, s0, v1
	v_addc_co_u32_e32 v4, vcc, 0, v2, vcc
	v_add_co_u32_e32 v6, vcc, 2, v1
	v_addc_co_u32_e32 v5, vcc, 0, v4, vcc
	v_add_co_u32_e32 v9, vcc, 4, v1
	v_mul_lo_u32 v7, s14, v5
	v_addc_co_u32_e32 v5, vcc, 0, v4, vcc
	v_add_co_u32_e32 v12, vcc, 6, v1
	v_mul_lo_u32 v10, s14, v5
	v_addc_co_u32_e32 v5, vcc, 0, v4, vcc
	v_add_co_u32_e32 v15, vcc, 8, v1
	v_mul_lo_u32 v13, s14, v5
	v_addc_co_u32_e32 v5, vcc, 0, v4, vcc
	v_add_co_u32_e32 v18, vcc, 10, v1
	v_mul_lo_u32 v16, s14, v5
	v_addc_co_u32_e32 v5, vcc, 0, v4, vcc
	v_add_co_u32_e32 v21, vcc, 12, v1
	v_mul_lo_u32 v19, s14, v5
	v_addc_co_u32_e32 v5, vcc, 0, v4, vcc
	v_add_co_u32_e32 v24, vcc, 14, v1
	v_lshlrev_b32_e32 v26, 3, v87
	v_addc_co_u32_e32 v1, vcc, 0, v4, vcc
	v_mul_lo_u32 v25, s14, v1
	v_mov_b32_e32 v1, s31
	v_add_co_u32_e32 v43, vcc, s30, v26
	v_pk_mov_b32 v[2:3], s[16:17], s[16:17] op_sel:[0,1]
	v_addc_co_u32_e32 v59, vcc, 0, v1, vcc
	v_mad_u64_u32 v[28:29], s[0:1], s14, v6, v[2:3]
	v_mad_u64_u32 v[30:31], s[0:1], s14, v9, v[2:3]
	;; [unrolled: 1-line block ×7, first 2 shown]
	v_mul_lo_u32 v60, s15, v43
	v_mul_lo_u32 v61, s14, v59
	v_mad_u64_u32 v[2:3], s[0:1], s14, v43, 0
	v_add3_u32 v3, v3, v61, v60
	v_lshlrev_b64 v[2:3], 1, v[2:3]
	v_mul_lo_u32 v22, s14, v5
	v_mov_b32_e32 v81, s17
	v_add_co_u32_e32 v42, vcc, s16, v2
	v_pk_mov_b32 v[4:5], s[18:19], s[18:19] op_sel:[0,1]
	v_mul_lo_u32 v17, s15, v15
	v_addc_co_u32_e32 v1, vcc, v81, v3, vcc
	v_mad_u64_u32 v[50:51], s[0:1], s14, v15, v[4:5]
	v_add3_u32 v35, v17, v35, v16
	v_mul_lo_u32 v27, s15, v24
	v_add3_u32 v51, v17, v51, v16
	v_mad_u64_u32 v[56:57], s[0:1], s14, v24, v[4:5]
	v_mov_b32_e32 v16, s19
	v_add_co_u32_e32 v58, vcc, s18, v2
	v_add3_u32 v41, v27, v41, v25
	v_add3_u32 v57, v27, v57, v25
	v_addc_co_u32_e32 v27, vcc, v16, v3, vcc
	v_add_co_u32_e32 v2, vcc, 7, v43
	v_addc_co_u32_e32 v3, vcc, 0, v59, vcc
	v_mad_u64_u32 v[44:45], s[0:1], s14, v6, v[4:5]
	v_mad_u64_u32 v[46:47], s[0:1], s14, v9, v[4:5]
	;; [unrolled: 1-line block ×5, first 2 shown]
	v_mul_lo_u32 v4, s15, v2
	v_mul_lo_u32 v5, s14, v3
	v_mad_u64_u32 v[2:3], s[0:1], s14, v2, 0
	v_add3_u32 v3, v3, v5, v4
	v_add_co_u32_e32 v4, vcc, 6, v43
	v_mul_lo_u32 v8, s15, v6
	v_addc_co_u32_e32 v5, vcc, 0, v59, vcc
	v_add3_u32 v29, v8, v29, v7
	v_add3_u32 v45, v8, v45, v7
	v_mul_lo_u32 v6, s15, v4
	v_mul_lo_u32 v7, s14, v5
	v_mad_u64_u32 v[4:5], s[0:1], s14, v4, 0
	v_add3_u32 v5, v5, v7, v6
	v_add_co_u32_e32 v6, vcc, 5, v43
	v_addc_co_u32_e32 v7, vcc, 0, v59, vcc
	v_mul_lo_u32 v11, s15, v9
	v_mul_lo_u32 v8, s15, v6
	;; [unrolled: 1-line block ×3, first 2 shown]
	v_mad_u64_u32 v[6:7], s[0:1], s14, v6, 0
	v_add3_u32 v7, v7, v9, v8
	v_add_co_u32_e32 v8, vcc, 4, v43
	v_addc_co_u32_e32 v9, vcc, 0, v59, vcc
	v_add3_u32 v31, v11, v31, v10
	v_add3_u32 v47, v11, v47, v10
	v_mul_lo_u32 v10, s15, v8
	v_mul_lo_u32 v11, s14, v9
	v_mad_u64_u32 v[8:9], s[0:1], s14, v8, 0
	v_add3_u32 v9, v9, v11, v10
	v_add_co_u32_e32 v10, vcc, 3, v43
	v_mul_lo_u32 v14, s15, v12
	v_addc_co_u32_e32 v11, vcc, 0, v59, vcc
	v_add3_u32 v33, v14, v33, v13
	v_add3_u32 v49, v14, v49, v13
	v_mul_lo_u32 v12, s15, v10
	v_mul_lo_u32 v13, s14, v11
	v_mad_u64_u32 v[10:11], s[0:1], s14, v10, 0
	v_add3_u32 v11, v11, v13, v12
	v_add_co_u32_e32 v12, vcc, 2, v43
	v_addc_co_u32_e32 v13, vcc, 0, v59, vcc
	v_mul_lo_u32 v14, s15, v12
	v_mul_lo_u32 v15, s14, v13
	v_mad_u64_u32 v[12:13], s[0:1], s14, v12, 0
	v_add3_u32 v13, v13, v15, v14
	v_pk_mov_b32 v[14:15], s[14:15], s[14:15] op_sel:[0,1]
	v_lshlrev_b64 v[2:3], 1, v[2:3]
	v_mad_u64_u32 v[14:15], s[0:1], s14, v43, v[14:15]
	v_add3_u32 v15, v60, v15, v61
	v_add_co_u32_e32 v60, vcc, s16, v2
	v_addc_co_u32_e32 v43, vcc, v81, v3, vcc
	v_add_co_u32_e32 v62, vcc, s18, v2
	v_addc_co_u32_e32 v59, vcc, v16, v3, vcc
	v_lshlrev_b64 v[2:3], 1, v[4:5]
	v_add_co_u32_e32 v64, vcc, s16, v2
	v_addc_co_u32_e32 v61, vcc, v81, v3, vcc
	v_add_co_u32_e32 v66, vcc, s18, v2
	v_addc_co_u32_e32 v63, vcc, v16, v3, vcc
	v_lshlrev_b64 v[2:3], 1, v[6:7]
	;; [unrolled: 5-line block ×5, first 2 shown]
	v_add_co_u32_e32 v80, vcc, s16, v2
	v_addc_co_u32_e32 v77, vcc, v81, v3, vcc
	s_load_dword s0, s[4:5], 0x44
	v_add_co_u32_e32 v82, vcc, s18, v2
	v_addc_co_u32_e32 v79, vcc, v16, v3, vcc
	v_lshlrev_b64 v[2:3], 1, v[14:15]
	v_add_co_u32_e32 v84, vcc, s16, v2
	v_addc_co_u32_e32 v81, vcc, v81, v3, vcc
	v_and_b32_e32 v92, 0x3ff, v0
	v_add_co_u32_e32 v86, vcc, s18, v2
	v_add_u32_e32 v2, s7, v92
	s_waitcnt lgkmcnt(0)
	s_lshl_b32 s7, s0, 3
	v_mbcnt_lo_u32_b32 v4, -1, 0
	s_mul_i32 s0, s15, s7
	s_mul_hi_u32 s1, s14, s7
	v_mbcnt_hi_u32_b32 v4, -1, v4
	v_mul_lo_u32 v20, s15, v18
	v_mul_lo_u32 v23, s15, v21
	v_addc_co_u32_e32 v83, vcc, v16, v3, vcc
	s_mov_b32 s16, 0
	v_mov_b32_e32 v3, 0
	s_add_i32 s1, s1, s0
	s_mul_i32 s0, s14, s7
	v_lshlrev_b32_e32 v4, 2, v4
	v_add3_u32 v37, v20, v37, v19
	v_add3_u32 v39, v23, v39, v22
	v_add3_u32 v53, v20, v53, v19
	v_add3_u32 v55, v23, v55, v22
	s_mov_b32 s9, s16
	s_lshl_b64 s[24:25], s[0:1], 1
	s_mov_b64 s[26:27], 7
	v_and_b32_e32 v93, 0x100, v4
	s_mov_b64 s[34:35], s[30:31]
	v_mov_b32_e32 v94, 0
	v_mov_b32_e32 v85, v3
	v_lshlrev_b64 v[88:89], 1, v[2:3]
.LBB168_53:                             ; =>This Inner Loop Header: Depth=1
	s_add_u32 s0, s30, s26
	s_addc_u32 s1, 0, s27
	v_pk_mov_b32 v[4:5], s[12:13], s[12:13] op_sel:[0,1]
	v_cmp_ge_i64_e32 vcc, s[0:1], v[4:5]
	v_mov_b32_e32 v2, s31
	v_add_co_u32_e64 v90, s[0:1], s30, v26
	v_addc_co_u32_e64 v91, s[0:1], v2, v85, s[0:1]
	s_cbranch_vccz .LBB168_75
; %bb.54:                               ;   in Loop: Header=BB168_53 Depth=1
	s_load_dword s0, s[10:11], 0xc
	v_mov_b32_e32 v95, 0
	s_waitcnt lgkmcnt(0)
	s_and_b32 s0, s0, 0xffff
	v_mad_u32_u24 v2, v87, s0, v92
	v_and_b32_e32 v2, 63, v2
	v_cmp_gt_u32_e32 vcc, 8, v2
	s_and_saveexec_b64 s[0:1], vcc
	s_cbranch_execz .LBB168_58
; %bb.55:                               ;   in Loop: Header=BB168_53 Depth=1
	v_add_co_u32_e32 v4, vcc, v90, v2
	v_addc_co_u32_e32 v5, vcc, 0, v91, vcc
	v_cmp_gt_i64_e32 vcc, s[12:13], v[4:5]
	v_mov_b32_e32 v95, 0
	s_and_saveexec_b64 s[18:19], vcc
	s_cbranch_execz .LBB168_57
; %bb.56:                               ;   in Loop: Header=BB168_53 Depth=1
	v_lshlrev_b64 v[4:5], 2, v[4:5]
	v_mov_b32_e32 v2, s29
	v_add_co_u32_e32 v4, vcc, s28, v4
	v_addc_co_u32_e32 v5, vcc, v2, v5, vcc
	global_load_dword v95, v[4:5], off
.LBB168_57:                             ;   in Loop: Header=BB168_53 Depth=1
	s_or_b64 exec, exec, s[18:19]
.LBB168_58:                             ;   in Loop: Header=BB168_53 Depth=1
	s_or_b64 exec, exec, s[0:1]
	s_mov_b32 s17, s16
	s_mov_b32 s18, s16
	;; [unrolled: 1-line block ×7, first 2 shown]
	v_pk_mov_b32 v[10:11], s[16:17], s[16:17] op_sel:[0,1]
	v_pk_mov_b32 v[16:17], s[22:23], s[22:23] op_sel:[0,1]
	;; [unrolled: 1-line block ×5, first 2 shown]
	v_cmp_gt_i64_e32 vcc, s[12:13], v[90:91]
	v_pk_mov_b32 v[22:23], v[14:15], v[14:15] op_sel:[0,1]
	v_pk_mov_b32 v[20:21], v[12:13], v[12:13] op_sel:[0,1]
	;; [unrolled: 1-line block ×3, first 2 shown]
	s_and_saveexec_b64 s[0:1], vcc
	s_cbranch_execz .LBB168_60
; %bb.59:                               ;   in Loop: Header=BB168_53 Depth=1
	v_add_co_u32_e32 v4, vcc, v42, v88
	v_addc_co_u32_e32 v5, vcc, v1, v89, vcc
	global_load_ushort v2, v[4:5], off
	v_add_co_u32_e32 v4, vcc, v58, v88
	v_addc_co_u32_e32 v5, vcc, v27, v89, vcc
	global_load_ushort v10, v[4:5], off
	v_mov_b32_e32 v8, v3
	v_mov_b32_e32 v9, v3
	;; [unrolled: 1-line block ×13, first 2 shown]
	s_waitcnt vmcnt(1)
	v_cvt_f32_f16_e32 v2, v2
	v_pk_mov_b32 v[24:25], v[8:9], v[8:9] op_sel:[0,1]
	v_pk_mov_b32 v[22:23], v[6:7], v[6:7] op_sel:[0,1]
	;; [unrolled: 1-line block ×4, first 2 shown]
	s_waitcnt vmcnt(0)
	v_cvt_f32_f16_e32 v10, v10
.LBB168_60:                             ;   in Loop: Header=BB168_53 Depth=1
	s_or_b64 exec, exec, s[0:1]
	v_add_co_u32_e32 v4, vcc, 1, v90
	v_addc_co_u32_e32 v5, vcc, 0, v91, vcc
	v_cmp_gt_i64_e32 vcc, s[12:13], v[4:5]
	s_and_saveexec_b64 s[0:1], vcc
	s_cbranch_execz .LBB168_62
; %bb.61:                               ;   in Loop: Header=BB168_53 Depth=1
	v_add_co_u32_e32 v4, vcc, v84, v88
	v_addc_co_u32_e32 v5, vcc, v81, v89, vcc
	global_load_ushort v2, v[4:5], off
	v_add_co_u32_e32 v4, vcc, v86, v88
	v_addc_co_u32_e32 v5, vcc, v83, v89, vcc
	global_load_ushort v4, v[4:5], off
	s_waitcnt vmcnt(1)
	v_cvt_f32_f16_e32 v19, v2
	s_waitcnt vmcnt(0)
	v_cvt_f32_f16_e32 v11, v4
.LBB168_62:                             ;   in Loop: Header=BB168_53 Depth=1
	s_or_b64 exec, exec, s[0:1]
	v_add_co_u32_e32 v4, vcc, 2, v90
	v_addc_co_u32_e32 v5, vcc, 0, v91, vcc
	v_cmp_gt_i64_e32 vcc, s[12:13], v[4:5]
	s_and_saveexec_b64 s[0:1], vcc
	s_cbranch_execz .LBB168_64
; %bb.63:                               ;   in Loop: Header=BB168_53 Depth=1
	v_add_co_u32_e32 v4, vcc, v80, v88
	v_addc_co_u32_e32 v5, vcc, v77, v89, vcc
	global_load_ushort v2, v[4:5], off
	v_add_co_u32_e32 v4, vcc, v82, v88
	v_addc_co_u32_e32 v5, vcc, v79, v89, vcc
	global_load_ushort v4, v[4:5], off
	s_waitcnt vmcnt(1)
	v_cvt_f32_f16_e32 v20, v2
	s_waitcnt vmcnt(0)
	v_cvt_f32_f16_e32 v12, v4
.LBB168_64:                             ;   in Loop: Header=BB168_53 Depth=1
	;; [unrolled: 18-line block ×7, first 2 shown]
	s_or_b64 exec, exec, s[0:1]
	s_waitcnt vmcnt(0)
	ds_bpermute_b32 v4, v93, v95
	ds_bpermute_b32 v5, v93, v95 offset:4
	v_pk_mul_f32 v[8:9], v[14:15], v[22:23]
	ds_bpermute_b32 v14, v93, v95 offset:8
	ds_bpermute_b32 v15, v93, v95 offset:12
	v_pk_mul_f32 v[10:11], v[10:11], v[18:19]
	s_waitcnt lgkmcnt(2)
	v_pk_mul_f32 v[4:5], v[10:11], v[4:5]
	ds_bpermute_b32 v10, v93, v95 offset:16
	ds_bpermute_b32 v11, v93, v95 offset:20
	v_pk_mul_f32 v[12:13], v[12:13], v[20:21]
	v_add_f32_e32 v2, v94, v4
	v_add_f32_e32 v2, v2, v5
	s_waitcnt lgkmcnt(2)
	v_pk_mul_f32 v[4:5], v[12:13], v[14:15]
	ds_bpermute_b32 v12, v93, v95 offset:24
	ds_bpermute_b32 v13, v93, v95 offset:28
	v_add_f32_e32 v2, v2, v4
	v_add_f32_e32 v2, v2, v5
	s_waitcnt lgkmcnt(2)
	v_pk_mul_f32 v[4:5], v[8:9], v[10:11]
	v_pk_mul_f32 v[6:7], v[16:17], v[24:25]
	v_add_f32_e32 v2, v2, v4
	v_add_f32_e32 v2, v2, v5
	s_waitcnt lgkmcnt(0)
	v_pk_mul_f32 v[4:5], v[6:7], v[12:13]
	v_add_f32_e32 v2, v2, v4
	v_add_f32_e32 v4, v2, v5
	s_branch .LBB168_81
.LBB168_75:                             ;   in Loop: Header=BB168_53 Depth=1
                                        ; implicit-def: $vgpr4
	s_cbranch_execz .LBB168_81
; %bb.76:                               ;   in Loop: Header=BB168_53 Depth=1
	s_load_dword s0, s[10:11], 0x0
	s_waitcnt lgkmcnt(0)
	s_cmp_lt_u32 s6, s0
	s_cselect_b32 s0, 12, 18
	s_add_u32 s0, s10, s0
	s_addc_u32 s1, s11, 0
	global_load_ushort v2, v3, s[0:1]
	s_waitcnt vmcnt(0)
	v_mad_u32_u24 v2, v87, v2, v92
	v_and_b32_e32 v4, 63, v2
	v_cmp_gt_u32_e32 vcc, 8, v4
	v_mov_b32_e32 v2, 0
	s_and_saveexec_b64 s[0:1], vcc
	s_cbranch_execz .LBB168_80
; %bb.77:                               ;   in Loop: Header=BB168_53 Depth=1
	v_add_co_u32_e32 v4, vcc, v90, v4
	v_addc_co_u32_e32 v5, vcc, 0, v91, vcc
	v_cmp_gt_i64_e32 vcc, s[12:13], v[4:5]
	v_mov_b32_e32 v2, 0
	s_and_saveexec_b64 s[18:19], vcc
	s_cbranch_execz .LBB168_79
; %bb.78:                               ;   in Loop: Header=BB168_53 Depth=1
	v_lshlrev_b64 v[4:5], 2, v[4:5]
	v_mov_b32_e32 v2, s29
	v_add_co_u32_e32 v4, vcc, s28, v4
	v_addc_co_u32_e32 v5, vcc, v2, v5, vcc
	global_load_dword v2, v[4:5], off
.LBB168_79:                             ;   in Loop: Header=BB168_53 Depth=1
	s_or_b64 exec, exec, s[18:19]
.LBB168_80:                             ;   in Loop: Header=BB168_53 Depth=1
	s_or_b64 exec, exec, s[0:1]
	v_add_co_u32_e32 v4, vcc, v42, v88
	v_addc_co_u32_e32 v5, vcc, v1, v89, vcc
	global_load_ushort v6, v[4:5], off
	v_add_co_u32_e32 v4, vcc, v58, v88
	v_addc_co_u32_e32 v5, vcc, v27, v89, vcc
	global_load_ushort v7, v[4:5], off
	;; [unrolled: 3-line block ×16, first 2 shown]
	s_waitcnt vmcnt(16)
	ds_bpermute_b32 v21, v93, v2 offset:4
	s_waitcnt vmcnt(15)
	v_cvt_f32_f16_e32 v5, v6
	s_waitcnt vmcnt(14)
	v_cvt_f32_f16_e32 v6, v7
	v_mul_f32_e32 v5, v5, v6
	s_waitcnt vmcnt(13)
	v_cvt_f32_f16_e32 v7, v8
	s_waitcnt vmcnt(12)
	v_cvt_f32_f16_e32 v8, v9
	v_mul_f32_e32 v6, v7, v8
	;; [unrolled: 5-line block ×3, first 2 shown]
	s_waitcnt vmcnt(9)
	v_cvt_f32_f16_e32 v11, v12
	s_waitcnt vmcnt(8)
	v_cvt_f32_f16_e32 v12, v13
	;; [unrolled: 2-line block ×8, first 2 shown]
	ds_bpermute_b32 v19, v93, v2
	s_waitcnt vmcnt(1)
	v_cvt_f32_f16_e32 v20, v20
	s_waitcnt lgkmcnt(0)
	v_fmac_f32_e32 v94, v5, v19
	ds_bpermute_b32 v5, v93, v2 offset:8
	v_fmac_f32_e32 v94, v6, v21
	ds_bpermute_b32 v6, v93, v2 offset:12
	s_waitcnt vmcnt(0)
	v_cvt_f32_f16_e32 v4, v4
	s_waitcnt lgkmcnt(1)
	v_fmac_f32_e32 v94, v7, v5
	ds_bpermute_b32 v5, v93, v2 offset:16
	v_mul_f32_e32 v7, v11, v12
	s_waitcnt lgkmcnt(1)
	v_fmac_f32_e32 v94, v7, v6
	v_mul_f32_e32 v6, v13, v14
	ds_bpermute_b32 v7, v93, v2 offset:20
	s_waitcnt lgkmcnt(1)
	v_fmac_f32_e32 v94, v6, v5
	ds_bpermute_b32 v5, v93, v2 offset:24
	ds_bpermute_b32 v2, v93, v2 offset:28
	v_mul_f32_e32 v6, v15, v16
	s_waitcnt lgkmcnt(2)
	v_fmac_f32_e32 v94, v6, v7
	v_mul_f32_e32 v6, v17, v18
	s_waitcnt lgkmcnt(1)
	v_fmac_f32_e32 v94, v6, v5
	;; [unrolled: 3-line block ×3, first 2 shown]
	v_mov_b32_e32 v4, v94
.LBB168_81:                             ;   in Loop: Header=BB168_53 Depth=1
	v_mov_b32_e32 v2, s9
	v_add_co_u32_e64 v26, s[0:1], s7, v26
	v_addc_co_u32_e64 v85, s[0:1], v85, v2, s[0:1]
	v_mov_b32_e32 v2, s25
	v_add_co_u32_e64 v28, s[0:1], s24, v28
	v_addc_co_u32_e64 v29, s[0:1], v29, v2, s[0:1]
	v_add_co_u32_e64 v30, s[0:1], s24, v30
	v_addc_co_u32_e64 v31, s[0:1], v31, v2, s[0:1]
	;; [unrolled: 2-line block ×28, first 2 shown]
	s_add_u32 s34, s34, s7
	v_add_co_u32_e64 v84, s[0:1], s24, v84
	s_addc_u32 s35, s35, 0
	v_pk_mov_b32 v[6:7], s[12:13], s[12:13] op_sel:[0,1]
	v_addc_co_u32_e64 v81, s[0:1], v81, v2, s[0:1]
	v_cmp_ge_i64_e32 vcc, s[34:35], v[6:7]
	v_add_co_u32_e64 v86, s[0:1], s24, v86
	s_add_u32 s26, s26, s7
	v_addc_co_u32_e64 v83, s[0:1], v83, v2, s[0:1]
	s_addc_u32 s27, s27, 0
	s_cbranch_vccnz .LBB168_83
; %bb.82:                               ;   in Loop: Header=BB168_53 Depth=1
	v_mov_b32_e32 v94, v4
	s_branch .LBB168_53
.LBB168_83:
	s_mov_b32 s7, 0
	s_lshl_b64 s[0:1], s[6:7], 6
	v_and_b32_e32 v1, 0x3ff, v0
	v_or_b32_e32 v2, s0, v1
	v_mov_b32_e32 v3, s1
	s_waitcnt lgkmcnt(0)
	s_cmp_lg_u64 s[2:3], 0
	v_cmp_gt_i64_e32 vcc, s[14:15], v[2:3]
	s_cselect_b64 s[0:1], -1, 0
	s_and_b64 s[0:1], vcc, s[0:1]
	s_and_saveexec_b64 s[6:7], s[0:1]
	s_cbranch_execz .LBB168_85
; %bb.84:
	s_load_dword s0, s[4:5], 0x4c
	v_bfe_u32 v0, v0, 10, 10
	v_mov_b32_e32 v1, 0
	v_mov_b32_e32 v5, s8
	v_cvt_f16_f32_e32 v4, v4
	s_waitcnt lgkmcnt(0)
	s_lshr_b32 s0, s0, 16
	v_mad_u64_u32 v[0:1], s[0:1], s0, v5, v[0:1]
	v_mul_lo_u32 v5, v1, s14
	v_mul_lo_u32 v6, v0, s15
	v_mad_u64_u32 v[0:1], s[0:1], v0, s14, 0
	v_add3_u32 v1, v1, v6, v5
	v_lshlrev_b64 v[0:1], 1, v[0:1]
	v_mov_b32_e32 v5, s3
	v_add_co_u32_e32 v6, vcc, s2, v0
	v_addc_co_u32_e32 v5, vcc, v5, v1, vcc
	v_lshlrev_b64 v[0:1], 1, v[2:3]
	v_add_co_u32_e32 v0, vcc, v6, v0
	v_addc_co_u32_e32 v1, vcc, v5, v1, vcc
	global_store_short v[0:1], v4, off
.LBB168_85:
	s_endpgm
	.section	.rodata,"a",@progbits
	.p2align	6, 0x0
	.amdhsa_kernel _ZN2at6native12_GLOBAL__N_135GammaBetaBackwardCUDAKernelTemplateIN3c104HalfEfLj64ELj1ELj8ELb1ELb0ELb1EEEvllPKT_S7_PKT0_SA_PS5_SB_
		.amdhsa_group_segment_fixed_size 0
		.amdhsa_private_segment_fixed_size 0
		.amdhsa_kernarg_size 320
		.amdhsa_user_sgpr_count 6
		.amdhsa_user_sgpr_private_segment_buffer 1
		.amdhsa_user_sgpr_dispatch_ptr 0
		.amdhsa_user_sgpr_queue_ptr 0
		.amdhsa_user_sgpr_kernarg_segment_ptr 1
		.amdhsa_user_sgpr_dispatch_id 0
		.amdhsa_user_sgpr_flat_scratch_init 0
		.amdhsa_user_sgpr_kernarg_preload_length 0
		.amdhsa_user_sgpr_kernarg_preload_offset 0
		.amdhsa_user_sgpr_private_segment_size 0
		.amdhsa_uses_dynamic_stack 0
		.amdhsa_system_sgpr_private_segment_wavefront_offset 0
		.amdhsa_system_sgpr_workgroup_id_x 1
		.amdhsa_system_sgpr_workgroup_id_y 1
		.amdhsa_system_sgpr_workgroup_id_z 0
		.amdhsa_system_sgpr_workgroup_info 0
		.amdhsa_system_vgpr_workitem_id 1
		.amdhsa_next_free_vgpr 96
		.amdhsa_next_free_sgpr 44
		.amdhsa_accum_offset 96
		.amdhsa_reserve_vcc 1
		.amdhsa_reserve_flat_scratch 0
		.amdhsa_float_round_mode_32 0
		.amdhsa_float_round_mode_16_64 0
		.amdhsa_float_denorm_mode_32 3
		.amdhsa_float_denorm_mode_16_64 3
		.amdhsa_dx10_clamp 1
		.amdhsa_ieee_mode 1
		.amdhsa_fp16_overflow 0
		.amdhsa_tg_split 0
		.amdhsa_exception_fp_ieee_invalid_op 0
		.amdhsa_exception_fp_denorm_src 0
		.amdhsa_exception_fp_ieee_div_zero 0
		.amdhsa_exception_fp_ieee_overflow 0
		.amdhsa_exception_fp_ieee_underflow 0
		.amdhsa_exception_fp_ieee_inexact 0
		.amdhsa_exception_int_div_zero 0
	.end_amdhsa_kernel
	.section	.text._ZN2at6native12_GLOBAL__N_135GammaBetaBackwardCUDAKernelTemplateIN3c104HalfEfLj64ELj1ELj8ELb1ELb0ELb1EEEvllPKT_S7_PKT0_SA_PS5_SB_,"axG",@progbits,_ZN2at6native12_GLOBAL__N_135GammaBetaBackwardCUDAKernelTemplateIN3c104HalfEfLj64ELj1ELj8ELb1ELb0ELb1EEEvllPKT_S7_PKT0_SA_PS5_SB_,comdat
.Lfunc_end168:
	.size	_ZN2at6native12_GLOBAL__N_135GammaBetaBackwardCUDAKernelTemplateIN3c104HalfEfLj64ELj1ELj8ELb1ELb0ELb1EEEvllPKT_S7_PKT0_SA_PS5_SB_, .Lfunc_end168-_ZN2at6native12_GLOBAL__N_135GammaBetaBackwardCUDAKernelTemplateIN3c104HalfEfLj64ELj1ELj8ELb1ELb0ELb1EEEvllPKT_S7_PKT0_SA_PS5_SB_
                                        ; -- End function
	.section	.AMDGPU.csdata,"",@progbits
; Kernel info:
; codeLenInByte = 6732
; NumSgprs: 48
; NumVgprs: 96
; NumAgprs: 0
; TotalNumVgprs: 96
; ScratchSize: 0
; MemoryBound: 0
; FloatMode: 240
; IeeeMode: 1
; LDSByteSize: 0 bytes/workgroup (compile time only)
; SGPRBlocks: 5
; VGPRBlocks: 11
; NumSGPRsForWavesPerEU: 48
; NumVGPRsForWavesPerEU: 96
; AccumOffset: 96
; Occupancy: 5
; WaveLimiterHint : 0
; COMPUTE_PGM_RSRC2:SCRATCH_EN: 0
; COMPUTE_PGM_RSRC2:USER_SGPR: 6
; COMPUTE_PGM_RSRC2:TRAP_HANDLER: 0
; COMPUTE_PGM_RSRC2:TGID_X_EN: 1
; COMPUTE_PGM_RSRC2:TGID_Y_EN: 1
; COMPUTE_PGM_RSRC2:TGID_Z_EN: 0
; COMPUTE_PGM_RSRC2:TIDIG_COMP_CNT: 1
; COMPUTE_PGM_RSRC3_GFX90A:ACCUM_OFFSET: 23
; COMPUTE_PGM_RSRC3_GFX90A:TG_SPLIT: 0
	.section	.text._ZN2at6native12_GLOBAL__N_135GammaBetaBackwardCUDAKernelTemplateIN3c104HalfEfLj64ELj8ELj64ELb0ELb1ELb1EEEvllPKT_S7_PKT0_SA_PS5_SB_,"axG",@progbits,_ZN2at6native12_GLOBAL__N_135GammaBetaBackwardCUDAKernelTemplateIN3c104HalfEfLj64ELj8ELj64ELb0ELb1ELb1EEEvllPKT_S7_PKT0_SA_PS5_SB_,comdat
	.globl	_ZN2at6native12_GLOBAL__N_135GammaBetaBackwardCUDAKernelTemplateIN3c104HalfEfLj64ELj8ELj64ELb0ELb1ELb1EEEvllPKT_S7_PKT0_SA_PS5_SB_ ; -- Begin function _ZN2at6native12_GLOBAL__N_135GammaBetaBackwardCUDAKernelTemplateIN3c104HalfEfLj64ELj8ELj64ELb0ELb1ELb1EEEvllPKT_S7_PKT0_SA_PS5_SB_
	.p2align	8
	.type	_ZN2at6native12_GLOBAL__N_135GammaBetaBackwardCUDAKernelTemplateIN3c104HalfEfLj64ELj8ELj64ELb0ELb1ELb1EEEvllPKT_S7_PKT0_SA_PS5_SB_,@function
_ZN2at6native12_GLOBAL__N_135GammaBetaBackwardCUDAKernelTemplateIN3c104HalfEfLj64ELj8ELj64ELb0ELb1ELb1EEEvllPKT_S7_PKT0_SA_PS5_SB_: ; @_ZN2at6native12_GLOBAL__N_135GammaBetaBackwardCUDAKernelTemplateIN3c104HalfEfLj64ELj8ELj64ELb0ELb1ELb1EEEvllPKT_S7_PKT0_SA_PS5_SB_
; %bb.0:
	s_load_dwordx4 s[8:11], s[4:5], 0x0
	s_lshl_b32 s16, s7, 6
	s_mov_b32 s17, 0
	v_bfe_u32 v11, v0, 10, 10
	s_waitcnt lgkmcnt(0)
	v_pk_mov_b32 v[2:3], s[8:9], s[8:9] op_sel:[0,1]
	v_cmp_lt_i64_e32 vcc, s[16:17], v[2:3]
	s_cbranch_vccnz .LBB169_2
; %bb.1:
	s_mov_b64 s[0:1], 0
	v_bfe_u32 v4, v0, 10, 10
	s_branch .LBB169_3
.LBB169_2:
	s_mov_b64 s[0:1], -1
                                        ; implicit-def: $vgpr4
.LBB169_3:
	s_load_dwordx2 s[2:3], s[4:5], 0x30
	v_and_b32_e32 v6, 0x3ff, v0
	s_andn2_b64 vcc, exec, s[0:1]
	v_mov_b32_e32 v1, s17
	v_mbcnt_lo_u32_b32 v10, -1, 0
	s_cbranch_vccnz .LBB169_11
; %bb.4:
	s_load_dword s0, s[4:5], 0x4c
	s_load_dword s7, s[4:5], 0x44
	s_load_dwordx4 s[12:15], s[4:5], 0x10
	s_load_dwordx2 s[18:19], s[4:5], 0x28
	v_mbcnt_hi_u32_b32 v4, -1, v10
	v_lshlrev_b32_e32 v2, 3, v11
	s_waitcnt lgkmcnt(0)
	s_and_b32 s0, s0, 0xffff
	v_lshlrev_b32_e32 v4, 2, v4
	v_mad_u32_u24 v0, v11, s0, v6
	v_and_b32_e32 v12, 0x100, v4
	v_mov_b32_e32 v4, s17
	v_add_co_u32_e32 v7, vcc, s16, v2
	v_and_b32_e32 v3, 63, v0
	v_addc_co_u32_e32 v8, vcc, 0, v4, vcc
	v_add_co_u32_e32 v2, vcc, v7, v3
	v_cmp_gt_u32_e64 s[0:1], 8, v3
	v_addc_co_u32_e32 v3, vcc, 0, v8, vcc
	v_lshlrev_b64 v[4:5], 2, v[2:3]
	v_mov_b32_e32 v9, s19
	v_add_co_u32_e32 v4, vcc, s18, v4
	s_lshl_b32 s4, s7, 6
	v_addc_co_u32_e32 v5, vcc, v9, v5, vcc
	v_mul_lo_u32 v20, s11, v7
	v_mul_lo_u32 v21, s10, v8
	v_mad_u64_u32 v[8:9], s[20:21], s10, v7, 0
	v_mov_b32_e32 v1, 0
	v_lshl_add_u32 v0, s6, 6, v6
	v_add3_u32 v9, v9, v21, v20
	s_mul_i32 s7, s11, s4
	s_mul_hi_u32 s20, s10, s4
	s_mov_b32 s5, 0
	v_lshlrev_b64 v[8:9], 1, v[8:9]
	v_lshlrev_b64 v[20:21], 1, v[0:1]
	s_add_i32 s21, s20, s7
	s_mul_i32 s20, s10, s4
	s_lshl_b64 s[18:19], s[4:5], 2
	v_add_co_u32_e32 v0, vcc, v8, v20
	s_lshl_b64 s[20:21], s[20:21], 1
	s_lshl_b64 s[10:11], s[10:11], 1
	v_or_b32_e32 v13, 4, v12
	v_or_b32_e32 v14, 8, v12
	v_or_b32_e32 v15, 12, v12
	v_or_b32_e32 v16, 16, v12
	v_or_b32_e32 v17, 20, v12
	v_or_b32_e32 v18, 24, v12
	v_or_b32_e32 v19, 28, v12
	v_addc_co_u32_e32 v7, vcc, v9, v21, vcc
	v_mov_b32_e32 v20, s13
	v_mov_b32_e32 v21, s15
	v_mov_b32_e32 v22, s11
	v_mov_b32_e32 v23, s19
	v_mov_b32_e32 v24, s5
	v_mov_b32_e32 v25, s21
	v_pk_mov_b32 v[8:9], s[8:9], s[8:9] op_sel:[0,1]
	s_branch .LBB169_7
.LBB169_5:                              ;   in Loop: Header=BB169_7 Depth=1
	s_or_b64 exec, exec, s[24:25]
.LBB169_6:                              ;   in Loop: Header=BB169_7 Depth=1
	s_or_b64 exec, exec, s[22:23]
	v_add_co_u32_e32 v28, vcc, s12, v0
	v_addc_co_u32_e32 v29, vcc, v20, v7, vcc
	v_add_co_u32_e32 v30, vcc, s14, v0
	v_addc_co_u32_e32 v31, vcc, v21, v7, vcc
	global_load_ushort v27, v[28:29], off
	v_add_co_u32_e32 v28, vcc, s10, v28
	v_addc_co_u32_e32 v29, vcc, v29, v22, vcc
	global_load_ushort v32, v[30:31], off
	;; [unrolled: 3-line block ×11, first 2 shown]
	global_load_ushort v42, v[30:31], off
	v_add_co_u32_e32 v28, vcc, s10, v28
	v_addc_co_u32_e32 v29, vcc, v29, v22, vcc
	v_add_co_u32_e32 v30, vcc, s10, v30
	v_addc_co_u32_e32 v31, vcc, v31, v22, vcc
	global_load_ushort v44, v[30:31], off
	global_load_ushort v43, v[28:29], off
	v_add_co_u32_e32 v28, vcc, s10, v28
	v_addc_co_u32_e32 v29, vcc, v29, v22, vcc
	global_load_ushort v45, v[28:29], off
	v_add_co_u32_e32 v28, vcc, s10, v30
	v_addc_co_u32_e32 v29, vcc, v31, v22, vcc
	;; [unrolled: 3-line block ×3, first 2 shown]
	v_add_co_u32_e32 v2, vcc, s4, v2
	v_addc_co_u32_e32 v3, vcc, v3, v24, vcc
	s_waitcnt vmcnt(15)
	v_cvt_f32_f16_e32 v27, v27
	s_add_u32 s16, s16, s4
	v_add_co_u32_e32 v0, vcc, s20, v0
	s_addc_u32 s17, s17, 0
	s_waitcnt vmcnt(14)
	v_cvt_f32_f16_e32 v29, v32
	v_addc_co_u32_e32 v7, vcc, v7, v25, vcc
	v_cmp_lt_i64_e32 vcc, s[16:17], v[8:9]
	v_mul_f32_e32 v27, v27, v29
	s_waitcnt vmcnt(13)
	v_cvt_f32_f16_e32 v30, v33
	s_and_b64 vcc, exec, vcc
	s_waitcnt vmcnt(12)
	v_cvt_f32_f16_e32 v31, v34
	v_mul_f32_e32 v29, v30, v31
	s_waitcnt vmcnt(11)
	v_cvt_f32_f16_e32 v32, v35
	s_waitcnt vmcnt(10)
	v_cvt_f32_f16_e32 v33, v36
	v_mul_f32_e32 v30, v32, v33
	s_waitcnt vmcnt(9)
	v_cvt_f32_f16_e32 v34, v37
	s_waitcnt vmcnt(8)
	v_cvt_f32_f16_e32 v35, v38
	s_waitcnt vmcnt(7)
	v_cvt_f32_f16_e32 v36, v39
	s_waitcnt vmcnt(6)
	v_cvt_f32_f16_e32 v37, v40
	s_waitcnt vmcnt(5)
	v_cvt_f32_f16_e32 v38, v41
	s_waitcnt vmcnt(4)
	v_cvt_f32_f16_e32 v39, v42
	ds_bpermute_b32 v42, v12, v26
	s_waitcnt lgkmcnt(0)
	v_fmac_f32_e32 v1, v27, v42
	ds_bpermute_b32 v27, v14, v26
	s_waitcnt vmcnt(3)
	v_cvt_f32_f16_e32 v41, v44
	ds_bpermute_b32 v44, v13, v26
	s_waitcnt vmcnt(2)
	v_cvt_f32_f16_e32 v40, v43
	s_waitcnt lgkmcnt(0)
	v_fmac_f32_e32 v1, v29, v44
	ds_bpermute_b32 v29, v15, v26
	v_fmac_f32_e32 v1, v30, v27
	ds_bpermute_b32 v27, v16, v26
	v_mul_f32_e32 v30, v34, v35
	s_waitcnt vmcnt(1)
	v_cvt_f32_f16_e32 v43, v45
	s_waitcnt lgkmcnt(1)
	v_fmac_f32_e32 v1, v30, v29
	v_mul_f32_e32 v29, v36, v37
	ds_bpermute_b32 v30, v17, v26
	s_waitcnt lgkmcnt(1)
	v_fmac_f32_e32 v1, v29, v27
	ds_bpermute_b32 v27, v18, v26
	s_waitcnt vmcnt(0)
	v_cvt_f32_f16_e32 v28, v28
	ds_bpermute_b32 v26, v19, v26
	v_mul_f32_e32 v29, v38, v39
	s_waitcnt lgkmcnt(2)
	v_fmac_f32_e32 v1, v29, v30
	v_mul_f32_e32 v29, v40, v41
	s_waitcnt lgkmcnt(1)
	v_fmac_f32_e32 v1, v29, v27
	;; [unrolled: 3-line block ×3, first 2 shown]
	s_cbranch_vccz .LBB169_10
.LBB169_7:                              ; =>This Inner Loop Header: Depth=1
	v_mov_b32_e32 v26, 0
	s_and_saveexec_b64 s[22:23], s[0:1]
	s_cbranch_execz .LBB169_6
; %bb.8:                                ;   in Loop: Header=BB169_7 Depth=1
	v_cmp_gt_i64_e32 vcc, s[8:9], v[2:3]
	v_mov_b32_e32 v26, 0
	s_and_saveexec_b64 s[24:25], vcc
	s_cbranch_execz .LBB169_5
; %bb.9:                                ;   in Loop: Header=BB169_7 Depth=1
	global_load_dword v26, v[4:5], off
	s_branch .LBB169_5
.LBB169_10:
	v_mov_b32_e32 v4, v11
.LBB169_11:
	s_movk_i32 s0, 0x41
	v_mad_u32_u24 v0, v4, s0, v6
	v_lshl_add_u32 v0, v0, 2, 0
	ds_write_b32 v0, v1
	v_mov_b32_e32 v1, 0
	ds_write_b32 v0, v1 offset:2080
	v_lshrrev_b32_e32 v0, 6, v6
	v_add_u32_e32 v1, v0, v4
	s_mov_b32 s7, 0
	v_cmp_gt_u32_e32 vcc, 64, v1
	s_waitcnt lgkmcnt(0)
	s_barrier
	s_and_saveexec_b64 s[0:1], vcc
	s_cbranch_execz .LBB169_18
; %bb.12:
	v_mbcnt_hi_u32_b32 v5, -1, v10
	v_and_b32_e32 v2, 63, v6
	v_and_b32_e32 v3, 64, v5
	s_cmp_lg_u64 s[2:3], 0
	v_cmp_gt_u32_e32 vcc, 8, v2
	v_add_u32_e32 v7, 64, v3
	v_cmp_eq_u32_e64 s[0:1], 0, v6
	s_cselect_b64 s[8:9], -1, 0
	v_mul_u32_u24_e32 v6, 0x104, v2
	v_xor_b32_e32 v2, 4, v5
	s_and_b64 s[8:9], s[0:1], s[8:9]
	v_cmp_lt_i32_e64 s[0:1], v2, v7
	v_xor_b32_e32 v3, 2, v5
	v_cndmask_b32_e64 v2, v5, v2, s[0:1]
	v_cmp_lt_i32_e64 s[0:1], v3, v7
	v_xor_b32_e32 v8, 1, v5
	v_cndmask_b32_e64 v3, v5, v3, s[0:1]
	v_cmp_lt_i32_e64 s[0:1], v8, v7
	v_cndmask_b32_e64 v5, v5, v8, s[0:1]
	v_lshlrev_b32_e32 v7, 2, v1
	v_add_co_u32_e64 v0, s[0:1], v0, v4
	s_lshl_b64 s[6:7], s[6:7], 7
	v_add3_u32 v6, v6, v7, 0
	v_add_u32_e32 v7, -8, v1
	v_addc_co_u32_e64 v1, s[0:1], 0, 0, s[0:1]
	s_add_u32 s0, s2, s6
	v_lshlrev_b64 v[0:1], 1, v[0:1]
	s_addc_u32 s1, s3, s7
	v_mov_b32_e32 v4, s1
	v_add_co_u32_e64 v0, s[0:1], s0, v0
	s_mov_b64 s[4:5], 0
	v_lshlrev_b32_e32 v2, 2, v2
	v_lshlrev_b32_e32 v3, 2, v3
	;; [unrolled: 1-line block ×3, first 2 shown]
	v_addc_co_u32_e64 v1, s[0:1], v4, v1, s[0:1]
                                        ; implicit-def: $vgpr4
	s_branch .LBB169_14
.LBB169_13:                             ;   in Loop: Header=BB169_14 Depth=1
	s_or_b64 exec, exec, s[0:1]
	v_add_u32_e32 v7, 8, v7
	v_cmp_lt_u32_e64 s[0:1], 55, v7
	s_or_b64 s[4:5], s[0:1], s[4:5]
	v_add_co_u32_e64 v0, s[0:1], 16, v0
	v_add_u32_e32 v6, 32, v6
	v_addc_co_u32_e64 v1, s[0:1], 0, v1, s[0:1]
	s_andn2_b64 exec, exec, s[4:5]
	s_cbranch_execz .LBB169_18
.LBB169_14:                             ; =>This Inner Loop Header: Depth=1
	s_and_saveexec_b64 s[0:1], vcc
	s_cbranch_execz .LBB169_16
; %bb.15:                               ;   in Loop: Header=BB169_14 Depth=1
	ds_read_b32 v4, v6
.LBB169_16:                             ;   in Loop: Header=BB169_14 Depth=1
	s_or_b64 exec, exec, s[0:1]
	s_waitcnt lgkmcnt(0)
	ds_bpermute_b32 v8, v2, v4
	s_waitcnt lgkmcnt(0)
	v_add_f32_e32 v4, v4, v8
	ds_bpermute_b32 v8, v3, v4
	s_waitcnt lgkmcnt(0)
	v_add_f32_e32 v4, v4, v8
	;; [unrolled: 3-line block ×3, first 2 shown]
	s_and_saveexec_b64 s[0:1], s[8:9]
	s_cbranch_execz .LBB169_13
; %bb.17:                               ;   in Loop: Header=BB169_14 Depth=1
	v_cvt_f16_f32_e32 v8, v4
	global_store_short v[0:1], v8, off
	s_branch .LBB169_13
.LBB169_18:
	s_endpgm
	.section	.rodata,"a",@progbits
	.p2align	6, 0x0
	.amdhsa_kernel _ZN2at6native12_GLOBAL__N_135GammaBetaBackwardCUDAKernelTemplateIN3c104HalfEfLj64ELj8ELj64ELb0ELb1ELb1EEEvllPKT_S7_PKT0_SA_PS5_SB_
		.amdhsa_group_segment_fixed_size 0
		.amdhsa_private_segment_fixed_size 0
		.amdhsa_kernarg_size 320
		.amdhsa_user_sgpr_count 6
		.amdhsa_user_sgpr_private_segment_buffer 1
		.amdhsa_user_sgpr_dispatch_ptr 0
		.amdhsa_user_sgpr_queue_ptr 0
		.amdhsa_user_sgpr_kernarg_segment_ptr 1
		.amdhsa_user_sgpr_dispatch_id 0
		.amdhsa_user_sgpr_flat_scratch_init 0
		.amdhsa_user_sgpr_kernarg_preload_length 0
		.amdhsa_user_sgpr_kernarg_preload_offset 0
		.amdhsa_user_sgpr_private_segment_size 0
		.amdhsa_uses_dynamic_stack 0
		.amdhsa_system_sgpr_private_segment_wavefront_offset 0
		.amdhsa_system_sgpr_workgroup_id_x 1
		.amdhsa_system_sgpr_workgroup_id_y 1
		.amdhsa_system_sgpr_workgroup_id_z 0
		.amdhsa_system_sgpr_workgroup_info 0
		.amdhsa_system_vgpr_workitem_id 1
		.amdhsa_next_free_vgpr 46
		.amdhsa_next_free_sgpr 26
		.amdhsa_accum_offset 48
		.amdhsa_reserve_vcc 1
		.amdhsa_reserve_flat_scratch 0
		.amdhsa_float_round_mode_32 0
		.amdhsa_float_round_mode_16_64 0
		.amdhsa_float_denorm_mode_32 3
		.amdhsa_float_denorm_mode_16_64 3
		.amdhsa_dx10_clamp 1
		.amdhsa_ieee_mode 1
		.amdhsa_fp16_overflow 0
		.amdhsa_tg_split 0
		.amdhsa_exception_fp_ieee_invalid_op 0
		.amdhsa_exception_fp_denorm_src 0
		.amdhsa_exception_fp_ieee_div_zero 0
		.amdhsa_exception_fp_ieee_overflow 0
		.amdhsa_exception_fp_ieee_underflow 0
		.amdhsa_exception_fp_ieee_inexact 0
		.amdhsa_exception_int_div_zero 0
	.end_amdhsa_kernel
	.section	.text._ZN2at6native12_GLOBAL__N_135GammaBetaBackwardCUDAKernelTemplateIN3c104HalfEfLj64ELj8ELj64ELb0ELb1ELb1EEEvllPKT_S7_PKT0_SA_PS5_SB_,"axG",@progbits,_ZN2at6native12_GLOBAL__N_135GammaBetaBackwardCUDAKernelTemplateIN3c104HalfEfLj64ELj8ELj64ELb0ELb1ELb1EEEvllPKT_S7_PKT0_SA_PS5_SB_,comdat
.Lfunc_end169:
	.size	_ZN2at6native12_GLOBAL__N_135GammaBetaBackwardCUDAKernelTemplateIN3c104HalfEfLj64ELj8ELj64ELb0ELb1ELb1EEEvllPKT_S7_PKT0_SA_PS5_SB_, .Lfunc_end169-_ZN2at6native12_GLOBAL__N_135GammaBetaBackwardCUDAKernelTemplateIN3c104HalfEfLj64ELj8ELj64ELb0ELb1ELb1EEEvllPKT_S7_PKT0_SA_PS5_SB_
                                        ; -- End function
	.section	.AMDGPU.csdata,"",@progbits
; Kernel info:
; codeLenInByte = 1456
; NumSgprs: 30
; NumVgprs: 46
; NumAgprs: 0
; TotalNumVgprs: 46
; ScratchSize: 0
; MemoryBound: 0
; FloatMode: 240
; IeeeMode: 1
; LDSByteSize: 0 bytes/workgroup (compile time only)
; SGPRBlocks: 3
; VGPRBlocks: 5
; NumSGPRsForWavesPerEU: 30
; NumVGPRsForWavesPerEU: 46
; AccumOffset: 48
; Occupancy: 8
; WaveLimiterHint : 0
; COMPUTE_PGM_RSRC2:SCRATCH_EN: 0
; COMPUTE_PGM_RSRC2:USER_SGPR: 6
; COMPUTE_PGM_RSRC2:TRAP_HANDLER: 0
; COMPUTE_PGM_RSRC2:TGID_X_EN: 1
; COMPUTE_PGM_RSRC2:TGID_Y_EN: 1
; COMPUTE_PGM_RSRC2:TGID_Z_EN: 0
; COMPUTE_PGM_RSRC2:TIDIG_COMP_CNT: 1
; COMPUTE_PGM_RSRC3_GFX90A:ACCUM_OFFSET: 11
; COMPUTE_PGM_RSRC3_GFX90A:TG_SPLIT: 0
	.section	.text._ZN2at6native12_GLOBAL__N_135GammaBetaBackwardCUDAKernelTemplateIN3c104HalfEfLj64ELj8ELj64ELb0ELb0ELb1EEEvllPKT_S7_PKT0_SA_PS5_SB_,"axG",@progbits,_ZN2at6native12_GLOBAL__N_135GammaBetaBackwardCUDAKernelTemplateIN3c104HalfEfLj64ELj8ELj64ELb0ELb0ELb1EEEvllPKT_S7_PKT0_SA_PS5_SB_,comdat
	.globl	_ZN2at6native12_GLOBAL__N_135GammaBetaBackwardCUDAKernelTemplateIN3c104HalfEfLj64ELj8ELj64ELb0ELb0ELb1EEEvllPKT_S7_PKT0_SA_PS5_SB_ ; -- Begin function _ZN2at6native12_GLOBAL__N_135GammaBetaBackwardCUDAKernelTemplateIN3c104HalfEfLj64ELj8ELj64ELb0ELb0ELb1EEEvllPKT_S7_PKT0_SA_PS5_SB_
	.p2align	8
	.type	_ZN2at6native12_GLOBAL__N_135GammaBetaBackwardCUDAKernelTemplateIN3c104HalfEfLj64ELj8ELj64ELb0ELb0ELb1EEEvllPKT_S7_PKT0_SA_PS5_SB_,@function
_ZN2at6native12_GLOBAL__N_135GammaBetaBackwardCUDAKernelTemplateIN3c104HalfEfLj64ELj8ELj64ELb0ELb0ELb1EEEvllPKT_S7_PKT0_SA_PS5_SB_: ; @_ZN2at6native12_GLOBAL__N_135GammaBetaBackwardCUDAKernelTemplateIN3c104HalfEfLj64ELj8ELj64ELb0ELb0ELb1EEEvllPKT_S7_PKT0_SA_PS5_SB_
; %bb.0:
	s_load_dwordx8 s[12:19], s[4:5], 0x0
	s_load_dwordx2 s[10:11], s[4:5], 0x28
	s_lshl_b32 s33, s6, 6
	s_or_b32 s28, s33, 63
	s_mov_b32 s29, 0
	s_waitcnt lgkmcnt(0)
	v_pk_mov_b32 v[2:3], s[14:15], s[14:15] op_sel:[0,1]
	v_cmp_ge_i64_e32 vcc, s[28:29], v[2:3]
	s_lshl_b32 s28, s7, 6
	v_pk_mov_b32 v[2:3], s[12:13], s[12:13] op_sel:[0,1]
	v_cmp_lt_i64_e64 s[0:1], s[28:29], v[2:3]
	v_cndmask_b32_e64 v1, 0, 1, s[0:1]
	v_cmp_ne_u32_e64 s[0:1], 1, v1
	s_cbranch_vccz .LBB170_49
; %bb.1:
	s_and_b64 vcc, exec, s[0:1]
	v_mov_b32_e32 v2, 0
	s_cbranch_vccnz .LBB170_50
; %bb.2:
	v_and_b32_e32 v59, 0x3ff, v0
	v_bfe_u32 v61, v0, 10, 10
	v_add_u32_e32 v2, s33, v59
	v_mov_b32_e32 v3, 0
	v_lshlrev_b32_e32 v26, 3, v61
	v_cmp_gt_i64_e64 s[2:3], s[14:15], v[2:3]
	v_lshlrev_b64 v[28:29], 1, v[2:3]
	v_mov_b32_e32 v1, s29
	v_add_co_u32_e32 v2, vcc, s28, v26
	v_addc_co_u32_e32 v6, vcc, 0, v1, vcc
	v_add_co_u32_e32 v1, vcc, 7, v2
	v_addc_co_u32_e32 v4, vcc, 0, v6, vcc
	v_mul_lo_u32 v7, s15, v1
	v_mul_lo_u32 v8, s14, v4
	v_mad_u64_u32 v[4:5], s[8:9], s14, v1, 0
	s_load_dword s7, s[4:5], 0x44
	v_add3_u32 v5, v5, v8, v7
	v_lshlrev_b64 v[4:5], 1, v[4:5]
	v_mov_b32_e32 v7, s17
	v_add_co_u32_e32 v30, vcc, s16, v4
	v_addc_co_u32_e32 v1, vcc, v7, v5, vcc
	s_add_u32 s30, s4, 64
	v_mov_b32_e32 v8, s19
	v_add_co_u32_e32 v32, vcc, s18, v4
	s_addc_u32 s31, s5, 0
	s_waitcnt lgkmcnt(0)
	s_lshl_b32 s7, s7, 6
	v_addc_co_u32_e32 v27, vcc, v8, v5, vcc
	s_mul_i32 s8, s15, s7
	s_mul_hi_u32 s9, s14, s7
	v_add_co_u32_e32 v4, vcc, 6, v2
	s_add_i32 s9, s9, s8
	s_mul_i32 s8, s14, s7
	v_addc_co_u32_e32 v5, vcc, 0, v6, vcc
	s_lshl_b64 s[34:35], s[8:9], 1
	v_mul_lo_u32 v9, s15, v4
	v_mul_lo_u32 v10, s14, v5
	v_mad_u64_u32 v[4:5], s[8:9], s14, v4, 0
	v_add3_u32 v5, v5, v10, v9
	v_lshlrev_b64 v[4:5], 1, v[4:5]
	v_add_co_u32_e32 v34, vcc, s16, v4
	v_addc_co_u32_e32 v31, vcc, v7, v5, vcc
	v_add_co_u32_e32 v36, vcc, s18, v4
	v_addc_co_u32_e32 v33, vcc, v8, v5, vcc
	v_add_co_u32_e32 v4, vcc, 5, v2
	v_addc_co_u32_e32 v5, vcc, 0, v6, vcc
	v_mul_lo_u32 v9, s15, v4
	v_mul_lo_u32 v10, s14, v5
	v_mad_u64_u32 v[4:5], s[8:9], s14, v4, 0
	v_add3_u32 v5, v5, v10, v9
	v_lshlrev_b64 v[4:5], 1, v[4:5]
	v_add_co_u32_e32 v38, vcc, s16, v4
	v_addc_co_u32_e32 v35, vcc, v7, v5, vcc
	v_add_co_u32_e32 v40, vcc, s18, v4
	v_addc_co_u32_e32 v37, vcc, v8, v5, vcc
	v_add_co_u32_e32 v4, vcc, 4, v2
	v_addc_co_u32_e32 v5, vcc, 0, v6, vcc
	;; [unrolled: 11-line block ×4, first 2 shown]
	v_mul_lo_u32 v9, s15, v4
	v_mul_lo_u32 v10, s14, v5
	v_mad_u64_u32 v[4:5], s[8:9], s14, v4, 0
	v_add3_u32 v5, v5, v10, v9
	v_lshlrev_b64 v[4:5], 1, v[4:5]
	v_add_co_u32_e32 v50, vcc, s16, v4
	v_addc_co_u32_e32 v47, vcc, v7, v5, vcc
	v_add_co_u32_e32 v52, vcc, s18, v4
	v_addc_co_u32_e32 v49, vcc, v8, v5, vcc
	v_pk_mov_b32 v[4:5], s[14:15], s[14:15] op_sel:[0,1]
	v_mad_u64_u32 v[4:5], s[8:9], s14, v2, v[4:5]
	v_mul_lo_u32 v6, s14, v6
	v_mul_lo_u32 v9, s15, v2
	v_add3_u32 v5, v9, v5, v6
	v_lshlrev_b64 v[4:5], 1, v[4:5]
	v_add_co_u32_e32 v54, vcc, s16, v4
	v_addc_co_u32_e32 v51, vcc, v7, v5, vcc
	v_add_co_u32_e32 v56, vcc, s18, v4
	v_addc_co_u32_e32 v53, vcc, v8, v5, vcc
	v_mad_u64_u32 v[4:5], s[8:9], s14, v2, 0
	v_add3_u32 v5, v5, v6, v9
	v_lshlrev_b64 v[4:5], 1, v[4:5]
	v_add_co_u32_e32 v58, vcc, s16, v4
	v_mbcnt_lo_u32_b32 v2, -1, 0
	v_addc_co_u32_e32 v55, vcc, v7, v5, vcc
	v_mbcnt_hi_u32_b32 v2, -1, v2
	s_add_u32 s36, s28, 63
	v_add_co_u32_e32 v60, vcc, s18, v4
	v_lshlrev_b32_e32 v2, 2, v2
	s_mov_b32 s20, 0
	s_addc_u32 s37, 0, 0
	v_addc_co_u32_e32 v57, vcc, v8, v5, vcc
	v_and_b32_e32 v62, 0x100, v2
	s_mov_b64 s[38:39], s[28:29]
	v_mov_b32_e32 v63, 0
.LBB170_3:                              ; =>This Inner Loop Header: Depth=1
	v_pk_mov_b32 v[4:5], s[12:13], s[12:13] op_sel:[0,1]
	v_cmp_ge_i64_e32 vcc, s[36:37], v[4:5]
	v_mov_b32_e32 v2, s37
	v_add_co_u32_e64 v64, s[8:9], s36, v26
	v_addc_co_u32_e64 v65, s[8:9], 0, v2, s[8:9]
	s_cbranch_vccz .LBB170_25
; %bb.4:                                ;   in Loop: Header=BB170_3 Depth=1
	s_load_dword s8, s[30:31], 0xc
	v_mov_b32_e32 v66, 0
	s_waitcnt lgkmcnt(0)
	s_and_b32 s8, s8, 0xffff
	v_mad_u32_u24 v2, v61, s8, v59
	v_and_b32_e32 v2, 63, v2
	v_cmp_gt_u32_e32 vcc, 8, v2
	s_and_saveexec_b64 s[8:9], vcc
	s_cbranch_execz .LBB170_8
; %bb.5:                                ;   in Loop: Header=BB170_3 Depth=1
	v_add_co_u32_e32 v2, vcc, v64, v2
	v_addc_co_u32_e32 v5, vcc, 0, v65, vcc
	v_add_co_u32_e32 v4, vcc, 0xffffffc1, v2
	v_addc_co_u32_e32 v5, vcc, -1, v5, vcc
	v_cmp_gt_i64_e32 vcc, s[12:13], v[4:5]
	v_mov_b32_e32 v66, 0
	s_and_saveexec_b64 s[22:23], vcc
	s_cbranch_execz .LBB170_7
; %bb.6:                                ;   in Loop: Header=BB170_3 Depth=1
	v_lshlrev_b64 v[4:5], 2, v[4:5]
	v_mov_b32_e32 v2, s11
	v_add_co_u32_e32 v4, vcc, s10, v4
	v_addc_co_u32_e32 v5, vcc, v2, v5, vcc
	global_load_dword v66, v[4:5], off
.LBB170_7:                              ;   in Loop: Header=BB170_3 Depth=1
	s_or_b64 exec, exec, s[22:23]
.LBB170_8:                              ;   in Loop: Header=BB170_3 Depth=1
	s_or_b64 exec, exec, s[8:9]
	s_mov_b32 s21, s20
	v_add_co_u32_e32 v4, vcc, 0xffffffc1, v64
	s_mov_b32 s22, s20
	s_mov_b32 s23, s20
	;; [unrolled: 1-line block ×6, first 2 shown]
	v_pk_mov_b32 v[10:11], s[20:21], s[20:21] op_sel:[0,1]
	v_addc_co_u32_e32 v5, vcc, -1, v65, vcc
	v_pk_mov_b32 v[16:17], s[26:27], s[26:27] op_sel:[0,1]
	v_cmp_gt_i64_e32 vcc, s[12:13], v[4:5]
	v_pk_mov_b32 v[12:13], s[22:23], s[22:23] op_sel:[0,1]
	v_pk_mov_b32 v[14:15], s[24:25], s[24:25] op_sel:[0,1]
	;; [unrolled: 1-line block ×3, first 2 shown]
	s_and_b64 s[40:41], s[2:3], vcc
	v_pk_mov_b32 v[22:23], v[14:15], v[14:15] op_sel:[0,1]
	v_pk_mov_b32 v[20:21], v[12:13], v[12:13] op_sel:[0,1]
	;; [unrolled: 1-line block ×3, first 2 shown]
	s_and_saveexec_b64 s[8:9], s[40:41]
	s_cbranch_execz .LBB170_10
; %bb.9:                                ;   in Loop: Header=BB170_3 Depth=1
	v_add_co_u32_e32 v4, vcc, v58, v28
	v_addc_co_u32_e32 v5, vcc, v55, v29, vcc
	global_load_ushort v2, v[4:5], off
	v_add_co_u32_e32 v4, vcc, v60, v28
	v_addc_co_u32_e32 v5, vcc, v57, v29, vcc
	global_load_ushort v10, v[4:5], off
	v_mov_b32_e32 v8, v3
	v_mov_b32_e32 v9, v3
	;; [unrolled: 1-line block ×13, first 2 shown]
	s_waitcnt vmcnt(1)
	v_cvt_f32_f16_e32 v2, v2
	v_pk_mov_b32 v[24:25], v[8:9], v[8:9] op_sel:[0,1]
	v_pk_mov_b32 v[22:23], v[6:7], v[6:7] op_sel:[0,1]
	;; [unrolled: 1-line block ×4, first 2 shown]
	s_waitcnt vmcnt(0)
	v_cvt_f32_f16_e32 v10, v10
.LBB170_10:                             ;   in Loop: Header=BB170_3 Depth=1
	s_or_b64 exec, exec, s[8:9]
	v_add_co_u32_e32 v4, vcc, 0xffffffc2, v64
	v_addc_co_u32_e32 v5, vcc, -1, v65, vcc
	v_cmp_gt_i64_e32 vcc, s[12:13], v[4:5]
	s_and_b64 s[22:23], s[2:3], vcc
	s_and_saveexec_b64 s[8:9], s[22:23]
	s_cbranch_execz .LBB170_12
; %bb.11:                               ;   in Loop: Header=BB170_3 Depth=1
	v_add_co_u32_e32 v4, vcc, v54, v28
	v_addc_co_u32_e32 v5, vcc, v51, v29, vcc
	global_load_ushort v2, v[4:5], off
	v_add_co_u32_e32 v4, vcc, v56, v28
	v_addc_co_u32_e32 v5, vcc, v53, v29, vcc
	global_load_ushort v4, v[4:5], off
	s_waitcnt vmcnt(1)
	v_cvt_f32_f16_e32 v19, v2
	s_waitcnt vmcnt(0)
	v_cvt_f32_f16_e32 v11, v4
.LBB170_12:                             ;   in Loop: Header=BB170_3 Depth=1
	s_or_b64 exec, exec, s[8:9]
	v_add_co_u32_e32 v4, vcc, 0xffffffc3, v64
	v_addc_co_u32_e32 v5, vcc, -1, v65, vcc
	v_cmp_gt_i64_e32 vcc, s[12:13], v[4:5]
	s_and_b64 s[22:23], s[2:3], vcc
	s_and_saveexec_b64 s[8:9], s[22:23]
	s_cbranch_execz .LBB170_14
; %bb.13:                               ;   in Loop: Header=BB170_3 Depth=1
	v_add_co_u32_e32 v4, vcc, v50, v28
	v_addc_co_u32_e32 v5, vcc, v47, v29, vcc
	global_load_ushort v2, v[4:5], off
	v_add_co_u32_e32 v4, vcc, v52, v28
	v_addc_co_u32_e32 v5, vcc, v49, v29, vcc
	global_load_ushort v4, v[4:5], off
	s_waitcnt vmcnt(1)
	v_cvt_f32_f16_e32 v20, v2
	s_waitcnt vmcnt(0)
	v_cvt_f32_f16_e32 v12, v4
.LBB170_14:                             ;   in Loop: Header=BB170_3 Depth=1
	;; [unrolled: 19-line block ×7, first 2 shown]
	s_or_b64 exec, exec, s[8:9]
	s_waitcnt vmcnt(0)
	ds_bpermute_b32 v4, v62, v66 offset:4
	ds_bpermute_b32 v5, v62, v66 offset:8
	ds_bpermute_b32 v2, v62, v66
	v_mul_f32_e32 v8, v10, v18
	v_pk_mul_f32 v[10:11], v[10:11], v[18:19]
	v_pk_mul_f32 v[12:13], v[12:13], v[20:21]
	v_mov_b32_e32 v10, v11
	v_mov_b32_e32 v11, v12
	s_waitcnt lgkmcnt(1)
	v_pk_mul_f32 v[4:5], v[10:11], v[4:5]
	ds_bpermute_b32 v10, v62, v66 offset:12
	ds_bpermute_b32 v11, v62, v66 offset:16
	s_waitcnt lgkmcnt(2)
	v_fma_f32 v2, v8, v2, v63
	v_pk_mul_f32 v[8:9], v[14:15], v[22:23]
	v_add_f32_e32 v2, v2, v4
	v_add_f32_e32 v2, v2, v5
	v_mov_b32_e32 v4, v13
	v_mov_b32_e32 v5, v8
	s_waitcnt lgkmcnt(0)
	v_pk_mul_f32 v[4:5], v[4:5], v[10:11]
	ds_bpermute_b32 v10, v62, v66 offset:20
	ds_bpermute_b32 v11, v62, v66 offset:24
	v_pk_mul_f32 v[6:7], v[16:17], v[24:25]
	v_add_f32_e32 v2, v2, v4
	ds_bpermute_b32 v4, v62, v66 offset:28
	v_mov_b32_e32 v8, v9
	v_mov_b32_e32 v9, v6
	v_add_f32_e32 v2, v2, v5
	s_waitcnt lgkmcnt(1)
	v_pk_mul_f32 v[6:7], v[8:9], v[10:11]
	v_add_f32_e32 v2, v2, v6
	v_add_f32_e32 v2, v2, v7
	s_branch .LBB170_40
.LBB170_25:                             ;   in Loop: Header=BB170_3 Depth=1
                                        ; implicit-def: $vgpr2
                                        ; implicit-def: $vgpr10_vgpr11_vgpr12_vgpr13_vgpr14_vgpr15_vgpr16_vgpr17
                                        ; implicit-def: $vgpr18_vgpr19_vgpr20_vgpr21_vgpr22_vgpr23_vgpr24_vgpr25
                                        ; implicit-def: $vgpr4
	s_cbranch_execz .LBB170_40
; %bb.26:                               ;   in Loop: Header=BB170_3 Depth=1
	s_load_dword s8, s[30:31], 0x0
	v_mov_b32_e32 v66, 0
	s_waitcnt lgkmcnt(0)
	s_cmp_lt_u32 s6, s8
	s_cselect_b32 s8, 12, 18
	s_add_u32 s8, s30, s8
	s_addc_u32 s9, s31, 0
	global_load_ushort v2, v3, s[8:9]
	s_waitcnt vmcnt(0)
	v_mad_u32_u24 v2, v61, v2, v59
	v_and_b32_e32 v2, 63, v2
	v_cmp_gt_u32_e32 vcc, 8, v2
	s_and_saveexec_b64 s[8:9], vcc
	s_cbranch_execz .LBB170_30
; %bb.27:                               ;   in Loop: Header=BB170_3 Depth=1
	v_add_co_u32_e32 v2, vcc, v64, v2
	v_addc_co_u32_e32 v5, vcc, 0, v65, vcc
	v_add_co_u32_e32 v4, vcc, 0xffffffc1, v2
	v_addc_co_u32_e32 v5, vcc, -1, v5, vcc
	v_cmp_gt_i64_e32 vcc, s[12:13], v[4:5]
	v_mov_b32_e32 v66, 0
	s_and_saveexec_b64 s[22:23], vcc
	s_cbranch_execz .LBB170_29
; %bb.28:                               ;   in Loop: Header=BB170_3 Depth=1
	v_lshlrev_b64 v[4:5], 2, v[4:5]
	v_mov_b32_e32 v2, s11
	v_add_co_u32_e32 v4, vcc, s10, v4
	v_addc_co_u32_e32 v5, vcc, v2, v5, vcc
	global_load_dword v66, v[4:5], off
.LBB170_29:                             ;   in Loop: Header=BB170_3 Depth=1
	s_or_b64 exec, exec, s[22:23]
.LBB170_30:                             ;   in Loop: Header=BB170_3 Depth=1
	s_or_b64 exec, exec, s[8:9]
	s_mov_b32 s21, s20
	s_mov_b32 s22, s20
	;; [unrolled: 1-line block ×7, first 2 shown]
	v_pk_mov_b32 v[10:11], s[20:21], s[20:21] op_sel:[0,1]
	v_pk_mov_b32 v[16:17], s[26:27], s[26:27] op_sel:[0,1]
	;; [unrolled: 1-line block ×8, first 2 shown]
	s_and_saveexec_b64 s[8:9], s[2:3]
	s_cbranch_execnz .LBB170_42
; %bb.31:                               ;   in Loop: Header=BB170_3 Depth=1
	s_or_b64 exec, exec, s[8:9]
	s_and_saveexec_b64 s[8:9], s[2:3]
	s_cbranch_execnz .LBB170_43
.LBB170_32:                             ;   in Loop: Header=BB170_3 Depth=1
	s_or_b64 exec, exec, s[8:9]
	s_and_saveexec_b64 s[8:9], s[2:3]
	s_cbranch_execnz .LBB170_44
.LBB170_33:                             ;   in Loop: Header=BB170_3 Depth=1
	s_or_b64 exec, exec, s[8:9]
	s_and_saveexec_b64 s[8:9], s[2:3]
	s_cbranch_execnz .LBB170_45
.LBB170_34:                             ;   in Loop: Header=BB170_3 Depth=1
	s_or_b64 exec, exec, s[8:9]
	s_and_saveexec_b64 s[8:9], s[2:3]
	s_cbranch_execnz .LBB170_46
.LBB170_35:                             ;   in Loop: Header=BB170_3 Depth=1
	s_or_b64 exec, exec, s[8:9]
	s_and_saveexec_b64 s[8:9], s[2:3]
	s_cbranch_execnz .LBB170_47
.LBB170_36:                             ;   in Loop: Header=BB170_3 Depth=1
	s_or_b64 exec, exec, s[8:9]
	s_and_saveexec_b64 s[8:9], s[2:3]
	s_cbranch_execnz .LBB170_48
.LBB170_37:                             ;   in Loop: Header=BB170_3 Depth=1
	s_or_b64 exec, exec, s[8:9]
	s_and_saveexec_b64 s[8:9], s[2:3]
	s_cbranch_execz .LBB170_39
.LBB170_38:                             ;   in Loop: Header=BB170_3 Depth=1
	v_add_co_u32_e32 v4, vcc, v30, v28
	v_addc_co_u32_e32 v5, vcc, v1, v29, vcc
	global_load_ushort v2, v[4:5], off
	v_add_co_u32_e32 v4, vcc, v32, v28
	v_addc_co_u32_e32 v5, vcc, v27, v29, vcc
	global_load_ushort v4, v[4:5], off
	s_waitcnt vmcnt(1)
	v_cvt_f32_f16_e32 v25, v2
	s_waitcnt vmcnt(0)
	v_cvt_f32_f16_e32 v17, v4
.LBB170_39:                             ;   in Loop: Header=BB170_3 Depth=1
	s_or_b64 exec, exec, s[8:9]
	s_waitcnt vmcnt(0)
	ds_bpermute_b32 v4, v62, v66 offset:4
	ds_bpermute_b32 v5, v62, v66 offset:8
	ds_bpermute_b32 v2, v62, v66
	v_mul_f32_e32 v8, v10, v18
	v_pk_mul_f32 v[10:11], v[10:11], v[18:19]
	v_pk_mul_f32 v[12:13], v[12:13], v[20:21]
	v_mov_b32_e32 v10, v11
	v_mov_b32_e32 v11, v12
	s_waitcnt lgkmcnt(1)
	v_pk_mul_f32 v[4:5], v[10:11], v[4:5]
	ds_bpermute_b32 v10, v62, v66 offset:12
	ds_bpermute_b32 v11, v62, v66 offset:16
	s_waitcnt lgkmcnt(2)
	v_fmac_f32_e32 v63, v8, v2
	v_pk_mul_f32 v[8:9], v[14:15], v[22:23]
	v_add_f32_e32 v2, v63, v4
	v_add_f32_e32 v2, v2, v5
	v_mov_b32_e32 v4, v13
	v_mov_b32_e32 v5, v8
	s_waitcnt lgkmcnt(0)
	v_pk_mul_f32 v[4:5], v[4:5], v[10:11]
	ds_bpermute_b32 v10, v62, v66 offset:20
	ds_bpermute_b32 v11, v62, v66 offset:24
	v_pk_mul_f32 v[6:7], v[16:17], v[24:25]
	v_add_f32_e32 v2, v2, v4
	v_mov_b32_e32 v8, v9
	v_mov_b32_e32 v9, v6
	v_add_f32_e32 v2, v2, v5
	s_waitcnt lgkmcnt(0)
	v_pk_mul_f32 v[6:7], v[8:9], v[10:11]
	v_add_f32_e32 v2, v2, v6
	ds_bpermute_b32 v4, v62, v66 offset:28
	v_add_f32_e32 v2, v2, v7
.LBB170_40:                             ;   in Loop: Header=BB170_3 Depth=1
	v_mul_f32_e32 v5, v25, v17
	s_waitcnt lgkmcnt(0)
	v_fmac_f32_e32 v2, v5, v4
	v_mov_b32_e32 v4, s35
	v_add_co_u32_e32 v30, vcc, s34, v30
	v_addc_co_u32_e32 v1, vcc, v1, v4, vcc
	v_add_co_u32_e32 v32, vcc, s34, v32
	v_addc_co_u32_e32 v27, vcc, v27, v4, vcc
	;; [unrolled: 2-line block ×15, first 2 shown]
	s_add_u32 s38, s38, s7
	v_add_co_u32_e32 v60, vcc, s34, v60
	s_addc_u32 s39, s39, 0
	v_addc_co_u32_e32 v57, vcc, v57, v4, vcc
	v_pk_mov_b32 v[4:5], s[12:13], s[12:13] op_sel:[0,1]
	s_add_u32 s36, s36, s7
	v_cmp_lt_i64_e32 vcc, s[38:39], v[4:5]
	s_addc_u32 s37, s37, 0
	s_cbranch_vccz .LBB170_50
; %bb.41:                               ;   in Loop: Header=BB170_3 Depth=1
	v_mov_b32_e32 v63, v2
	s_branch .LBB170_3
.LBB170_42:                             ;   in Loop: Header=BB170_3 Depth=1
	v_add_co_u32_e32 v4, vcc, v58, v28
	v_addc_co_u32_e32 v5, vcc, v55, v29, vcc
	global_load_ushort v2, v[4:5], off
	v_add_co_u32_e32 v4, vcc, v60, v28
	v_addc_co_u32_e32 v5, vcc, v57, v29, vcc
	global_load_ushort v10, v[4:5], off
	v_mov_b32_e32 v8, v3
	v_mov_b32_e32 v9, v3
	v_mov_b32_e32 v4, v3
	v_mov_b32_e32 v5, v3
	v_mov_b32_e32 v6, v3
	v_mov_b32_e32 v7, v3
	v_mov_b32_e32 v11, v3
	v_mov_b32_e32 v12, v3
	v_mov_b32_e32 v13, v3
	v_mov_b32_e32 v14, v3
	v_mov_b32_e32 v15, v3
	v_mov_b32_e32 v16, v3
	v_mov_b32_e32 v17, v3
	s_waitcnt vmcnt(1)
	v_cvt_f32_f16_e32 v2, v2
	v_pk_mov_b32 v[24:25], v[8:9], v[8:9] op_sel:[0,1]
	v_pk_mov_b32 v[22:23], v[6:7], v[6:7] op_sel:[0,1]
	;; [unrolled: 1-line block ×4, first 2 shown]
	s_waitcnt vmcnt(0)
	v_cvt_f32_f16_e32 v10, v10
	s_or_b64 exec, exec, s[8:9]
	s_and_saveexec_b64 s[8:9], s[2:3]
	s_cbranch_execz .LBB170_32
.LBB170_43:                             ;   in Loop: Header=BB170_3 Depth=1
	v_add_co_u32_e32 v4, vcc, v54, v28
	v_addc_co_u32_e32 v5, vcc, v51, v29, vcc
	global_load_ushort v2, v[4:5], off
	v_add_co_u32_e32 v4, vcc, v56, v28
	v_addc_co_u32_e32 v5, vcc, v53, v29, vcc
	global_load_ushort v4, v[4:5], off
	s_waitcnt vmcnt(1)
	v_cvt_f32_f16_e32 v19, v2
	s_waitcnt vmcnt(0)
	v_cvt_f32_f16_e32 v11, v4
	s_or_b64 exec, exec, s[8:9]
	s_and_saveexec_b64 s[8:9], s[2:3]
	s_cbranch_execz .LBB170_33
.LBB170_44:                             ;   in Loop: Header=BB170_3 Depth=1
	v_add_co_u32_e32 v4, vcc, v50, v28
	v_addc_co_u32_e32 v5, vcc, v47, v29, vcc
	global_load_ushort v2, v[4:5], off
	v_add_co_u32_e32 v4, vcc, v52, v28
	v_addc_co_u32_e32 v5, vcc, v49, v29, vcc
	global_load_ushort v4, v[4:5], off
	s_waitcnt vmcnt(1)
	v_cvt_f32_f16_e32 v20, v2
	s_waitcnt vmcnt(0)
	v_cvt_f32_f16_e32 v12, v4
	s_or_b64 exec, exec, s[8:9]
	s_and_saveexec_b64 s[8:9], s[2:3]
	s_cbranch_execz .LBB170_34
.LBB170_45:                             ;   in Loop: Header=BB170_3 Depth=1
	v_add_co_u32_e32 v4, vcc, v46, v28
	v_addc_co_u32_e32 v5, vcc, v43, v29, vcc
	global_load_ushort v2, v[4:5], off
	v_add_co_u32_e32 v4, vcc, v48, v28
	v_addc_co_u32_e32 v5, vcc, v45, v29, vcc
	global_load_ushort v4, v[4:5], off
	s_waitcnt vmcnt(1)
	v_cvt_f32_f16_e32 v21, v2
	s_waitcnt vmcnt(0)
	v_cvt_f32_f16_e32 v13, v4
	s_or_b64 exec, exec, s[8:9]
	s_and_saveexec_b64 s[8:9], s[2:3]
	s_cbranch_execz .LBB170_35
.LBB170_46:                             ;   in Loop: Header=BB170_3 Depth=1
	v_add_co_u32_e32 v4, vcc, v42, v28
	v_addc_co_u32_e32 v5, vcc, v39, v29, vcc
	global_load_ushort v2, v[4:5], off
	v_add_co_u32_e32 v4, vcc, v44, v28
	v_addc_co_u32_e32 v5, vcc, v41, v29, vcc
	global_load_ushort v4, v[4:5], off
	s_waitcnt vmcnt(1)
	v_cvt_f32_f16_e32 v22, v2
	s_waitcnt vmcnt(0)
	v_cvt_f32_f16_e32 v14, v4
	s_or_b64 exec, exec, s[8:9]
	s_and_saveexec_b64 s[8:9], s[2:3]
	s_cbranch_execz .LBB170_36
.LBB170_47:                             ;   in Loop: Header=BB170_3 Depth=1
	v_add_co_u32_e32 v4, vcc, v38, v28
	v_addc_co_u32_e32 v5, vcc, v35, v29, vcc
	global_load_ushort v2, v[4:5], off
	v_add_co_u32_e32 v4, vcc, v40, v28
	v_addc_co_u32_e32 v5, vcc, v37, v29, vcc
	global_load_ushort v4, v[4:5], off
	s_waitcnt vmcnt(1)
	v_cvt_f32_f16_e32 v23, v2
	s_waitcnt vmcnt(0)
	v_cvt_f32_f16_e32 v15, v4
	s_or_b64 exec, exec, s[8:9]
	s_and_saveexec_b64 s[8:9], s[2:3]
	s_cbranch_execz .LBB170_37
.LBB170_48:                             ;   in Loop: Header=BB170_3 Depth=1
	v_add_co_u32_e32 v4, vcc, v34, v28
	v_addc_co_u32_e32 v5, vcc, v31, v29, vcc
	global_load_ushort v2, v[4:5], off
	v_add_co_u32_e32 v4, vcc, v36, v28
	v_addc_co_u32_e32 v5, vcc, v33, v29, vcc
	global_load_ushort v4, v[4:5], off
	s_waitcnt vmcnt(1)
	v_cvt_f32_f16_e32 v24, v2
	s_waitcnt vmcnt(0)
	v_cvt_f32_f16_e32 v16, v4
	s_or_b64 exec, exec, s[8:9]
	s_and_saveexec_b64 s[8:9], s[2:3]
	s_cbranch_execnz .LBB170_38
	s_branch .LBB170_39
.LBB170_49:
                                        ; implicit-def: $vgpr2
	s_branch .LBB170_51
.LBB170_50:
	s_cbranch_execnz .LBB170_83
.LBB170_51:
	s_and_b64 vcc, exec, s[0:1]
	v_mov_b32_e32 v2, 0
	s_cbranch_vccnz .LBB170_83
; %bb.52:
	s_load_dword s0, s[4:5], 0x44
	s_add_u32 s2, s4, 64
	s_addc_u32 s3, s5, 0
	v_bfe_u32 v85, v0, 10, 10
	v_lshlrev_b32_e32 v1, 4, v85
	s_waitcnt lgkmcnt(0)
	s_lshl_b32 s7, s0, 6
	s_add_u32 s8, s28, 63
	s_addc_u32 s9, 0, 0
	s_lshl_b64 s[0:1], s[28:29], 1
	v_mov_b32_e32 v2, s1
	v_add_co_u32_e32 v1, vcc, s0, v1
	v_addc_co_u32_e32 v4, vcc, 0, v2, vcc
	v_add_co_u32_e32 v6, vcc, 2, v1
	v_addc_co_u32_e32 v5, vcc, 0, v4, vcc
	v_add_co_u32_e32 v9, vcc, 4, v1
	v_mul_lo_u32 v7, s14, v5
	v_addc_co_u32_e32 v5, vcc, 0, v4, vcc
	v_add_co_u32_e32 v12, vcc, 6, v1
	v_mul_lo_u32 v10, s14, v5
	;; [unrolled: 3-line block ×5, first 2 shown]
	v_addc_co_u32_e32 v5, vcc, 0, v4, vcc
	v_add_co_u32_e32 v24, vcc, 14, v1
	v_lshlrev_b32_e32 v26, 3, v85
	v_addc_co_u32_e32 v1, vcc, 0, v4, vcc
	v_mul_lo_u32 v25, s14, v1
	v_mov_b32_e32 v1, s29
	v_add_co_u32_e32 v43, vcc, s28, v26
	v_pk_mov_b32 v[2:3], s[16:17], s[16:17] op_sel:[0,1]
	v_addc_co_u32_e32 v59, vcc, 0, v1, vcc
	v_mad_u64_u32 v[28:29], s[0:1], s14, v6, v[2:3]
	v_mad_u64_u32 v[30:31], s[0:1], s14, v9, v[2:3]
	;; [unrolled: 1-line block ×7, first 2 shown]
	v_mul_lo_u32 v60, s15, v43
	v_mul_lo_u32 v61, s14, v59
	v_mad_u64_u32 v[2:3], s[0:1], s14, v43, 0
	v_add3_u32 v3, v3, v61, v60
	v_lshlrev_b64 v[2:3], 1, v[2:3]
	v_mul_lo_u32 v22, s14, v5
	v_mov_b32_e32 v81, s17
	v_add_co_u32_e32 v42, vcc, s16, v2
	v_pk_mov_b32 v[4:5], s[18:19], s[18:19] op_sel:[0,1]
	v_mul_lo_u32 v17, s15, v15
	v_addc_co_u32_e32 v1, vcc, v81, v3, vcc
	v_mad_u64_u32 v[50:51], s[0:1], s14, v15, v[4:5]
	v_add3_u32 v35, v17, v35, v16
	v_mul_lo_u32 v27, s15, v24
	v_add3_u32 v51, v17, v51, v16
	v_mad_u64_u32 v[56:57], s[0:1], s14, v24, v[4:5]
	v_mov_b32_e32 v16, s19
	v_add_co_u32_e32 v58, vcc, s18, v2
	v_add3_u32 v41, v27, v41, v25
	v_add3_u32 v57, v27, v57, v25
	v_addc_co_u32_e32 v27, vcc, v16, v3, vcc
	v_add_co_u32_e32 v2, vcc, 7, v43
	v_addc_co_u32_e32 v3, vcc, 0, v59, vcc
	v_mad_u64_u32 v[44:45], s[0:1], s14, v6, v[4:5]
	v_mad_u64_u32 v[46:47], s[0:1], s14, v9, v[4:5]
	;; [unrolled: 1-line block ×5, first 2 shown]
	v_mul_lo_u32 v4, s15, v2
	v_mul_lo_u32 v5, s14, v3
	v_mad_u64_u32 v[2:3], s[0:1], s14, v2, 0
	v_add3_u32 v3, v3, v5, v4
	v_add_co_u32_e32 v4, vcc, 6, v43
	v_mul_lo_u32 v8, s15, v6
	v_addc_co_u32_e32 v5, vcc, 0, v59, vcc
	v_add3_u32 v29, v8, v29, v7
	v_add3_u32 v45, v8, v45, v7
	v_mul_lo_u32 v6, s15, v4
	v_mul_lo_u32 v7, s14, v5
	v_mad_u64_u32 v[4:5], s[0:1], s14, v4, 0
	v_add3_u32 v5, v5, v7, v6
	v_add_co_u32_e32 v6, vcc, 5, v43
	v_addc_co_u32_e32 v7, vcc, 0, v59, vcc
	v_mul_lo_u32 v11, s15, v9
	v_mul_lo_u32 v8, s15, v6
	;; [unrolled: 1-line block ×3, first 2 shown]
	v_mad_u64_u32 v[6:7], s[0:1], s14, v6, 0
	v_add3_u32 v7, v7, v9, v8
	v_add_co_u32_e32 v8, vcc, 4, v43
	v_addc_co_u32_e32 v9, vcc, 0, v59, vcc
	v_add3_u32 v31, v11, v31, v10
	v_add3_u32 v47, v11, v47, v10
	v_mul_lo_u32 v10, s15, v8
	v_mul_lo_u32 v11, s14, v9
	v_mad_u64_u32 v[8:9], s[0:1], s14, v8, 0
	v_add3_u32 v9, v9, v11, v10
	v_add_co_u32_e32 v10, vcc, 3, v43
	v_mul_lo_u32 v14, s15, v12
	v_addc_co_u32_e32 v11, vcc, 0, v59, vcc
	v_add3_u32 v33, v14, v33, v13
	v_add3_u32 v49, v14, v49, v13
	v_mul_lo_u32 v12, s15, v10
	v_mul_lo_u32 v13, s14, v11
	v_mad_u64_u32 v[10:11], s[0:1], s14, v10, 0
	v_add3_u32 v11, v11, v13, v12
	v_add_co_u32_e32 v12, vcc, 2, v43
	v_addc_co_u32_e32 v13, vcc, 0, v59, vcc
	v_mul_lo_u32 v14, s15, v12
	v_mul_lo_u32 v15, s14, v13
	v_mad_u64_u32 v[12:13], s[0:1], s14, v12, 0
	v_add3_u32 v13, v13, v15, v14
	v_pk_mov_b32 v[14:15], s[14:15], s[14:15] op_sel:[0,1]
	v_lshlrev_b64 v[2:3], 1, v[2:3]
	v_mad_u64_u32 v[14:15], s[0:1], s14, v43, v[14:15]
	v_add3_u32 v15, v60, v15, v61
	v_add_co_u32_e32 v60, vcc, s16, v2
	v_addc_co_u32_e32 v43, vcc, v81, v3, vcc
	v_add_co_u32_e32 v62, vcc, s18, v2
	v_addc_co_u32_e32 v59, vcc, v16, v3, vcc
	v_lshlrev_b64 v[2:3], 1, v[4:5]
	v_add_co_u32_e32 v64, vcc, s16, v2
	v_addc_co_u32_e32 v61, vcc, v81, v3, vcc
	v_add_co_u32_e32 v66, vcc, s18, v2
	v_addc_co_u32_e32 v63, vcc, v16, v3, vcc
	v_lshlrev_b64 v[2:3], 1, v[6:7]
	;; [unrolled: 5-line block ×6, first 2 shown]
	v_add_co_u32_e32 v84, vcc, s16, v2
	v_addc_co_u32_e32 v81, vcc, v81, v3, vcc
	v_mbcnt_lo_u32_b32 v4, -1, 0
	v_add_co_u32_e32 v86, vcc, s18, v2
	v_and_b32_e32 v87, 0x3ff, v0
	s_mul_i32 s0, s15, s7
	s_mul_hi_u32 s1, s14, s7
	v_mbcnt_hi_u32_b32 v4, -1, v4
	v_mul_lo_u32 v20, s15, v18
	v_mul_lo_u32 v23, s15, v21
	v_addc_co_u32_e32 v83, vcc, v16, v3, vcc
	v_add_u32_e32 v2, s33, v87
	v_mov_b32_e32 v3, 0
	s_add_i32 s1, s1, s0
	s_mul_i32 s0, s14, s7
	v_lshlrev_b32_e32 v4, 2, v4
	v_add3_u32 v37, v20, v37, v19
	v_add3_u32 v39, v23, v39, v22
	;; [unrolled: 1-line block ×4, first 2 shown]
	s_mov_b32 s16, 0
	s_lshl_b64 s[24:25], s[0:1], 1
	v_and_b32_e32 v90, 0x100, v4
	v_mov_b32_e32 v91, 0
	v_lshlrev_b64 v[88:89], 1, v[2:3]
.LBB170_53:                             ; =>This Inner Loop Header: Depth=1
	v_pk_mov_b32 v[4:5], s[12:13], s[12:13] op_sel:[0,1]
	v_cmp_ge_i64_e32 vcc, s[8:9], v[4:5]
	v_mov_b32_e32 v2, s9
	v_add_co_u32_e64 v92, s[0:1], s8, v26
	v_addc_co_u32_e64 v93, s[0:1], 0, v2, s[0:1]
	s_cbranch_vccz .LBB170_75
; %bb.54:                               ;   in Loop: Header=BB170_53 Depth=1
	s_load_dword s0, s[2:3], 0xc
	v_mov_b32_e32 v94, 0
	s_waitcnt lgkmcnt(0)
	s_and_b32 s0, s0, 0xffff
	v_mad_u32_u24 v2, v85, s0, v87
	v_and_b32_e32 v2, 63, v2
	v_cmp_gt_u32_e32 vcc, 8, v2
	s_and_saveexec_b64 s[0:1], vcc
	s_cbranch_execz .LBB170_58
; %bb.55:                               ;   in Loop: Header=BB170_53 Depth=1
	v_add_co_u32_e32 v2, vcc, v92, v2
	v_addc_co_u32_e32 v5, vcc, 0, v93, vcc
	v_add_co_u32_e32 v4, vcc, 0xffffffc1, v2
	v_addc_co_u32_e32 v5, vcc, -1, v5, vcc
	v_cmp_gt_i64_e32 vcc, s[12:13], v[4:5]
	v_mov_b32_e32 v94, 0
	s_and_saveexec_b64 s[18:19], vcc
	s_cbranch_execz .LBB170_57
; %bb.56:                               ;   in Loop: Header=BB170_53 Depth=1
	v_lshlrev_b64 v[4:5], 2, v[4:5]
	v_mov_b32_e32 v2, s11
	v_add_co_u32_e32 v4, vcc, s10, v4
	v_addc_co_u32_e32 v5, vcc, v2, v5, vcc
	global_load_dword v94, v[4:5], off
.LBB170_57:                             ;   in Loop: Header=BB170_53 Depth=1
	s_or_b64 exec, exec, s[18:19]
.LBB170_58:                             ;   in Loop: Header=BB170_53 Depth=1
	s_or_b64 exec, exec, s[0:1]
	s_mov_b32 s17, s16
	s_mov_b32 s18, s16
	;; [unrolled: 1-line block ×7, first 2 shown]
	v_pk_mov_b32 v[10:11], s[16:17], s[16:17] op_sel:[0,1]
	v_add_co_u32_e32 v4, vcc, 0xffffffc1, v92
	v_pk_mov_b32 v[16:17], s[22:23], s[22:23] op_sel:[0,1]
	v_addc_co_u32_e32 v5, vcc, -1, v93, vcc
	v_pk_mov_b32 v[12:13], s[18:19], s[18:19] op_sel:[0,1]
	v_pk_mov_b32 v[14:15], s[20:21], s[20:21] op_sel:[0,1]
	;; [unrolled: 1-line block ×3, first 2 shown]
	v_cmp_gt_i64_e32 vcc, s[12:13], v[4:5]
	v_pk_mov_b32 v[22:23], v[14:15], v[14:15] op_sel:[0,1]
	v_pk_mov_b32 v[20:21], v[12:13], v[12:13] op_sel:[0,1]
	;; [unrolled: 1-line block ×3, first 2 shown]
	s_and_saveexec_b64 s[0:1], vcc
	s_cbranch_execz .LBB170_60
; %bb.59:                               ;   in Loop: Header=BB170_53 Depth=1
	v_add_co_u32_e32 v4, vcc, v42, v88
	v_addc_co_u32_e32 v5, vcc, v1, v89, vcc
	global_load_ushort v2, v[4:5], off
	v_add_co_u32_e32 v4, vcc, v58, v88
	v_addc_co_u32_e32 v5, vcc, v27, v89, vcc
	global_load_ushort v10, v[4:5], off
	v_mov_b32_e32 v8, v3
	v_mov_b32_e32 v9, v3
	;; [unrolled: 1-line block ×13, first 2 shown]
	s_waitcnt vmcnt(1)
	v_cvt_f32_f16_e32 v2, v2
	v_pk_mov_b32 v[24:25], v[8:9], v[8:9] op_sel:[0,1]
	v_pk_mov_b32 v[22:23], v[6:7], v[6:7] op_sel:[0,1]
	v_pk_mov_b32 v[20:21], v[4:5], v[4:5] op_sel:[0,1]
	v_pk_mov_b32 v[18:19], v[2:3], v[2:3] op_sel:[0,1]
	s_waitcnt vmcnt(0)
	v_cvt_f32_f16_e32 v10, v10
.LBB170_60:                             ;   in Loop: Header=BB170_53 Depth=1
	s_or_b64 exec, exec, s[0:1]
	v_add_co_u32_e32 v4, vcc, 0xffffffc2, v92
	v_addc_co_u32_e32 v5, vcc, -1, v93, vcc
	v_cmp_gt_i64_e32 vcc, s[12:13], v[4:5]
	s_and_saveexec_b64 s[0:1], vcc
	s_cbranch_execz .LBB170_62
; %bb.61:                               ;   in Loop: Header=BB170_53 Depth=1
	v_add_co_u32_e32 v4, vcc, v84, v88
	v_addc_co_u32_e32 v5, vcc, v81, v89, vcc
	global_load_ushort v2, v[4:5], off
	v_add_co_u32_e32 v4, vcc, v86, v88
	v_addc_co_u32_e32 v5, vcc, v83, v89, vcc
	global_load_ushort v4, v[4:5], off
	s_waitcnt vmcnt(1)
	v_cvt_f32_f16_e32 v19, v2
	s_waitcnt vmcnt(0)
	v_cvt_f32_f16_e32 v11, v4
.LBB170_62:                             ;   in Loop: Header=BB170_53 Depth=1
	s_or_b64 exec, exec, s[0:1]
	v_add_co_u32_e32 v4, vcc, 0xffffffc3, v92
	v_addc_co_u32_e32 v5, vcc, -1, v93, vcc
	v_cmp_gt_i64_e32 vcc, s[12:13], v[4:5]
	s_and_saveexec_b64 s[0:1], vcc
	s_cbranch_execz .LBB170_64
; %bb.63:                               ;   in Loop: Header=BB170_53 Depth=1
	v_add_co_u32_e32 v4, vcc, v80, v88
	v_addc_co_u32_e32 v5, vcc, v77, v89, vcc
	global_load_ushort v2, v[4:5], off
	v_add_co_u32_e32 v4, vcc, v82, v88
	v_addc_co_u32_e32 v5, vcc, v79, v89, vcc
	global_load_ushort v4, v[4:5], off
	s_waitcnt vmcnt(1)
	v_cvt_f32_f16_e32 v20, v2
	s_waitcnt vmcnt(0)
	v_cvt_f32_f16_e32 v12, v4
.LBB170_64:                             ;   in Loop: Header=BB170_53 Depth=1
	;; [unrolled: 18-line block ×7, first 2 shown]
	s_or_b64 exec, exec, s[0:1]
	s_waitcnt vmcnt(0)
	ds_bpermute_b32 v4, v90, v94
	ds_bpermute_b32 v5, v90, v94 offset:4
	v_pk_mul_f32 v[8:9], v[14:15], v[22:23]
	ds_bpermute_b32 v14, v90, v94 offset:8
	ds_bpermute_b32 v15, v90, v94 offset:12
	v_pk_mul_f32 v[10:11], v[10:11], v[18:19]
	s_waitcnt lgkmcnt(2)
	v_pk_mul_f32 v[4:5], v[10:11], v[4:5]
	ds_bpermute_b32 v10, v90, v94 offset:16
	ds_bpermute_b32 v11, v90, v94 offset:20
	v_pk_mul_f32 v[12:13], v[12:13], v[20:21]
	v_add_f32_e32 v2, v91, v4
	v_add_f32_e32 v2, v2, v5
	s_waitcnt lgkmcnt(2)
	v_pk_mul_f32 v[4:5], v[12:13], v[14:15]
	ds_bpermute_b32 v12, v90, v94 offset:24
	ds_bpermute_b32 v13, v90, v94 offset:28
	v_add_f32_e32 v2, v2, v4
	v_add_f32_e32 v2, v2, v5
	s_waitcnt lgkmcnt(2)
	v_pk_mul_f32 v[4:5], v[8:9], v[10:11]
	v_pk_mul_f32 v[6:7], v[16:17], v[24:25]
	v_add_f32_e32 v2, v2, v4
	v_add_f32_e32 v2, v2, v5
	s_waitcnt lgkmcnt(0)
	v_pk_mul_f32 v[4:5], v[6:7], v[12:13]
	v_add_f32_e32 v2, v2, v4
	v_add_f32_e32 v2, v2, v5
	s_branch .LBB170_81
.LBB170_75:                             ;   in Loop: Header=BB170_53 Depth=1
                                        ; implicit-def: $vgpr2
	s_cbranch_execz .LBB170_81
; %bb.76:                               ;   in Loop: Header=BB170_53 Depth=1
	s_load_dword s0, s[2:3], 0x0
	s_waitcnt lgkmcnt(0)
	s_cmp_lt_u32 s6, s0
	s_cselect_b32 s0, 12, 18
	s_add_u32 s0, s2, s0
	s_addc_u32 s1, s3, 0
	global_load_ushort v2, v3, s[0:1]
	s_waitcnt vmcnt(0)
	v_mad_u32_u24 v2, v85, v2, v87
	v_and_b32_e32 v4, 63, v2
	v_cmp_gt_u32_e32 vcc, 8, v4
	v_mov_b32_e32 v2, 0
	s_and_saveexec_b64 s[0:1], vcc
	s_cbranch_execz .LBB170_80
; %bb.77:                               ;   in Loop: Header=BB170_53 Depth=1
	v_add_co_u32_e32 v2, vcc, v92, v4
	v_addc_co_u32_e32 v5, vcc, 0, v93, vcc
	v_add_co_u32_e32 v4, vcc, 0xffffffc1, v2
	v_addc_co_u32_e32 v5, vcc, -1, v5, vcc
	v_cmp_gt_i64_e32 vcc, s[12:13], v[4:5]
	v_mov_b32_e32 v2, 0
	s_and_saveexec_b64 s[18:19], vcc
	s_cbranch_execz .LBB170_79
; %bb.78:                               ;   in Loop: Header=BB170_53 Depth=1
	v_lshlrev_b64 v[4:5], 2, v[4:5]
	v_mov_b32_e32 v2, s11
	v_add_co_u32_e32 v4, vcc, s10, v4
	v_addc_co_u32_e32 v5, vcc, v2, v5, vcc
	global_load_dword v2, v[4:5], off
.LBB170_79:                             ;   in Loop: Header=BB170_53 Depth=1
	s_or_b64 exec, exec, s[18:19]
.LBB170_80:                             ;   in Loop: Header=BB170_53 Depth=1
	s_or_b64 exec, exec, s[0:1]
	v_add_co_u32_e32 v4, vcc, v42, v88
	v_addc_co_u32_e32 v5, vcc, v1, v89, vcc
	global_load_ushort v6, v[4:5], off
	v_add_co_u32_e32 v4, vcc, v58, v88
	v_addc_co_u32_e32 v5, vcc, v27, v89, vcc
	global_load_ushort v7, v[4:5], off
	;; [unrolled: 3-line block ×16, first 2 shown]
	s_waitcnt vmcnt(16)
	ds_bpermute_b32 v21, v90, v2 offset:4
	s_waitcnt vmcnt(15)
	v_cvt_f32_f16_e32 v5, v6
	s_waitcnt vmcnt(14)
	v_cvt_f32_f16_e32 v6, v7
	v_mul_f32_e32 v5, v5, v6
	s_waitcnt vmcnt(13)
	v_cvt_f32_f16_e32 v7, v8
	s_waitcnt vmcnt(12)
	v_cvt_f32_f16_e32 v8, v9
	v_mul_f32_e32 v6, v7, v8
	;; [unrolled: 5-line block ×3, first 2 shown]
	s_waitcnt vmcnt(9)
	v_cvt_f32_f16_e32 v11, v12
	s_waitcnt vmcnt(8)
	v_cvt_f32_f16_e32 v12, v13
	;; [unrolled: 2-line block ×8, first 2 shown]
	ds_bpermute_b32 v19, v90, v2
	s_waitcnt vmcnt(1)
	v_cvt_f32_f16_e32 v20, v20
	s_waitcnt lgkmcnt(0)
	v_fmac_f32_e32 v91, v5, v19
	ds_bpermute_b32 v5, v90, v2 offset:8
	v_fmac_f32_e32 v91, v6, v21
	ds_bpermute_b32 v6, v90, v2 offset:12
	s_waitcnt vmcnt(0)
	v_cvt_f32_f16_e32 v4, v4
	s_waitcnt lgkmcnt(1)
	v_fmac_f32_e32 v91, v7, v5
	ds_bpermute_b32 v5, v90, v2 offset:16
	v_mul_f32_e32 v7, v11, v12
	s_waitcnt lgkmcnt(1)
	v_fmac_f32_e32 v91, v7, v6
	v_mul_f32_e32 v6, v13, v14
	ds_bpermute_b32 v7, v90, v2 offset:20
	s_waitcnt lgkmcnt(1)
	v_fmac_f32_e32 v91, v6, v5
	ds_bpermute_b32 v5, v90, v2 offset:24
	ds_bpermute_b32 v2, v90, v2 offset:28
	v_mul_f32_e32 v6, v15, v16
	s_waitcnt lgkmcnt(2)
	v_fmac_f32_e32 v91, v6, v7
	v_mul_f32_e32 v6, v17, v18
	s_waitcnt lgkmcnt(1)
	v_fmac_f32_e32 v91, v6, v5
	;; [unrolled: 3-line block ×3, first 2 shown]
	v_mov_b32_e32 v2, v91
.LBB170_81:                             ;   in Loop: Header=BB170_53 Depth=1
	s_add_u32 s28, s28, s7
	s_addc_u32 s29, s29, 0
	v_pk_mov_b32 v[4:5], s[12:13], s[12:13] op_sel:[0,1]
	v_cmp_ge_i64_e32 vcc, s[28:29], v[4:5]
	v_mov_b32_e32 v4, s25
	v_add_co_u32_e64 v28, s[0:1], s24, v28
	v_addc_co_u32_e64 v29, s[0:1], v29, v4, s[0:1]
	v_add_co_u32_e64 v30, s[0:1], s24, v30
	v_addc_co_u32_e64 v31, s[0:1], v31, v4, s[0:1]
	;; [unrolled: 2-line block ×29, first 2 shown]
	v_add_co_u32_e64 v86, s[0:1], s24, v86
	s_add_u32 s8, s8, s7
	v_addc_co_u32_e64 v83, s[0:1], v83, v4, s[0:1]
	s_addc_u32 s9, s9, 0
	s_cbranch_vccnz .LBB170_83
; %bb.82:                               ;   in Loop: Header=BB170_53 Depth=1
	v_mov_b32_e32 v91, v2
	s_branch .LBB170_53
.LBB170_83:
	v_bfe_u32 v1, v0, 10, 10
	v_and_b32_e32 v3, 0x3ff, v0
	s_movk_i32 s0, 0x41
	v_mad_u32_u24 v0, v1, s0, v3
	v_lshl_add_u32 v0, v0, 2, 0
	ds_write_b32 v0, v2
	v_mov_b32_e32 v2, 0
	ds_write_b32 v0, v2 offset:2080
	v_lshrrev_b32_e32 v0, 6, v3
	v_add_u32_e32 v2, v0, v1
	s_mov_b32 s7, 0
	v_cmp_gt_u32_e32 vcc, 64, v2
	s_waitcnt lgkmcnt(0)
	s_barrier
	s_and_saveexec_b64 s[0:1], vcc
	s_cbranch_execz .LBB170_90
; %bb.84:
	v_mbcnt_lo_u32_b32 v5, -1, 0
	v_mbcnt_hi_u32_b32 v6, -1, v5
	v_and_b32_e32 v4, 63, v3
	v_and_b32_e32 v5, 64, v6
	v_cmp_gt_u32_e32 vcc, 8, v4
	v_add_u32_e32 v7, 64, v5
	v_cmp_ne_u32_e64 s[0:1], 0, v3
	v_mul_u32_u24_e32 v3, 0x104, v4
	v_xor_b32_e32 v4, 4, v6
	v_cmp_lt_i32_e64 s[2:3], v4, v7
	v_xor_b32_e32 v5, 2, v6
	v_cndmask_b32_e64 v4, v6, v4, s[2:3]
	v_cmp_lt_i32_e64 s[2:3], v5, v7
	v_xor_b32_e32 v8, 1, v6
	v_cndmask_b32_e64 v5, v6, v5, s[2:3]
	v_cmp_lt_i32_e64 s[2:3], v8, v7
	s_load_dwordx2 s[10:11], s[4:5], 0x30
	v_cndmask_b32_e64 v6, v6, v8, s[2:3]
	v_add_co_u32_e64 v0, s[2:3], v0, v1
	s_lshl_b64 s[4:5], s[6:7], 6
	v_lshlrev_b32_e32 v2, 2, v2
	v_addc_co_u32_e64 v1, s[2:3], 0, 0, s[2:3]
	v_add3_u32 v7, v3, v2, 0
	v_mov_b32_e32 v3, s5
	v_add_co_u32_e64 v2, s[2:3], s4, v0
	v_addc_co_u32_e64 v3, s[2:3], v1, v3, s[2:3]
	v_lshlrev_b64 v[2:3], 1, v[2:3]
	s_waitcnt lgkmcnt(0)
	s_cmp_eq_u64 s[10:11], 0
	v_mov_b32_e32 v8, s11
	v_add_co_u32_e64 v2, s[2:3], s10, v2
	s_mov_b64 s[6:7], 0
	s_cselect_b64 s[8:9], -1, 0
	v_lshlrev_b32_e32 v4, 2, v4
	v_lshlrev_b32_e32 v5, 2, v5
	;; [unrolled: 1-line block ×3, first 2 shown]
	v_addc_co_u32_e64 v3, s[2:3], v8, v3, s[2:3]
	v_mov_b32_e32 v8, s5
                                        ; implicit-def: $vgpr9
	s_branch .LBB170_86
.LBB170_85:                             ;   in Loop: Header=BB170_86 Depth=1
	s_or_b64 exec, exec, s[2:3]
	v_add_co_u32_e64 v0, s[2:3], 8, v0
	v_addc_co_u32_e64 v1, s[2:3], 0, v1, s[2:3]
	v_add_u32_e32 v10, -8, v0
	v_cmp_lt_u32_e64 s[2:3], 55, v10
	s_or_b64 s[6:7], s[2:3], s[6:7]
	v_add_co_u32_e64 v2, s[2:3], 16, v2
	v_add_u32_e32 v7, 32, v7
	v_addc_co_u32_e64 v3, s[2:3], 0, v3, s[2:3]
	s_andn2_b64 exec, exec, s[6:7]
	s_cbranch_execz .LBB170_90
.LBB170_86:                             ; =>This Inner Loop Header: Depth=1
	s_and_saveexec_b64 s[2:3], vcc
	s_cbranch_execz .LBB170_88
; %bb.87:                               ;   in Loop: Header=BB170_86 Depth=1
	ds_read_b32 v9, v7
.LBB170_88:                             ;   in Loop: Header=BB170_86 Depth=1
	s_or_b64 exec, exec, s[2:3]
	s_waitcnt lgkmcnt(0)
	ds_bpermute_b32 v10, v4, v9
	s_waitcnt lgkmcnt(0)
	v_add_f32_e32 v9, v9, v10
	ds_bpermute_b32 v10, v5, v9
	s_waitcnt lgkmcnt(0)
	v_add_f32_e32 v9, v9, v10
	ds_bpermute_b32 v12, v6, v9
	v_add_co_u32_e64 v10, s[2:3], s4, v0
	v_addc_co_u32_e64 v11, s[2:3], v8, v1, s[2:3]
	v_cmp_le_i64_e64 s[2:3], s[14:15], v[10:11]
	s_or_b64 s[2:3], s[0:1], s[2:3]
	s_or_b64 s[2:3], s[8:9], s[2:3]
	s_waitcnt lgkmcnt(0)
	v_add_f32_e32 v9, v9, v12
	s_xor_b64 s[10:11], s[2:3], -1
	s_and_saveexec_b64 s[2:3], s[10:11]
	s_cbranch_execz .LBB170_85
; %bb.89:                               ;   in Loop: Header=BB170_86 Depth=1
	v_cvt_f16_f32_e32 v10, v9
	global_store_short v[2:3], v10, off
	s_branch .LBB170_85
.LBB170_90:
	s_endpgm
	.section	.rodata,"a",@progbits
	.p2align	6, 0x0
	.amdhsa_kernel _ZN2at6native12_GLOBAL__N_135GammaBetaBackwardCUDAKernelTemplateIN3c104HalfEfLj64ELj8ELj64ELb0ELb0ELb1EEEvllPKT_S7_PKT0_SA_PS5_SB_
		.amdhsa_group_segment_fixed_size 0
		.amdhsa_private_segment_fixed_size 0
		.amdhsa_kernarg_size 320
		.amdhsa_user_sgpr_count 6
		.amdhsa_user_sgpr_private_segment_buffer 1
		.amdhsa_user_sgpr_dispatch_ptr 0
		.amdhsa_user_sgpr_queue_ptr 0
		.amdhsa_user_sgpr_kernarg_segment_ptr 1
		.amdhsa_user_sgpr_dispatch_id 0
		.amdhsa_user_sgpr_flat_scratch_init 0
		.amdhsa_user_sgpr_kernarg_preload_length 0
		.amdhsa_user_sgpr_kernarg_preload_offset 0
		.amdhsa_user_sgpr_private_segment_size 0
		.amdhsa_uses_dynamic_stack 0
		.amdhsa_system_sgpr_private_segment_wavefront_offset 0
		.amdhsa_system_sgpr_workgroup_id_x 1
		.amdhsa_system_sgpr_workgroup_id_y 1
		.amdhsa_system_sgpr_workgroup_id_z 0
		.amdhsa_system_sgpr_workgroup_info 0
		.amdhsa_system_vgpr_workitem_id 1
		.amdhsa_next_free_vgpr 95
		.amdhsa_next_free_sgpr 42
		.amdhsa_accum_offset 96
		.amdhsa_reserve_vcc 1
		.amdhsa_reserve_flat_scratch 0
		.amdhsa_float_round_mode_32 0
		.amdhsa_float_round_mode_16_64 0
		.amdhsa_float_denorm_mode_32 3
		.amdhsa_float_denorm_mode_16_64 3
		.amdhsa_dx10_clamp 1
		.amdhsa_ieee_mode 1
		.amdhsa_fp16_overflow 0
		.amdhsa_tg_split 0
		.amdhsa_exception_fp_ieee_invalid_op 0
		.amdhsa_exception_fp_denorm_src 0
		.amdhsa_exception_fp_ieee_div_zero 0
		.amdhsa_exception_fp_ieee_overflow 0
		.amdhsa_exception_fp_ieee_underflow 0
		.amdhsa_exception_fp_ieee_inexact 0
		.amdhsa_exception_int_div_zero 0
	.end_amdhsa_kernel
	.section	.text._ZN2at6native12_GLOBAL__N_135GammaBetaBackwardCUDAKernelTemplateIN3c104HalfEfLj64ELj8ELj64ELb0ELb0ELb1EEEvllPKT_S7_PKT0_SA_PS5_SB_,"axG",@progbits,_ZN2at6native12_GLOBAL__N_135GammaBetaBackwardCUDAKernelTemplateIN3c104HalfEfLj64ELj8ELj64ELb0ELb0ELb1EEEvllPKT_S7_PKT0_SA_PS5_SB_,comdat
.Lfunc_end170:
	.size	_ZN2at6native12_GLOBAL__N_135GammaBetaBackwardCUDAKernelTemplateIN3c104HalfEfLj64ELj8ELj64ELb0ELb0ELb1EEEvllPKT_S7_PKT0_SA_PS5_SB_, .Lfunc_end170-_ZN2at6native12_GLOBAL__N_135GammaBetaBackwardCUDAKernelTemplateIN3c104HalfEfLj64ELj8ELj64ELb0ELb0ELb1EEEvllPKT_S7_PKT0_SA_PS5_SB_
                                        ; -- End function
	.section	.AMDGPU.csdata,"",@progbits
; Kernel info:
; codeLenInByte = 7124
; NumSgprs: 46
; NumVgprs: 95
; NumAgprs: 0
; TotalNumVgprs: 95
; ScratchSize: 0
; MemoryBound: 0
; FloatMode: 240
; IeeeMode: 1
; LDSByteSize: 0 bytes/workgroup (compile time only)
; SGPRBlocks: 5
; VGPRBlocks: 11
; NumSGPRsForWavesPerEU: 46
; NumVGPRsForWavesPerEU: 95
; AccumOffset: 96
; Occupancy: 5
; WaveLimiterHint : 0
; COMPUTE_PGM_RSRC2:SCRATCH_EN: 0
; COMPUTE_PGM_RSRC2:USER_SGPR: 6
; COMPUTE_PGM_RSRC2:TRAP_HANDLER: 0
; COMPUTE_PGM_RSRC2:TGID_X_EN: 1
; COMPUTE_PGM_RSRC2:TGID_Y_EN: 1
; COMPUTE_PGM_RSRC2:TGID_Z_EN: 0
; COMPUTE_PGM_RSRC2:TIDIG_COMP_CNT: 1
; COMPUTE_PGM_RSRC3_GFX90A:ACCUM_OFFSET: 23
; COMPUTE_PGM_RSRC3_GFX90A:TG_SPLIT: 0
	.section	.text._ZN2at6native12_GLOBAL__N_135GammaBetaBackwardCUDAKernelTemplateIN3c104HalfEfLj64ELj16ELj128ELb0ELb1ELb1EEEvllPKT_S7_PKT0_SA_PS5_SB_,"axG",@progbits,_ZN2at6native12_GLOBAL__N_135GammaBetaBackwardCUDAKernelTemplateIN3c104HalfEfLj64ELj16ELj128ELb0ELb1ELb1EEEvllPKT_S7_PKT0_SA_PS5_SB_,comdat
	.globl	_ZN2at6native12_GLOBAL__N_135GammaBetaBackwardCUDAKernelTemplateIN3c104HalfEfLj64ELj16ELj128ELb0ELb1ELb1EEEvllPKT_S7_PKT0_SA_PS5_SB_ ; -- Begin function _ZN2at6native12_GLOBAL__N_135GammaBetaBackwardCUDAKernelTemplateIN3c104HalfEfLj64ELj16ELj128ELb0ELb1ELb1EEEvllPKT_S7_PKT0_SA_PS5_SB_
	.p2align	8
	.type	_ZN2at6native12_GLOBAL__N_135GammaBetaBackwardCUDAKernelTemplateIN3c104HalfEfLj64ELj16ELj128ELb0ELb1ELb1EEEvllPKT_S7_PKT0_SA_PS5_SB_,@function
_ZN2at6native12_GLOBAL__N_135GammaBetaBackwardCUDAKernelTemplateIN3c104HalfEfLj64ELj16ELj128ELb0ELb1ELb1EEEvllPKT_S7_PKT0_SA_PS5_SB_: ; @_ZN2at6native12_GLOBAL__N_135GammaBetaBackwardCUDAKernelTemplateIN3c104HalfEfLj64ELj16ELj128ELb0ELb1ELb1EEEvllPKT_S7_PKT0_SA_PS5_SB_
; %bb.0:
	s_load_dwordx4 s[8:11], s[4:5], 0x0
	s_lshl_b32 s16, s7, 7
	s_mov_b32 s17, 0
	v_bfe_u32 v11, v0, 10, 10
	s_waitcnt lgkmcnt(0)
	v_pk_mov_b32 v[2:3], s[8:9], s[8:9] op_sel:[0,1]
	v_cmp_lt_i64_e32 vcc, s[16:17], v[2:3]
	s_cbranch_vccnz .LBB171_2
; %bb.1:
	s_mov_b64 s[0:1], 0
	v_bfe_u32 v5, v0, 10, 10
	s_branch .LBB171_3
.LBB171_2:
	s_mov_b64 s[0:1], -1
                                        ; implicit-def: $vgpr5
.LBB171_3:
	s_load_dwordx2 s[2:3], s[4:5], 0x30
	v_and_b32_e32 v6, 0x3ff, v0
	s_andn2_b64 vcc, exec, s[0:1]
	v_mov_b32_e32 v1, s17
	v_mbcnt_lo_u32_b32 v10, -1, 0
	s_cbranch_vccnz .LBB171_11
; %bb.4:
	s_load_dword s0, s[4:5], 0x4c
	s_load_dword s7, s[4:5], 0x44
	s_load_dwordx4 s[12:15], s[4:5], 0x10
	s_load_dwordx2 s[18:19], s[4:5], 0x28
	v_mbcnt_hi_u32_b32 v4, -1, v10
	v_lshlrev_b32_e32 v2, 3, v11
	s_waitcnt lgkmcnt(0)
	s_and_b32 s0, s0, 0xffff
	v_lshlrev_b32_e32 v4, 2, v4
	v_mad_u32_u24 v0, v11, s0, v6
	v_and_b32_e32 v12, 0x100, v4
	v_mov_b32_e32 v4, s17
	v_add_co_u32_e32 v7, vcc, s16, v2
	v_and_b32_e32 v3, 63, v0
	v_addc_co_u32_e32 v8, vcc, 0, v4, vcc
	v_add_co_u32_e32 v2, vcc, v7, v3
	v_cmp_gt_u32_e64 s[0:1], 8, v3
	v_addc_co_u32_e32 v3, vcc, 0, v8, vcc
	v_lshlrev_b64 v[4:5], 2, v[2:3]
	v_mov_b32_e32 v9, s19
	v_add_co_u32_e32 v4, vcc, s18, v4
	s_lshl_b32 s4, s7, 7
	v_addc_co_u32_e32 v5, vcc, v9, v5, vcc
	v_mul_lo_u32 v20, s11, v7
	v_mul_lo_u32 v21, s10, v8
	v_mad_u64_u32 v[8:9], s[20:21], s10, v7, 0
	v_mov_b32_e32 v1, 0
	v_lshl_add_u32 v0, s6, 6, v6
	v_add3_u32 v9, v9, v21, v20
	s_mul_i32 s7, s11, s4
	s_mul_hi_u32 s20, s10, s4
	s_mov_b32 s5, 0
	v_lshlrev_b64 v[8:9], 1, v[8:9]
	v_lshlrev_b64 v[20:21], 1, v[0:1]
	s_add_i32 s21, s20, s7
	s_mul_i32 s20, s10, s4
	s_lshl_b64 s[18:19], s[4:5], 2
	v_add_co_u32_e32 v0, vcc, v8, v20
	s_lshl_b64 s[20:21], s[20:21], 1
	s_lshl_b64 s[10:11], s[10:11], 1
	v_or_b32_e32 v13, 4, v12
	v_or_b32_e32 v14, 8, v12
	;; [unrolled: 1-line block ×7, first 2 shown]
	v_addc_co_u32_e32 v7, vcc, v9, v21, vcc
	v_mov_b32_e32 v20, s13
	v_mov_b32_e32 v21, s15
	;; [unrolled: 1-line block ×6, first 2 shown]
	v_pk_mov_b32 v[8:9], s[8:9], s[8:9] op_sel:[0,1]
	s_branch .LBB171_7
.LBB171_5:                              ;   in Loop: Header=BB171_7 Depth=1
	s_or_b64 exec, exec, s[24:25]
.LBB171_6:                              ;   in Loop: Header=BB171_7 Depth=1
	s_or_b64 exec, exec, s[22:23]
	v_add_co_u32_e32 v28, vcc, s12, v0
	v_addc_co_u32_e32 v29, vcc, v20, v7, vcc
	v_add_co_u32_e32 v30, vcc, s14, v0
	v_addc_co_u32_e32 v31, vcc, v21, v7, vcc
	global_load_ushort v27, v[28:29], off
	v_add_co_u32_e32 v28, vcc, s10, v28
	v_addc_co_u32_e32 v29, vcc, v29, v22, vcc
	global_load_ushort v32, v[30:31], off
	;; [unrolled: 3-line block ×11, first 2 shown]
	global_load_ushort v42, v[30:31], off
	v_add_co_u32_e32 v28, vcc, s10, v28
	v_addc_co_u32_e32 v29, vcc, v29, v22, vcc
	v_add_co_u32_e32 v30, vcc, s10, v30
	v_addc_co_u32_e32 v31, vcc, v31, v22, vcc
	global_load_ushort v44, v[30:31], off
	global_load_ushort v43, v[28:29], off
	v_add_co_u32_e32 v28, vcc, s10, v28
	v_addc_co_u32_e32 v29, vcc, v29, v22, vcc
	global_load_ushort v45, v[28:29], off
	v_add_co_u32_e32 v28, vcc, s10, v30
	v_addc_co_u32_e32 v29, vcc, v31, v22, vcc
	;; [unrolled: 3-line block ×3, first 2 shown]
	v_add_co_u32_e32 v2, vcc, s4, v2
	v_addc_co_u32_e32 v3, vcc, v3, v24, vcc
	s_waitcnt vmcnt(15)
	v_cvt_f32_f16_e32 v27, v27
	s_add_u32 s16, s16, s4
	v_add_co_u32_e32 v0, vcc, s20, v0
	s_addc_u32 s17, s17, 0
	s_waitcnt vmcnt(14)
	v_cvt_f32_f16_e32 v29, v32
	v_addc_co_u32_e32 v7, vcc, v7, v25, vcc
	v_cmp_lt_i64_e32 vcc, s[16:17], v[8:9]
	v_mul_f32_e32 v27, v27, v29
	s_waitcnt vmcnt(13)
	v_cvt_f32_f16_e32 v30, v33
	s_and_b64 vcc, exec, vcc
	s_waitcnt vmcnt(12)
	v_cvt_f32_f16_e32 v31, v34
	v_mul_f32_e32 v29, v30, v31
	s_waitcnt vmcnt(11)
	v_cvt_f32_f16_e32 v32, v35
	s_waitcnt vmcnt(10)
	v_cvt_f32_f16_e32 v33, v36
	v_mul_f32_e32 v30, v32, v33
	s_waitcnt vmcnt(9)
	v_cvt_f32_f16_e32 v34, v37
	s_waitcnt vmcnt(8)
	v_cvt_f32_f16_e32 v35, v38
	;; [unrolled: 2-line block ×6, first 2 shown]
	ds_bpermute_b32 v42, v12, v26
	s_waitcnt lgkmcnt(0)
	v_fmac_f32_e32 v1, v27, v42
	ds_bpermute_b32 v27, v14, v26
	s_waitcnt vmcnt(3)
	v_cvt_f32_f16_e32 v41, v44
	ds_bpermute_b32 v44, v13, v26
	s_waitcnt vmcnt(2)
	v_cvt_f32_f16_e32 v40, v43
	s_waitcnt lgkmcnt(0)
	v_fmac_f32_e32 v1, v29, v44
	ds_bpermute_b32 v29, v15, v26
	v_fmac_f32_e32 v1, v30, v27
	ds_bpermute_b32 v27, v16, v26
	v_mul_f32_e32 v30, v34, v35
	s_waitcnt vmcnt(1)
	v_cvt_f32_f16_e32 v43, v45
	s_waitcnt lgkmcnt(1)
	v_fmac_f32_e32 v1, v30, v29
	v_mul_f32_e32 v29, v36, v37
	ds_bpermute_b32 v30, v17, v26
	s_waitcnt lgkmcnt(1)
	v_fmac_f32_e32 v1, v29, v27
	ds_bpermute_b32 v27, v18, v26
	s_waitcnt vmcnt(0)
	v_cvt_f32_f16_e32 v28, v28
	ds_bpermute_b32 v26, v19, v26
	v_mul_f32_e32 v29, v38, v39
	s_waitcnt lgkmcnt(2)
	v_fmac_f32_e32 v1, v29, v30
	v_mul_f32_e32 v29, v40, v41
	s_waitcnt lgkmcnt(1)
	v_fmac_f32_e32 v1, v29, v27
	;; [unrolled: 3-line block ×3, first 2 shown]
	s_cbranch_vccz .LBB171_10
.LBB171_7:                              ; =>This Inner Loop Header: Depth=1
	v_mov_b32_e32 v26, 0
	s_and_saveexec_b64 s[22:23], s[0:1]
	s_cbranch_execz .LBB171_6
; %bb.8:                                ;   in Loop: Header=BB171_7 Depth=1
	v_cmp_gt_i64_e32 vcc, s[8:9], v[2:3]
	v_mov_b32_e32 v26, 0
	s_and_saveexec_b64 s[24:25], vcc
	s_cbranch_execz .LBB171_5
; %bb.9:                                ;   in Loop: Header=BB171_7 Depth=1
	global_load_dword v26, v[4:5], off
	s_branch .LBB171_5
.LBB171_10:
	v_mov_b32_e32 v5, v11
.LBB171_11:
	s_movk_i32 s0, 0x41
	v_mad_u32_u24 v0, v5, s0, v6
	v_lshl_add_u32 v0, v0, 2, 0
	ds_write_b32 v0, v1
	v_mov_b32_e32 v1, 0
	ds_write_b32 v0, v1 offset:4160
	v_lshrrev_b32_e32 v0, 6, v6
	v_add_u32_e32 v1, v0, v5
	s_mov_b32 s7, 0
	v_cmp_gt_u32_e32 vcc, 64, v1
	s_waitcnt lgkmcnt(0)
	s_barrier
	s_and_saveexec_b64 s[0:1], vcc
	s_cbranch_execz .LBB171_18
; %bb.12:
	v_mbcnt_hi_u32_b32 v7, -1, v10
	v_and_b32_e32 v2, 63, v6
	v_and_b32_e32 v3, 64, v7
	s_cmp_lg_u64 s[2:3], 0
	v_cmp_gt_u32_e32 vcc, 16, v2
	v_add_u32_e32 v8, 64, v3
	v_cmp_eq_u32_e64 s[0:1], 0, v6
	s_cselect_b64 s[8:9], -1, 0
	v_mul_u32_u24_e32 v9, 0x104, v2
	v_xor_b32_e32 v2, 8, v7
	s_and_b64 s[8:9], s[0:1], s[8:9]
	v_cmp_lt_i32_e64 s[0:1], v2, v8
	v_xor_b32_e32 v3, 4, v7
	v_cndmask_b32_e64 v2, v7, v2, s[0:1]
	v_cmp_lt_i32_e64 s[0:1], v3, v8
	v_xor_b32_e32 v4, 2, v7
	v_cndmask_b32_e64 v3, v7, v3, s[0:1]
	;; [unrolled: 3-line block ×3, first 2 shown]
	v_cmp_lt_i32_e64 s[0:1], v6, v8
	v_cndmask_b32_e64 v6, v7, v6, s[0:1]
	v_add_co_u32_e64 v0, s[0:1], v0, v5
	s_lshl_b64 s[6:7], s[6:7], 7
	v_lshlrev_b32_e32 v7, 2, v1
	v_add_u32_e32 v8, -16, v1
	v_addc_co_u32_e64 v1, s[0:1], 0, 0, s[0:1]
	s_add_u32 s0, s2, s6
	v_lshlrev_b64 v[0:1], 1, v[0:1]
	s_addc_u32 s1, s3, s7
	v_mov_b32_e32 v5, s1
	v_add_co_u32_e64 v0, s[0:1], s0, v0
	s_mov_b64 s[4:5], 0
	v_lshlrev_b32_e32 v2, 2, v2
	v_lshlrev_b32_e32 v3, 2, v3
	;; [unrolled: 1-line block ×4, first 2 shown]
	v_add3_u32 v7, v9, v7, 0
	v_addc_co_u32_e64 v1, s[0:1], v5, v1, s[0:1]
                                        ; implicit-def: $vgpr5
	s_branch .LBB171_14
.LBB171_13:                             ;   in Loop: Header=BB171_14 Depth=1
	s_or_b64 exec, exec, s[0:1]
	v_add_u32_e32 v8, 16, v8
	v_cmp_lt_u32_e64 s[0:1], 47, v8
	s_or_b64 s[4:5], s[0:1], s[4:5]
	v_add_co_u32_e64 v0, s[0:1], 32, v0
	v_add_u32_e32 v7, 64, v7
	v_addc_co_u32_e64 v1, s[0:1], 0, v1, s[0:1]
	s_andn2_b64 exec, exec, s[4:5]
	s_cbranch_execz .LBB171_18
.LBB171_14:                             ; =>This Inner Loop Header: Depth=1
	s_and_saveexec_b64 s[0:1], vcc
	s_cbranch_execz .LBB171_16
; %bb.15:                               ;   in Loop: Header=BB171_14 Depth=1
	ds_read_b32 v5, v7
.LBB171_16:                             ;   in Loop: Header=BB171_14 Depth=1
	s_or_b64 exec, exec, s[0:1]
	s_waitcnt lgkmcnt(0)
	ds_bpermute_b32 v9, v2, v5
	s_waitcnt lgkmcnt(0)
	v_add_f32_e32 v5, v5, v9
	ds_bpermute_b32 v9, v3, v5
	s_waitcnt lgkmcnt(0)
	v_add_f32_e32 v5, v5, v9
	;; [unrolled: 3-line block ×4, first 2 shown]
	s_and_saveexec_b64 s[0:1], s[8:9]
	s_cbranch_execz .LBB171_13
; %bb.17:                               ;   in Loop: Header=BB171_14 Depth=1
	v_cvt_f16_f32_e32 v9, v5
	global_store_short v[0:1], v9, off
	s_branch .LBB171_13
.LBB171_18:
	s_endpgm
	.section	.rodata,"a",@progbits
	.p2align	6, 0x0
	.amdhsa_kernel _ZN2at6native12_GLOBAL__N_135GammaBetaBackwardCUDAKernelTemplateIN3c104HalfEfLj64ELj16ELj128ELb0ELb1ELb1EEEvllPKT_S7_PKT0_SA_PS5_SB_
		.amdhsa_group_segment_fixed_size 0
		.amdhsa_private_segment_fixed_size 0
		.amdhsa_kernarg_size 320
		.amdhsa_user_sgpr_count 6
		.amdhsa_user_sgpr_private_segment_buffer 1
		.amdhsa_user_sgpr_dispatch_ptr 0
		.amdhsa_user_sgpr_queue_ptr 0
		.amdhsa_user_sgpr_kernarg_segment_ptr 1
		.amdhsa_user_sgpr_dispatch_id 0
		.amdhsa_user_sgpr_flat_scratch_init 0
		.amdhsa_user_sgpr_kernarg_preload_length 0
		.amdhsa_user_sgpr_kernarg_preload_offset 0
		.amdhsa_user_sgpr_private_segment_size 0
		.amdhsa_uses_dynamic_stack 0
		.amdhsa_system_sgpr_private_segment_wavefront_offset 0
		.amdhsa_system_sgpr_workgroup_id_x 1
		.amdhsa_system_sgpr_workgroup_id_y 1
		.amdhsa_system_sgpr_workgroup_id_z 0
		.amdhsa_system_sgpr_workgroup_info 0
		.amdhsa_system_vgpr_workitem_id 1
		.amdhsa_next_free_vgpr 46
		.amdhsa_next_free_sgpr 26
		.amdhsa_accum_offset 48
		.amdhsa_reserve_vcc 1
		.amdhsa_reserve_flat_scratch 0
		.amdhsa_float_round_mode_32 0
		.amdhsa_float_round_mode_16_64 0
		.amdhsa_float_denorm_mode_32 3
		.amdhsa_float_denorm_mode_16_64 3
		.amdhsa_dx10_clamp 1
		.amdhsa_ieee_mode 1
		.amdhsa_fp16_overflow 0
		.amdhsa_tg_split 0
		.amdhsa_exception_fp_ieee_invalid_op 0
		.amdhsa_exception_fp_denorm_src 0
		.amdhsa_exception_fp_ieee_div_zero 0
		.amdhsa_exception_fp_ieee_overflow 0
		.amdhsa_exception_fp_ieee_underflow 0
		.amdhsa_exception_fp_ieee_inexact 0
		.amdhsa_exception_int_div_zero 0
	.end_amdhsa_kernel
	.section	.text._ZN2at6native12_GLOBAL__N_135GammaBetaBackwardCUDAKernelTemplateIN3c104HalfEfLj64ELj16ELj128ELb0ELb1ELb1EEEvllPKT_S7_PKT0_SA_PS5_SB_,"axG",@progbits,_ZN2at6native12_GLOBAL__N_135GammaBetaBackwardCUDAKernelTemplateIN3c104HalfEfLj64ELj16ELj128ELb0ELb1ELb1EEEvllPKT_S7_PKT0_SA_PS5_SB_,comdat
.Lfunc_end171:
	.size	_ZN2at6native12_GLOBAL__N_135GammaBetaBackwardCUDAKernelTemplateIN3c104HalfEfLj64ELj16ELj128ELb0ELb1ELb1EEEvllPKT_S7_PKT0_SA_PS5_SB_, .Lfunc_end171-_ZN2at6native12_GLOBAL__N_135GammaBetaBackwardCUDAKernelTemplateIN3c104HalfEfLj64ELj16ELj128ELb0ELb1ELb1EEEvllPKT_S7_PKT0_SA_PS5_SB_
                                        ; -- End function
	.section	.AMDGPU.csdata,"",@progbits
; Kernel info:
; codeLenInByte = 1496
; NumSgprs: 30
; NumVgprs: 46
; NumAgprs: 0
; TotalNumVgprs: 46
; ScratchSize: 0
; MemoryBound: 0
; FloatMode: 240
; IeeeMode: 1
; LDSByteSize: 0 bytes/workgroup (compile time only)
; SGPRBlocks: 3
; VGPRBlocks: 5
; NumSGPRsForWavesPerEU: 30
; NumVGPRsForWavesPerEU: 46
; AccumOffset: 48
; Occupancy: 8
; WaveLimiterHint : 0
; COMPUTE_PGM_RSRC2:SCRATCH_EN: 0
; COMPUTE_PGM_RSRC2:USER_SGPR: 6
; COMPUTE_PGM_RSRC2:TRAP_HANDLER: 0
; COMPUTE_PGM_RSRC2:TGID_X_EN: 1
; COMPUTE_PGM_RSRC2:TGID_Y_EN: 1
; COMPUTE_PGM_RSRC2:TGID_Z_EN: 0
; COMPUTE_PGM_RSRC2:TIDIG_COMP_CNT: 1
; COMPUTE_PGM_RSRC3_GFX90A:ACCUM_OFFSET: 11
; COMPUTE_PGM_RSRC3_GFX90A:TG_SPLIT: 0
	.section	.text._ZN2at6native12_GLOBAL__N_135GammaBetaBackwardCUDAKernelTemplateIN3c104HalfEfLj64ELj16ELj128ELb0ELb0ELb1EEEvllPKT_S7_PKT0_SA_PS5_SB_,"axG",@progbits,_ZN2at6native12_GLOBAL__N_135GammaBetaBackwardCUDAKernelTemplateIN3c104HalfEfLj64ELj16ELj128ELb0ELb0ELb1EEEvllPKT_S7_PKT0_SA_PS5_SB_,comdat
	.globl	_ZN2at6native12_GLOBAL__N_135GammaBetaBackwardCUDAKernelTemplateIN3c104HalfEfLj64ELj16ELj128ELb0ELb0ELb1EEEvllPKT_S7_PKT0_SA_PS5_SB_ ; -- Begin function _ZN2at6native12_GLOBAL__N_135GammaBetaBackwardCUDAKernelTemplateIN3c104HalfEfLj64ELj16ELj128ELb0ELb0ELb1EEEvllPKT_S7_PKT0_SA_PS5_SB_
	.p2align	8
	.type	_ZN2at6native12_GLOBAL__N_135GammaBetaBackwardCUDAKernelTemplateIN3c104HalfEfLj64ELj16ELj128ELb0ELb0ELb1EEEvllPKT_S7_PKT0_SA_PS5_SB_,@function
_ZN2at6native12_GLOBAL__N_135GammaBetaBackwardCUDAKernelTemplateIN3c104HalfEfLj64ELj16ELj128ELb0ELb0ELb1EEEvllPKT_S7_PKT0_SA_PS5_SB_: ; @_ZN2at6native12_GLOBAL__N_135GammaBetaBackwardCUDAKernelTemplateIN3c104HalfEfLj64ELj16ELj128ELb0ELb0ELb1EEEvllPKT_S7_PKT0_SA_PS5_SB_
; %bb.0:
	s_load_dwordx8 s[12:19], s[4:5], 0x0
	s_load_dwordx2 s[10:11], s[4:5], 0x28
	s_lshl_b32 s33, s6, 6
	s_or_b32 s28, s33, 63
	s_mov_b32 s29, 0
	s_waitcnt lgkmcnt(0)
	v_pk_mov_b32 v[2:3], s[14:15], s[14:15] op_sel:[0,1]
	v_cmp_ge_i64_e32 vcc, s[28:29], v[2:3]
	s_lshl_b32 s28, s7, 7
	v_pk_mov_b32 v[2:3], s[12:13], s[12:13] op_sel:[0,1]
	v_cmp_lt_i64_e64 s[0:1], s[28:29], v[2:3]
	v_cndmask_b32_e64 v1, 0, 1, s[0:1]
	v_cmp_ne_u32_e64 s[0:1], 1, v1
	s_cbranch_vccz .LBB172_49
; %bb.1:
	s_and_b64 vcc, exec, s[0:1]
	v_mov_b32_e32 v2, 0
	s_cbranch_vccnz .LBB172_50
; %bb.2:
	v_and_b32_e32 v59, 0x3ff, v0
	v_bfe_u32 v61, v0, 10, 10
	v_add_u32_e32 v2, s33, v59
	v_mov_b32_e32 v3, 0
	v_lshlrev_b32_e32 v26, 3, v61
	v_cmp_gt_i64_e64 s[2:3], s[14:15], v[2:3]
	v_lshlrev_b64 v[28:29], 1, v[2:3]
	v_mov_b32_e32 v1, s29
	v_add_co_u32_e32 v2, vcc, s28, v26
	v_addc_co_u32_e32 v6, vcc, 0, v1, vcc
	v_add_co_u32_e32 v1, vcc, 7, v2
	v_addc_co_u32_e32 v4, vcc, 0, v6, vcc
	v_mul_lo_u32 v7, s15, v1
	v_mul_lo_u32 v8, s14, v4
	v_mad_u64_u32 v[4:5], s[8:9], s14, v1, 0
	s_load_dword s7, s[4:5], 0x44
	v_add3_u32 v5, v5, v8, v7
	v_lshlrev_b64 v[4:5], 1, v[4:5]
	v_mov_b32_e32 v7, s17
	v_add_co_u32_e32 v30, vcc, s16, v4
	v_addc_co_u32_e32 v1, vcc, v7, v5, vcc
	s_add_u32 s30, s4, 64
	v_mov_b32_e32 v8, s19
	v_add_co_u32_e32 v32, vcc, s18, v4
	s_addc_u32 s31, s5, 0
	s_waitcnt lgkmcnt(0)
	s_lshl_b32 s7, s7, 7
	v_addc_co_u32_e32 v27, vcc, v8, v5, vcc
	s_mul_i32 s8, s15, s7
	s_mul_hi_u32 s9, s14, s7
	v_add_co_u32_e32 v4, vcc, 6, v2
	s_add_i32 s9, s9, s8
	s_mul_i32 s8, s14, s7
	v_addc_co_u32_e32 v5, vcc, 0, v6, vcc
	s_lshl_b64 s[34:35], s[8:9], 1
	v_mul_lo_u32 v9, s15, v4
	v_mul_lo_u32 v10, s14, v5
	v_mad_u64_u32 v[4:5], s[8:9], s14, v4, 0
	v_add3_u32 v5, v5, v10, v9
	v_lshlrev_b64 v[4:5], 1, v[4:5]
	v_add_co_u32_e32 v34, vcc, s16, v4
	v_addc_co_u32_e32 v31, vcc, v7, v5, vcc
	v_add_co_u32_e32 v36, vcc, s18, v4
	v_addc_co_u32_e32 v33, vcc, v8, v5, vcc
	v_add_co_u32_e32 v4, vcc, 5, v2
	v_addc_co_u32_e32 v5, vcc, 0, v6, vcc
	v_mul_lo_u32 v9, s15, v4
	v_mul_lo_u32 v10, s14, v5
	v_mad_u64_u32 v[4:5], s[8:9], s14, v4, 0
	v_add3_u32 v5, v5, v10, v9
	v_lshlrev_b64 v[4:5], 1, v[4:5]
	v_add_co_u32_e32 v38, vcc, s16, v4
	v_addc_co_u32_e32 v35, vcc, v7, v5, vcc
	v_add_co_u32_e32 v40, vcc, s18, v4
	v_addc_co_u32_e32 v37, vcc, v8, v5, vcc
	v_add_co_u32_e32 v4, vcc, 4, v2
	v_addc_co_u32_e32 v5, vcc, 0, v6, vcc
	;; [unrolled: 11-line block ×4, first 2 shown]
	v_mul_lo_u32 v9, s15, v4
	v_mul_lo_u32 v10, s14, v5
	v_mad_u64_u32 v[4:5], s[8:9], s14, v4, 0
	v_add3_u32 v5, v5, v10, v9
	v_lshlrev_b64 v[4:5], 1, v[4:5]
	v_add_co_u32_e32 v50, vcc, s16, v4
	v_addc_co_u32_e32 v47, vcc, v7, v5, vcc
	v_add_co_u32_e32 v52, vcc, s18, v4
	v_addc_co_u32_e32 v49, vcc, v8, v5, vcc
	v_pk_mov_b32 v[4:5], s[14:15], s[14:15] op_sel:[0,1]
	v_mad_u64_u32 v[4:5], s[8:9], s14, v2, v[4:5]
	v_mul_lo_u32 v6, s14, v6
	v_mul_lo_u32 v9, s15, v2
	v_add3_u32 v5, v9, v5, v6
	v_lshlrev_b64 v[4:5], 1, v[4:5]
	v_add_co_u32_e32 v54, vcc, s16, v4
	v_addc_co_u32_e32 v51, vcc, v7, v5, vcc
	v_add_co_u32_e32 v56, vcc, s18, v4
	v_addc_co_u32_e32 v53, vcc, v8, v5, vcc
	v_mad_u64_u32 v[4:5], s[8:9], s14, v2, 0
	v_add3_u32 v5, v5, v6, v9
	v_lshlrev_b64 v[4:5], 1, v[4:5]
	v_add_co_u32_e32 v58, vcc, s16, v4
	v_mbcnt_lo_u32_b32 v2, -1, 0
	v_addc_co_u32_e32 v55, vcc, v7, v5, vcc
	v_mbcnt_hi_u32_b32 v2, -1, v2
	s_add_u32 s36, s28, 0x7f
	v_add_co_u32_e32 v60, vcc, s18, v4
	v_lshlrev_b32_e32 v2, 2, v2
	s_mov_b32 s20, 0
	s_addc_u32 s37, 0, 0
	v_addc_co_u32_e32 v57, vcc, v8, v5, vcc
	v_and_b32_e32 v62, 0x100, v2
	s_mov_b64 s[38:39], s[28:29]
	v_mov_b32_e32 v63, 0
.LBB172_3:                              ; =>This Inner Loop Header: Depth=1
	v_pk_mov_b32 v[4:5], s[12:13], s[12:13] op_sel:[0,1]
	v_cmp_ge_i64_e32 vcc, s[36:37], v[4:5]
	v_mov_b32_e32 v2, s37
	v_add_co_u32_e64 v64, s[8:9], s36, v26
	v_addc_co_u32_e64 v65, s[8:9], 0, v2, s[8:9]
	s_cbranch_vccz .LBB172_25
; %bb.4:                                ;   in Loop: Header=BB172_3 Depth=1
	s_load_dword s8, s[30:31], 0xc
	v_mov_b32_e32 v66, 0
	s_waitcnt lgkmcnt(0)
	s_and_b32 s8, s8, 0xffff
	v_mad_u32_u24 v2, v61, s8, v59
	v_and_b32_e32 v2, 63, v2
	v_cmp_gt_u32_e32 vcc, 8, v2
	s_and_saveexec_b64 s[8:9], vcc
	s_cbranch_execz .LBB172_8
; %bb.5:                                ;   in Loop: Header=BB172_3 Depth=1
	v_add_co_u32_e32 v2, vcc, v64, v2
	v_addc_co_u32_e32 v5, vcc, 0, v65, vcc
	v_add_co_u32_e32 v4, vcc, 0xffffff81, v2
	v_addc_co_u32_e32 v5, vcc, -1, v5, vcc
	v_cmp_gt_i64_e32 vcc, s[12:13], v[4:5]
	v_mov_b32_e32 v66, 0
	s_and_saveexec_b64 s[22:23], vcc
	s_cbranch_execz .LBB172_7
; %bb.6:                                ;   in Loop: Header=BB172_3 Depth=1
	v_lshlrev_b64 v[4:5], 2, v[4:5]
	v_mov_b32_e32 v2, s11
	v_add_co_u32_e32 v4, vcc, s10, v4
	v_addc_co_u32_e32 v5, vcc, v2, v5, vcc
	global_load_dword v66, v[4:5], off
.LBB172_7:                              ;   in Loop: Header=BB172_3 Depth=1
	s_or_b64 exec, exec, s[22:23]
.LBB172_8:                              ;   in Loop: Header=BB172_3 Depth=1
	s_or_b64 exec, exec, s[8:9]
	s_mov_b32 s21, s20
	v_add_co_u32_e32 v4, vcc, 0xffffff81, v64
	s_mov_b32 s22, s20
	s_mov_b32 s23, s20
	s_mov_b32 s24, s20
	s_mov_b32 s25, s20
	s_mov_b32 s26, s20
	s_mov_b32 s27, s20
	v_pk_mov_b32 v[10:11], s[20:21], s[20:21] op_sel:[0,1]
	v_addc_co_u32_e32 v5, vcc, -1, v65, vcc
	v_pk_mov_b32 v[16:17], s[26:27], s[26:27] op_sel:[0,1]
	v_cmp_gt_i64_e32 vcc, s[12:13], v[4:5]
	v_pk_mov_b32 v[12:13], s[22:23], s[22:23] op_sel:[0,1]
	v_pk_mov_b32 v[14:15], s[24:25], s[24:25] op_sel:[0,1]
	;; [unrolled: 1-line block ×3, first 2 shown]
	s_and_b64 s[40:41], s[2:3], vcc
	v_pk_mov_b32 v[22:23], v[14:15], v[14:15] op_sel:[0,1]
	v_pk_mov_b32 v[20:21], v[12:13], v[12:13] op_sel:[0,1]
	;; [unrolled: 1-line block ×3, first 2 shown]
	s_and_saveexec_b64 s[8:9], s[40:41]
	s_cbranch_execz .LBB172_10
; %bb.9:                                ;   in Loop: Header=BB172_3 Depth=1
	v_add_co_u32_e32 v4, vcc, v58, v28
	v_addc_co_u32_e32 v5, vcc, v55, v29, vcc
	global_load_ushort v2, v[4:5], off
	v_add_co_u32_e32 v4, vcc, v60, v28
	v_addc_co_u32_e32 v5, vcc, v57, v29, vcc
	global_load_ushort v10, v[4:5], off
	v_mov_b32_e32 v8, v3
	v_mov_b32_e32 v9, v3
	;; [unrolled: 1-line block ×13, first 2 shown]
	s_waitcnt vmcnt(1)
	v_cvt_f32_f16_e32 v2, v2
	v_pk_mov_b32 v[24:25], v[8:9], v[8:9] op_sel:[0,1]
	v_pk_mov_b32 v[22:23], v[6:7], v[6:7] op_sel:[0,1]
	;; [unrolled: 1-line block ×4, first 2 shown]
	s_waitcnt vmcnt(0)
	v_cvt_f32_f16_e32 v10, v10
.LBB172_10:                             ;   in Loop: Header=BB172_3 Depth=1
	s_or_b64 exec, exec, s[8:9]
	v_add_co_u32_e32 v4, vcc, 0xffffff82, v64
	v_addc_co_u32_e32 v5, vcc, -1, v65, vcc
	v_cmp_gt_i64_e32 vcc, s[12:13], v[4:5]
	s_and_b64 s[22:23], s[2:3], vcc
	s_and_saveexec_b64 s[8:9], s[22:23]
	s_cbranch_execz .LBB172_12
; %bb.11:                               ;   in Loop: Header=BB172_3 Depth=1
	v_add_co_u32_e32 v4, vcc, v54, v28
	v_addc_co_u32_e32 v5, vcc, v51, v29, vcc
	global_load_ushort v2, v[4:5], off
	v_add_co_u32_e32 v4, vcc, v56, v28
	v_addc_co_u32_e32 v5, vcc, v53, v29, vcc
	global_load_ushort v4, v[4:5], off
	s_waitcnt vmcnt(1)
	v_cvt_f32_f16_e32 v19, v2
	s_waitcnt vmcnt(0)
	v_cvt_f32_f16_e32 v11, v4
.LBB172_12:                             ;   in Loop: Header=BB172_3 Depth=1
	s_or_b64 exec, exec, s[8:9]
	v_add_co_u32_e32 v4, vcc, 0xffffff83, v64
	v_addc_co_u32_e32 v5, vcc, -1, v65, vcc
	v_cmp_gt_i64_e32 vcc, s[12:13], v[4:5]
	s_and_b64 s[22:23], s[2:3], vcc
	s_and_saveexec_b64 s[8:9], s[22:23]
	s_cbranch_execz .LBB172_14
; %bb.13:                               ;   in Loop: Header=BB172_3 Depth=1
	v_add_co_u32_e32 v4, vcc, v50, v28
	v_addc_co_u32_e32 v5, vcc, v47, v29, vcc
	global_load_ushort v2, v[4:5], off
	v_add_co_u32_e32 v4, vcc, v52, v28
	v_addc_co_u32_e32 v5, vcc, v49, v29, vcc
	global_load_ushort v4, v[4:5], off
	s_waitcnt vmcnt(1)
	v_cvt_f32_f16_e32 v20, v2
	s_waitcnt vmcnt(0)
	v_cvt_f32_f16_e32 v12, v4
.LBB172_14:                             ;   in Loop: Header=BB172_3 Depth=1
	;; [unrolled: 19-line block ×7, first 2 shown]
	s_or_b64 exec, exec, s[8:9]
	s_waitcnt vmcnt(0)
	ds_bpermute_b32 v4, v62, v66 offset:4
	ds_bpermute_b32 v5, v62, v66 offset:8
	ds_bpermute_b32 v2, v62, v66
	v_mul_f32_e32 v8, v10, v18
	v_pk_mul_f32 v[10:11], v[10:11], v[18:19]
	v_pk_mul_f32 v[12:13], v[12:13], v[20:21]
	v_mov_b32_e32 v10, v11
	v_mov_b32_e32 v11, v12
	s_waitcnt lgkmcnt(1)
	v_pk_mul_f32 v[4:5], v[10:11], v[4:5]
	ds_bpermute_b32 v10, v62, v66 offset:12
	ds_bpermute_b32 v11, v62, v66 offset:16
	s_waitcnt lgkmcnt(2)
	v_fma_f32 v2, v8, v2, v63
	v_pk_mul_f32 v[8:9], v[14:15], v[22:23]
	v_add_f32_e32 v2, v2, v4
	v_add_f32_e32 v2, v2, v5
	v_mov_b32_e32 v4, v13
	v_mov_b32_e32 v5, v8
	s_waitcnt lgkmcnt(0)
	v_pk_mul_f32 v[4:5], v[4:5], v[10:11]
	ds_bpermute_b32 v10, v62, v66 offset:20
	ds_bpermute_b32 v11, v62, v66 offset:24
	v_pk_mul_f32 v[6:7], v[16:17], v[24:25]
	v_add_f32_e32 v2, v2, v4
	ds_bpermute_b32 v4, v62, v66 offset:28
	v_mov_b32_e32 v8, v9
	v_mov_b32_e32 v9, v6
	v_add_f32_e32 v2, v2, v5
	s_waitcnt lgkmcnt(1)
	v_pk_mul_f32 v[6:7], v[8:9], v[10:11]
	v_add_f32_e32 v2, v2, v6
	v_add_f32_e32 v2, v2, v7
	s_branch .LBB172_40
.LBB172_25:                             ;   in Loop: Header=BB172_3 Depth=1
                                        ; implicit-def: $vgpr2
                                        ; implicit-def: $vgpr10_vgpr11_vgpr12_vgpr13_vgpr14_vgpr15_vgpr16_vgpr17
                                        ; implicit-def: $vgpr18_vgpr19_vgpr20_vgpr21_vgpr22_vgpr23_vgpr24_vgpr25
                                        ; implicit-def: $vgpr4
	s_cbranch_execz .LBB172_40
; %bb.26:                               ;   in Loop: Header=BB172_3 Depth=1
	s_load_dword s8, s[30:31], 0x0
	v_mov_b32_e32 v66, 0
	s_waitcnt lgkmcnt(0)
	s_cmp_lt_u32 s6, s8
	s_cselect_b32 s8, 12, 18
	s_add_u32 s8, s30, s8
	s_addc_u32 s9, s31, 0
	global_load_ushort v2, v3, s[8:9]
	s_waitcnt vmcnt(0)
	v_mad_u32_u24 v2, v61, v2, v59
	v_and_b32_e32 v2, 63, v2
	v_cmp_gt_u32_e32 vcc, 8, v2
	s_and_saveexec_b64 s[8:9], vcc
	s_cbranch_execz .LBB172_30
; %bb.27:                               ;   in Loop: Header=BB172_3 Depth=1
	v_add_co_u32_e32 v2, vcc, v64, v2
	v_addc_co_u32_e32 v5, vcc, 0, v65, vcc
	v_add_co_u32_e32 v4, vcc, 0xffffff81, v2
	v_addc_co_u32_e32 v5, vcc, -1, v5, vcc
	v_cmp_gt_i64_e32 vcc, s[12:13], v[4:5]
	v_mov_b32_e32 v66, 0
	s_and_saveexec_b64 s[22:23], vcc
	s_cbranch_execz .LBB172_29
; %bb.28:                               ;   in Loop: Header=BB172_3 Depth=1
	v_lshlrev_b64 v[4:5], 2, v[4:5]
	v_mov_b32_e32 v2, s11
	v_add_co_u32_e32 v4, vcc, s10, v4
	v_addc_co_u32_e32 v5, vcc, v2, v5, vcc
	global_load_dword v66, v[4:5], off
.LBB172_29:                             ;   in Loop: Header=BB172_3 Depth=1
	s_or_b64 exec, exec, s[22:23]
.LBB172_30:                             ;   in Loop: Header=BB172_3 Depth=1
	s_or_b64 exec, exec, s[8:9]
	s_mov_b32 s21, s20
	s_mov_b32 s22, s20
	;; [unrolled: 1-line block ×7, first 2 shown]
	v_pk_mov_b32 v[10:11], s[20:21], s[20:21] op_sel:[0,1]
	v_pk_mov_b32 v[16:17], s[26:27], s[26:27] op_sel:[0,1]
	;; [unrolled: 1-line block ×8, first 2 shown]
	s_and_saveexec_b64 s[8:9], s[2:3]
	s_cbranch_execnz .LBB172_42
; %bb.31:                               ;   in Loop: Header=BB172_3 Depth=1
	s_or_b64 exec, exec, s[8:9]
	s_and_saveexec_b64 s[8:9], s[2:3]
	s_cbranch_execnz .LBB172_43
.LBB172_32:                             ;   in Loop: Header=BB172_3 Depth=1
	s_or_b64 exec, exec, s[8:9]
	s_and_saveexec_b64 s[8:9], s[2:3]
	s_cbranch_execnz .LBB172_44
.LBB172_33:                             ;   in Loop: Header=BB172_3 Depth=1
	s_or_b64 exec, exec, s[8:9]
	s_and_saveexec_b64 s[8:9], s[2:3]
	s_cbranch_execnz .LBB172_45
.LBB172_34:                             ;   in Loop: Header=BB172_3 Depth=1
	s_or_b64 exec, exec, s[8:9]
	s_and_saveexec_b64 s[8:9], s[2:3]
	s_cbranch_execnz .LBB172_46
.LBB172_35:                             ;   in Loop: Header=BB172_3 Depth=1
	s_or_b64 exec, exec, s[8:9]
	s_and_saveexec_b64 s[8:9], s[2:3]
	s_cbranch_execnz .LBB172_47
.LBB172_36:                             ;   in Loop: Header=BB172_3 Depth=1
	s_or_b64 exec, exec, s[8:9]
	s_and_saveexec_b64 s[8:9], s[2:3]
	s_cbranch_execnz .LBB172_48
.LBB172_37:                             ;   in Loop: Header=BB172_3 Depth=1
	s_or_b64 exec, exec, s[8:9]
	s_and_saveexec_b64 s[8:9], s[2:3]
	s_cbranch_execz .LBB172_39
.LBB172_38:                             ;   in Loop: Header=BB172_3 Depth=1
	v_add_co_u32_e32 v4, vcc, v30, v28
	v_addc_co_u32_e32 v5, vcc, v1, v29, vcc
	global_load_ushort v2, v[4:5], off
	v_add_co_u32_e32 v4, vcc, v32, v28
	v_addc_co_u32_e32 v5, vcc, v27, v29, vcc
	global_load_ushort v4, v[4:5], off
	s_waitcnt vmcnt(1)
	v_cvt_f32_f16_e32 v25, v2
	s_waitcnt vmcnt(0)
	v_cvt_f32_f16_e32 v17, v4
.LBB172_39:                             ;   in Loop: Header=BB172_3 Depth=1
	s_or_b64 exec, exec, s[8:9]
	s_waitcnt vmcnt(0)
	ds_bpermute_b32 v4, v62, v66 offset:4
	ds_bpermute_b32 v5, v62, v66 offset:8
	ds_bpermute_b32 v2, v62, v66
	v_mul_f32_e32 v8, v10, v18
	v_pk_mul_f32 v[10:11], v[10:11], v[18:19]
	v_pk_mul_f32 v[12:13], v[12:13], v[20:21]
	v_mov_b32_e32 v10, v11
	v_mov_b32_e32 v11, v12
	s_waitcnt lgkmcnt(1)
	v_pk_mul_f32 v[4:5], v[10:11], v[4:5]
	ds_bpermute_b32 v10, v62, v66 offset:12
	ds_bpermute_b32 v11, v62, v66 offset:16
	s_waitcnt lgkmcnt(2)
	v_fmac_f32_e32 v63, v8, v2
	v_pk_mul_f32 v[8:9], v[14:15], v[22:23]
	v_add_f32_e32 v2, v63, v4
	v_add_f32_e32 v2, v2, v5
	v_mov_b32_e32 v4, v13
	v_mov_b32_e32 v5, v8
	s_waitcnt lgkmcnt(0)
	v_pk_mul_f32 v[4:5], v[4:5], v[10:11]
	ds_bpermute_b32 v10, v62, v66 offset:20
	ds_bpermute_b32 v11, v62, v66 offset:24
	v_pk_mul_f32 v[6:7], v[16:17], v[24:25]
	v_add_f32_e32 v2, v2, v4
	v_mov_b32_e32 v8, v9
	v_mov_b32_e32 v9, v6
	v_add_f32_e32 v2, v2, v5
	s_waitcnt lgkmcnt(0)
	v_pk_mul_f32 v[6:7], v[8:9], v[10:11]
	v_add_f32_e32 v2, v2, v6
	ds_bpermute_b32 v4, v62, v66 offset:28
	v_add_f32_e32 v2, v2, v7
.LBB172_40:                             ;   in Loop: Header=BB172_3 Depth=1
	v_mul_f32_e32 v5, v25, v17
	s_waitcnt lgkmcnt(0)
	v_fmac_f32_e32 v2, v5, v4
	v_mov_b32_e32 v4, s35
	v_add_co_u32_e32 v30, vcc, s34, v30
	v_addc_co_u32_e32 v1, vcc, v1, v4, vcc
	v_add_co_u32_e32 v32, vcc, s34, v32
	v_addc_co_u32_e32 v27, vcc, v27, v4, vcc
	;; [unrolled: 2-line block ×15, first 2 shown]
	s_add_u32 s38, s38, s7
	v_add_co_u32_e32 v60, vcc, s34, v60
	s_addc_u32 s39, s39, 0
	v_addc_co_u32_e32 v57, vcc, v57, v4, vcc
	v_pk_mov_b32 v[4:5], s[12:13], s[12:13] op_sel:[0,1]
	s_add_u32 s36, s36, s7
	v_cmp_lt_i64_e32 vcc, s[38:39], v[4:5]
	s_addc_u32 s37, s37, 0
	s_cbranch_vccz .LBB172_50
; %bb.41:                               ;   in Loop: Header=BB172_3 Depth=1
	v_mov_b32_e32 v63, v2
	s_branch .LBB172_3
.LBB172_42:                             ;   in Loop: Header=BB172_3 Depth=1
	v_add_co_u32_e32 v4, vcc, v58, v28
	v_addc_co_u32_e32 v5, vcc, v55, v29, vcc
	global_load_ushort v2, v[4:5], off
	v_add_co_u32_e32 v4, vcc, v60, v28
	v_addc_co_u32_e32 v5, vcc, v57, v29, vcc
	global_load_ushort v10, v[4:5], off
	v_mov_b32_e32 v8, v3
	v_mov_b32_e32 v9, v3
	;; [unrolled: 1-line block ×13, first 2 shown]
	s_waitcnt vmcnt(1)
	v_cvt_f32_f16_e32 v2, v2
	v_pk_mov_b32 v[24:25], v[8:9], v[8:9] op_sel:[0,1]
	v_pk_mov_b32 v[22:23], v[6:7], v[6:7] op_sel:[0,1]
	;; [unrolled: 1-line block ×4, first 2 shown]
	s_waitcnt vmcnt(0)
	v_cvt_f32_f16_e32 v10, v10
	s_or_b64 exec, exec, s[8:9]
	s_and_saveexec_b64 s[8:9], s[2:3]
	s_cbranch_execz .LBB172_32
.LBB172_43:                             ;   in Loop: Header=BB172_3 Depth=1
	v_add_co_u32_e32 v4, vcc, v54, v28
	v_addc_co_u32_e32 v5, vcc, v51, v29, vcc
	global_load_ushort v2, v[4:5], off
	v_add_co_u32_e32 v4, vcc, v56, v28
	v_addc_co_u32_e32 v5, vcc, v53, v29, vcc
	global_load_ushort v4, v[4:5], off
	s_waitcnt vmcnt(1)
	v_cvt_f32_f16_e32 v19, v2
	s_waitcnt vmcnt(0)
	v_cvt_f32_f16_e32 v11, v4
	s_or_b64 exec, exec, s[8:9]
	s_and_saveexec_b64 s[8:9], s[2:3]
	s_cbranch_execz .LBB172_33
.LBB172_44:                             ;   in Loop: Header=BB172_3 Depth=1
	v_add_co_u32_e32 v4, vcc, v50, v28
	v_addc_co_u32_e32 v5, vcc, v47, v29, vcc
	global_load_ushort v2, v[4:5], off
	v_add_co_u32_e32 v4, vcc, v52, v28
	v_addc_co_u32_e32 v5, vcc, v49, v29, vcc
	global_load_ushort v4, v[4:5], off
	s_waitcnt vmcnt(1)
	v_cvt_f32_f16_e32 v20, v2
	s_waitcnt vmcnt(0)
	v_cvt_f32_f16_e32 v12, v4
	s_or_b64 exec, exec, s[8:9]
	s_and_saveexec_b64 s[8:9], s[2:3]
	s_cbranch_execz .LBB172_34
.LBB172_45:                             ;   in Loop: Header=BB172_3 Depth=1
	v_add_co_u32_e32 v4, vcc, v46, v28
	v_addc_co_u32_e32 v5, vcc, v43, v29, vcc
	global_load_ushort v2, v[4:5], off
	v_add_co_u32_e32 v4, vcc, v48, v28
	v_addc_co_u32_e32 v5, vcc, v45, v29, vcc
	global_load_ushort v4, v[4:5], off
	s_waitcnt vmcnt(1)
	v_cvt_f32_f16_e32 v21, v2
	s_waitcnt vmcnt(0)
	v_cvt_f32_f16_e32 v13, v4
	s_or_b64 exec, exec, s[8:9]
	s_and_saveexec_b64 s[8:9], s[2:3]
	s_cbranch_execz .LBB172_35
.LBB172_46:                             ;   in Loop: Header=BB172_3 Depth=1
	v_add_co_u32_e32 v4, vcc, v42, v28
	v_addc_co_u32_e32 v5, vcc, v39, v29, vcc
	global_load_ushort v2, v[4:5], off
	v_add_co_u32_e32 v4, vcc, v44, v28
	v_addc_co_u32_e32 v5, vcc, v41, v29, vcc
	global_load_ushort v4, v[4:5], off
	s_waitcnt vmcnt(1)
	v_cvt_f32_f16_e32 v22, v2
	s_waitcnt vmcnt(0)
	v_cvt_f32_f16_e32 v14, v4
	s_or_b64 exec, exec, s[8:9]
	s_and_saveexec_b64 s[8:9], s[2:3]
	s_cbranch_execz .LBB172_36
.LBB172_47:                             ;   in Loop: Header=BB172_3 Depth=1
	v_add_co_u32_e32 v4, vcc, v38, v28
	v_addc_co_u32_e32 v5, vcc, v35, v29, vcc
	global_load_ushort v2, v[4:5], off
	v_add_co_u32_e32 v4, vcc, v40, v28
	v_addc_co_u32_e32 v5, vcc, v37, v29, vcc
	global_load_ushort v4, v[4:5], off
	s_waitcnt vmcnt(1)
	v_cvt_f32_f16_e32 v23, v2
	s_waitcnt vmcnt(0)
	v_cvt_f32_f16_e32 v15, v4
	s_or_b64 exec, exec, s[8:9]
	s_and_saveexec_b64 s[8:9], s[2:3]
	s_cbranch_execz .LBB172_37
.LBB172_48:                             ;   in Loop: Header=BB172_3 Depth=1
	v_add_co_u32_e32 v4, vcc, v34, v28
	v_addc_co_u32_e32 v5, vcc, v31, v29, vcc
	global_load_ushort v2, v[4:5], off
	v_add_co_u32_e32 v4, vcc, v36, v28
	v_addc_co_u32_e32 v5, vcc, v33, v29, vcc
	global_load_ushort v4, v[4:5], off
	s_waitcnt vmcnt(1)
	v_cvt_f32_f16_e32 v24, v2
	s_waitcnt vmcnt(0)
	v_cvt_f32_f16_e32 v16, v4
	s_or_b64 exec, exec, s[8:9]
	s_and_saveexec_b64 s[8:9], s[2:3]
	s_cbranch_execnz .LBB172_38
	s_branch .LBB172_39
.LBB172_49:
                                        ; implicit-def: $vgpr2
	s_branch .LBB172_51
.LBB172_50:
	s_cbranch_execnz .LBB172_83
.LBB172_51:
	s_and_b64 vcc, exec, s[0:1]
	v_mov_b32_e32 v2, 0
	s_cbranch_vccnz .LBB172_83
; %bb.52:
	s_load_dword s0, s[4:5], 0x44
	s_add_u32 s2, s4, 64
	s_addc_u32 s3, s5, 0
	v_bfe_u32 v85, v0, 10, 10
	v_lshlrev_b32_e32 v1, 4, v85
	s_waitcnt lgkmcnt(0)
	s_lshl_b32 s7, s0, 7
	s_add_u32 s8, s28, 0x7f
	s_addc_u32 s9, 0, 0
	s_lshl_b64 s[0:1], s[28:29], 1
	v_mov_b32_e32 v2, s1
	v_add_co_u32_e32 v1, vcc, s0, v1
	v_addc_co_u32_e32 v4, vcc, 0, v2, vcc
	v_add_co_u32_e32 v6, vcc, 2, v1
	v_addc_co_u32_e32 v5, vcc, 0, v4, vcc
	v_add_co_u32_e32 v9, vcc, 4, v1
	v_mul_lo_u32 v7, s14, v5
	v_addc_co_u32_e32 v5, vcc, 0, v4, vcc
	v_add_co_u32_e32 v12, vcc, 6, v1
	v_mul_lo_u32 v10, s14, v5
	;; [unrolled: 3-line block ×5, first 2 shown]
	v_addc_co_u32_e32 v5, vcc, 0, v4, vcc
	v_add_co_u32_e32 v24, vcc, 14, v1
	v_lshlrev_b32_e32 v26, 3, v85
	v_addc_co_u32_e32 v1, vcc, 0, v4, vcc
	v_mul_lo_u32 v25, s14, v1
	v_mov_b32_e32 v1, s29
	v_add_co_u32_e32 v43, vcc, s28, v26
	v_pk_mov_b32 v[2:3], s[16:17], s[16:17] op_sel:[0,1]
	v_addc_co_u32_e32 v59, vcc, 0, v1, vcc
	v_mad_u64_u32 v[28:29], s[0:1], s14, v6, v[2:3]
	v_mad_u64_u32 v[30:31], s[0:1], s14, v9, v[2:3]
	;; [unrolled: 1-line block ×7, first 2 shown]
	v_mul_lo_u32 v60, s15, v43
	v_mul_lo_u32 v61, s14, v59
	v_mad_u64_u32 v[2:3], s[0:1], s14, v43, 0
	v_add3_u32 v3, v3, v61, v60
	v_lshlrev_b64 v[2:3], 1, v[2:3]
	v_mul_lo_u32 v22, s14, v5
	v_mov_b32_e32 v81, s17
	v_add_co_u32_e32 v42, vcc, s16, v2
	v_pk_mov_b32 v[4:5], s[18:19], s[18:19] op_sel:[0,1]
	v_mul_lo_u32 v17, s15, v15
	v_addc_co_u32_e32 v1, vcc, v81, v3, vcc
	v_mad_u64_u32 v[50:51], s[0:1], s14, v15, v[4:5]
	v_add3_u32 v35, v17, v35, v16
	v_mul_lo_u32 v27, s15, v24
	v_add3_u32 v51, v17, v51, v16
	v_mad_u64_u32 v[56:57], s[0:1], s14, v24, v[4:5]
	v_mov_b32_e32 v16, s19
	v_add_co_u32_e32 v58, vcc, s18, v2
	v_add3_u32 v41, v27, v41, v25
	v_add3_u32 v57, v27, v57, v25
	v_addc_co_u32_e32 v27, vcc, v16, v3, vcc
	v_add_co_u32_e32 v2, vcc, 7, v43
	v_addc_co_u32_e32 v3, vcc, 0, v59, vcc
	v_mad_u64_u32 v[44:45], s[0:1], s14, v6, v[4:5]
	v_mad_u64_u32 v[46:47], s[0:1], s14, v9, v[4:5]
	;; [unrolled: 1-line block ×5, first 2 shown]
	v_mul_lo_u32 v4, s15, v2
	v_mul_lo_u32 v5, s14, v3
	v_mad_u64_u32 v[2:3], s[0:1], s14, v2, 0
	v_add3_u32 v3, v3, v5, v4
	v_add_co_u32_e32 v4, vcc, 6, v43
	v_mul_lo_u32 v8, s15, v6
	v_addc_co_u32_e32 v5, vcc, 0, v59, vcc
	v_add3_u32 v29, v8, v29, v7
	v_add3_u32 v45, v8, v45, v7
	v_mul_lo_u32 v6, s15, v4
	v_mul_lo_u32 v7, s14, v5
	v_mad_u64_u32 v[4:5], s[0:1], s14, v4, 0
	v_add3_u32 v5, v5, v7, v6
	v_add_co_u32_e32 v6, vcc, 5, v43
	v_addc_co_u32_e32 v7, vcc, 0, v59, vcc
	v_mul_lo_u32 v11, s15, v9
	v_mul_lo_u32 v8, s15, v6
	;; [unrolled: 1-line block ×3, first 2 shown]
	v_mad_u64_u32 v[6:7], s[0:1], s14, v6, 0
	v_add3_u32 v7, v7, v9, v8
	v_add_co_u32_e32 v8, vcc, 4, v43
	v_addc_co_u32_e32 v9, vcc, 0, v59, vcc
	v_add3_u32 v31, v11, v31, v10
	v_add3_u32 v47, v11, v47, v10
	v_mul_lo_u32 v10, s15, v8
	v_mul_lo_u32 v11, s14, v9
	v_mad_u64_u32 v[8:9], s[0:1], s14, v8, 0
	v_add3_u32 v9, v9, v11, v10
	v_add_co_u32_e32 v10, vcc, 3, v43
	v_mul_lo_u32 v14, s15, v12
	v_addc_co_u32_e32 v11, vcc, 0, v59, vcc
	v_add3_u32 v33, v14, v33, v13
	v_add3_u32 v49, v14, v49, v13
	v_mul_lo_u32 v12, s15, v10
	v_mul_lo_u32 v13, s14, v11
	v_mad_u64_u32 v[10:11], s[0:1], s14, v10, 0
	v_add3_u32 v11, v11, v13, v12
	v_add_co_u32_e32 v12, vcc, 2, v43
	v_addc_co_u32_e32 v13, vcc, 0, v59, vcc
	v_mul_lo_u32 v14, s15, v12
	v_mul_lo_u32 v15, s14, v13
	v_mad_u64_u32 v[12:13], s[0:1], s14, v12, 0
	v_add3_u32 v13, v13, v15, v14
	v_pk_mov_b32 v[14:15], s[14:15], s[14:15] op_sel:[0,1]
	v_lshlrev_b64 v[2:3], 1, v[2:3]
	v_mad_u64_u32 v[14:15], s[0:1], s14, v43, v[14:15]
	v_add3_u32 v15, v60, v15, v61
	v_add_co_u32_e32 v60, vcc, s16, v2
	v_addc_co_u32_e32 v43, vcc, v81, v3, vcc
	v_add_co_u32_e32 v62, vcc, s18, v2
	v_addc_co_u32_e32 v59, vcc, v16, v3, vcc
	v_lshlrev_b64 v[2:3], 1, v[4:5]
	v_add_co_u32_e32 v64, vcc, s16, v2
	v_addc_co_u32_e32 v61, vcc, v81, v3, vcc
	v_add_co_u32_e32 v66, vcc, s18, v2
	v_addc_co_u32_e32 v63, vcc, v16, v3, vcc
	v_lshlrev_b64 v[2:3], 1, v[6:7]
	;; [unrolled: 5-line block ×6, first 2 shown]
	v_add_co_u32_e32 v84, vcc, s16, v2
	v_addc_co_u32_e32 v81, vcc, v81, v3, vcc
	v_mbcnt_lo_u32_b32 v4, -1, 0
	v_add_co_u32_e32 v86, vcc, s18, v2
	v_and_b32_e32 v87, 0x3ff, v0
	s_mul_i32 s0, s15, s7
	s_mul_hi_u32 s1, s14, s7
	v_mbcnt_hi_u32_b32 v4, -1, v4
	v_mul_lo_u32 v20, s15, v18
	v_mul_lo_u32 v23, s15, v21
	v_addc_co_u32_e32 v83, vcc, v16, v3, vcc
	v_add_u32_e32 v2, s33, v87
	v_mov_b32_e32 v3, 0
	s_add_i32 s1, s1, s0
	s_mul_i32 s0, s14, s7
	v_lshlrev_b32_e32 v4, 2, v4
	v_add3_u32 v37, v20, v37, v19
	v_add3_u32 v39, v23, v39, v22
	;; [unrolled: 1-line block ×4, first 2 shown]
	s_mov_b32 s16, 0
	s_lshl_b64 s[24:25], s[0:1], 1
	v_and_b32_e32 v90, 0x100, v4
	v_mov_b32_e32 v91, 0
	v_lshlrev_b64 v[88:89], 1, v[2:3]
.LBB172_53:                             ; =>This Inner Loop Header: Depth=1
	v_pk_mov_b32 v[4:5], s[12:13], s[12:13] op_sel:[0,1]
	v_cmp_ge_i64_e32 vcc, s[8:9], v[4:5]
	v_mov_b32_e32 v2, s9
	v_add_co_u32_e64 v92, s[0:1], s8, v26
	v_addc_co_u32_e64 v93, s[0:1], 0, v2, s[0:1]
	s_cbranch_vccz .LBB172_75
; %bb.54:                               ;   in Loop: Header=BB172_53 Depth=1
	s_load_dword s0, s[2:3], 0xc
	v_mov_b32_e32 v94, 0
	s_waitcnt lgkmcnt(0)
	s_and_b32 s0, s0, 0xffff
	v_mad_u32_u24 v2, v85, s0, v87
	v_and_b32_e32 v2, 63, v2
	v_cmp_gt_u32_e32 vcc, 8, v2
	s_and_saveexec_b64 s[0:1], vcc
	s_cbranch_execz .LBB172_58
; %bb.55:                               ;   in Loop: Header=BB172_53 Depth=1
	v_add_co_u32_e32 v2, vcc, v92, v2
	v_addc_co_u32_e32 v5, vcc, 0, v93, vcc
	v_add_co_u32_e32 v4, vcc, 0xffffff81, v2
	v_addc_co_u32_e32 v5, vcc, -1, v5, vcc
	v_cmp_gt_i64_e32 vcc, s[12:13], v[4:5]
	v_mov_b32_e32 v94, 0
	s_and_saveexec_b64 s[18:19], vcc
	s_cbranch_execz .LBB172_57
; %bb.56:                               ;   in Loop: Header=BB172_53 Depth=1
	v_lshlrev_b64 v[4:5], 2, v[4:5]
	v_mov_b32_e32 v2, s11
	v_add_co_u32_e32 v4, vcc, s10, v4
	v_addc_co_u32_e32 v5, vcc, v2, v5, vcc
	global_load_dword v94, v[4:5], off
.LBB172_57:                             ;   in Loop: Header=BB172_53 Depth=1
	s_or_b64 exec, exec, s[18:19]
.LBB172_58:                             ;   in Loop: Header=BB172_53 Depth=1
	s_or_b64 exec, exec, s[0:1]
	s_mov_b32 s17, s16
	s_mov_b32 s18, s16
	s_mov_b32 s19, s16
	s_mov_b32 s20, s16
	s_mov_b32 s21, s16
	s_mov_b32 s22, s16
	s_mov_b32 s23, s16
	v_pk_mov_b32 v[10:11], s[16:17], s[16:17] op_sel:[0,1]
	v_add_co_u32_e32 v4, vcc, 0xffffff81, v92
	v_pk_mov_b32 v[16:17], s[22:23], s[22:23] op_sel:[0,1]
	v_addc_co_u32_e32 v5, vcc, -1, v93, vcc
	v_pk_mov_b32 v[12:13], s[18:19], s[18:19] op_sel:[0,1]
	v_pk_mov_b32 v[14:15], s[20:21], s[20:21] op_sel:[0,1]
	;; [unrolled: 1-line block ×3, first 2 shown]
	v_cmp_gt_i64_e32 vcc, s[12:13], v[4:5]
	v_pk_mov_b32 v[22:23], v[14:15], v[14:15] op_sel:[0,1]
	v_pk_mov_b32 v[20:21], v[12:13], v[12:13] op_sel:[0,1]
	;; [unrolled: 1-line block ×3, first 2 shown]
	s_and_saveexec_b64 s[0:1], vcc
	s_cbranch_execz .LBB172_60
; %bb.59:                               ;   in Loop: Header=BB172_53 Depth=1
	v_add_co_u32_e32 v4, vcc, v42, v88
	v_addc_co_u32_e32 v5, vcc, v1, v89, vcc
	global_load_ushort v2, v[4:5], off
	v_add_co_u32_e32 v4, vcc, v58, v88
	v_addc_co_u32_e32 v5, vcc, v27, v89, vcc
	global_load_ushort v10, v[4:5], off
	v_mov_b32_e32 v8, v3
	v_mov_b32_e32 v9, v3
	;; [unrolled: 1-line block ×13, first 2 shown]
	s_waitcnt vmcnt(1)
	v_cvt_f32_f16_e32 v2, v2
	v_pk_mov_b32 v[24:25], v[8:9], v[8:9] op_sel:[0,1]
	v_pk_mov_b32 v[22:23], v[6:7], v[6:7] op_sel:[0,1]
	;; [unrolled: 1-line block ×4, first 2 shown]
	s_waitcnt vmcnt(0)
	v_cvt_f32_f16_e32 v10, v10
.LBB172_60:                             ;   in Loop: Header=BB172_53 Depth=1
	s_or_b64 exec, exec, s[0:1]
	v_add_co_u32_e32 v4, vcc, 0xffffff82, v92
	v_addc_co_u32_e32 v5, vcc, -1, v93, vcc
	v_cmp_gt_i64_e32 vcc, s[12:13], v[4:5]
	s_and_saveexec_b64 s[0:1], vcc
	s_cbranch_execz .LBB172_62
; %bb.61:                               ;   in Loop: Header=BB172_53 Depth=1
	v_add_co_u32_e32 v4, vcc, v84, v88
	v_addc_co_u32_e32 v5, vcc, v81, v89, vcc
	global_load_ushort v2, v[4:5], off
	v_add_co_u32_e32 v4, vcc, v86, v88
	v_addc_co_u32_e32 v5, vcc, v83, v89, vcc
	global_load_ushort v4, v[4:5], off
	s_waitcnt vmcnt(1)
	v_cvt_f32_f16_e32 v19, v2
	s_waitcnt vmcnt(0)
	v_cvt_f32_f16_e32 v11, v4
.LBB172_62:                             ;   in Loop: Header=BB172_53 Depth=1
	s_or_b64 exec, exec, s[0:1]
	v_add_co_u32_e32 v4, vcc, 0xffffff83, v92
	v_addc_co_u32_e32 v5, vcc, -1, v93, vcc
	v_cmp_gt_i64_e32 vcc, s[12:13], v[4:5]
	s_and_saveexec_b64 s[0:1], vcc
	s_cbranch_execz .LBB172_64
; %bb.63:                               ;   in Loop: Header=BB172_53 Depth=1
	v_add_co_u32_e32 v4, vcc, v80, v88
	v_addc_co_u32_e32 v5, vcc, v77, v89, vcc
	global_load_ushort v2, v[4:5], off
	v_add_co_u32_e32 v4, vcc, v82, v88
	v_addc_co_u32_e32 v5, vcc, v79, v89, vcc
	global_load_ushort v4, v[4:5], off
	s_waitcnt vmcnt(1)
	v_cvt_f32_f16_e32 v20, v2
	s_waitcnt vmcnt(0)
	v_cvt_f32_f16_e32 v12, v4
.LBB172_64:                             ;   in Loop: Header=BB172_53 Depth=1
	;; [unrolled: 18-line block ×7, first 2 shown]
	s_or_b64 exec, exec, s[0:1]
	s_waitcnt vmcnt(0)
	ds_bpermute_b32 v4, v90, v94
	ds_bpermute_b32 v5, v90, v94 offset:4
	v_pk_mul_f32 v[8:9], v[14:15], v[22:23]
	ds_bpermute_b32 v14, v90, v94 offset:8
	ds_bpermute_b32 v15, v90, v94 offset:12
	v_pk_mul_f32 v[10:11], v[10:11], v[18:19]
	s_waitcnt lgkmcnt(2)
	v_pk_mul_f32 v[4:5], v[10:11], v[4:5]
	ds_bpermute_b32 v10, v90, v94 offset:16
	ds_bpermute_b32 v11, v90, v94 offset:20
	v_pk_mul_f32 v[12:13], v[12:13], v[20:21]
	v_add_f32_e32 v2, v91, v4
	v_add_f32_e32 v2, v2, v5
	s_waitcnt lgkmcnt(2)
	v_pk_mul_f32 v[4:5], v[12:13], v[14:15]
	ds_bpermute_b32 v12, v90, v94 offset:24
	ds_bpermute_b32 v13, v90, v94 offset:28
	v_add_f32_e32 v2, v2, v4
	v_add_f32_e32 v2, v2, v5
	s_waitcnt lgkmcnt(2)
	v_pk_mul_f32 v[4:5], v[8:9], v[10:11]
	v_pk_mul_f32 v[6:7], v[16:17], v[24:25]
	v_add_f32_e32 v2, v2, v4
	v_add_f32_e32 v2, v2, v5
	s_waitcnt lgkmcnt(0)
	v_pk_mul_f32 v[4:5], v[6:7], v[12:13]
	v_add_f32_e32 v2, v2, v4
	v_add_f32_e32 v2, v2, v5
	s_branch .LBB172_81
.LBB172_75:                             ;   in Loop: Header=BB172_53 Depth=1
                                        ; implicit-def: $vgpr2
	s_cbranch_execz .LBB172_81
; %bb.76:                               ;   in Loop: Header=BB172_53 Depth=1
	s_load_dword s0, s[2:3], 0x0
	s_waitcnt lgkmcnt(0)
	s_cmp_lt_u32 s6, s0
	s_cselect_b32 s0, 12, 18
	s_add_u32 s0, s2, s0
	s_addc_u32 s1, s3, 0
	global_load_ushort v2, v3, s[0:1]
	s_waitcnt vmcnt(0)
	v_mad_u32_u24 v2, v85, v2, v87
	v_and_b32_e32 v4, 63, v2
	v_cmp_gt_u32_e32 vcc, 8, v4
	v_mov_b32_e32 v2, 0
	s_and_saveexec_b64 s[0:1], vcc
	s_cbranch_execz .LBB172_80
; %bb.77:                               ;   in Loop: Header=BB172_53 Depth=1
	v_add_co_u32_e32 v2, vcc, v92, v4
	v_addc_co_u32_e32 v5, vcc, 0, v93, vcc
	v_add_co_u32_e32 v4, vcc, 0xffffff81, v2
	v_addc_co_u32_e32 v5, vcc, -1, v5, vcc
	v_cmp_gt_i64_e32 vcc, s[12:13], v[4:5]
	v_mov_b32_e32 v2, 0
	s_and_saveexec_b64 s[18:19], vcc
	s_cbranch_execz .LBB172_79
; %bb.78:                               ;   in Loop: Header=BB172_53 Depth=1
	v_lshlrev_b64 v[4:5], 2, v[4:5]
	v_mov_b32_e32 v2, s11
	v_add_co_u32_e32 v4, vcc, s10, v4
	v_addc_co_u32_e32 v5, vcc, v2, v5, vcc
	global_load_dword v2, v[4:5], off
.LBB172_79:                             ;   in Loop: Header=BB172_53 Depth=1
	s_or_b64 exec, exec, s[18:19]
.LBB172_80:                             ;   in Loop: Header=BB172_53 Depth=1
	s_or_b64 exec, exec, s[0:1]
	v_add_co_u32_e32 v4, vcc, v42, v88
	v_addc_co_u32_e32 v5, vcc, v1, v89, vcc
	global_load_ushort v6, v[4:5], off
	v_add_co_u32_e32 v4, vcc, v58, v88
	v_addc_co_u32_e32 v5, vcc, v27, v89, vcc
	global_load_ushort v7, v[4:5], off
	;; [unrolled: 3-line block ×16, first 2 shown]
	s_waitcnt vmcnt(16)
	ds_bpermute_b32 v21, v90, v2 offset:4
	s_waitcnt vmcnt(15)
	v_cvt_f32_f16_e32 v5, v6
	s_waitcnt vmcnt(14)
	v_cvt_f32_f16_e32 v6, v7
	v_mul_f32_e32 v5, v5, v6
	s_waitcnt vmcnt(13)
	v_cvt_f32_f16_e32 v7, v8
	s_waitcnt vmcnt(12)
	v_cvt_f32_f16_e32 v8, v9
	v_mul_f32_e32 v6, v7, v8
	;; [unrolled: 5-line block ×3, first 2 shown]
	s_waitcnt vmcnt(9)
	v_cvt_f32_f16_e32 v11, v12
	s_waitcnt vmcnt(8)
	v_cvt_f32_f16_e32 v12, v13
	;; [unrolled: 2-line block ×8, first 2 shown]
	ds_bpermute_b32 v19, v90, v2
	s_waitcnt vmcnt(1)
	v_cvt_f32_f16_e32 v20, v20
	s_waitcnt lgkmcnt(0)
	v_fmac_f32_e32 v91, v5, v19
	ds_bpermute_b32 v5, v90, v2 offset:8
	v_fmac_f32_e32 v91, v6, v21
	ds_bpermute_b32 v6, v90, v2 offset:12
	s_waitcnt vmcnt(0)
	v_cvt_f32_f16_e32 v4, v4
	s_waitcnt lgkmcnt(1)
	v_fmac_f32_e32 v91, v7, v5
	ds_bpermute_b32 v5, v90, v2 offset:16
	v_mul_f32_e32 v7, v11, v12
	s_waitcnt lgkmcnt(1)
	v_fmac_f32_e32 v91, v7, v6
	v_mul_f32_e32 v6, v13, v14
	ds_bpermute_b32 v7, v90, v2 offset:20
	s_waitcnt lgkmcnt(1)
	v_fmac_f32_e32 v91, v6, v5
	ds_bpermute_b32 v5, v90, v2 offset:24
	ds_bpermute_b32 v2, v90, v2 offset:28
	v_mul_f32_e32 v6, v15, v16
	s_waitcnt lgkmcnt(2)
	v_fmac_f32_e32 v91, v6, v7
	v_mul_f32_e32 v6, v17, v18
	s_waitcnt lgkmcnt(1)
	v_fmac_f32_e32 v91, v6, v5
	;; [unrolled: 3-line block ×3, first 2 shown]
	v_mov_b32_e32 v2, v91
.LBB172_81:                             ;   in Loop: Header=BB172_53 Depth=1
	s_add_u32 s28, s28, s7
	s_addc_u32 s29, s29, 0
	v_pk_mov_b32 v[4:5], s[12:13], s[12:13] op_sel:[0,1]
	v_cmp_ge_i64_e32 vcc, s[28:29], v[4:5]
	v_mov_b32_e32 v4, s25
	v_add_co_u32_e64 v28, s[0:1], s24, v28
	v_addc_co_u32_e64 v29, s[0:1], v29, v4, s[0:1]
	v_add_co_u32_e64 v30, s[0:1], s24, v30
	v_addc_co_u32_e64 v31, s[0:1], v31, v4, s[0:1]
	;; [unrolled: 2-line block ×29, first 2 shown]
	v_add_co_u32_e64 v86, s[0:1], s24, v86
	s_add_u32 s8, s8, s7
	v_addc_co_u32_e64 v83, s[0:1], v83, v4, s[0:1]
	s_addc_u32 s9, s9, 0
	s_cbranch_vccnz .LBB172_83
; %bb.82:                               ;   in Loop: Header=BB172_53 Depth=1
	v_mov_b32_e32 v91, v2
	s_branch .LBB172_53
.LBB172_83:
	v_bfe_u32 v1, v0, 10, 10
	v_and_b32_e32 v3, 0x3ff, v0
	s_movk_i32 s0, 0x41
	v_mad_u32_u24 v0, v1, s0, v3
	v_lshl_add_u32 v0, v0, 2, 0
	ds_write_b32 v0, v2
	v_mov_b32_e32 v2, 0
	ds_write_b32 v0, v2 offset:4160
	v_lshrrev_b32_e32 v0, 6, v3
	v_add_u32_e32 v2, v0, v1
	s_mov_b32 s7, 0
	v_cmp_gt_u32_e32 vcc, 64, v2
	s_waitcnt lgkmcnt(0)
	s_barrier
	s_and_saveexec_b64 s[0:1], vcc
	s_cbranch_execz .LBB172_90
; %bb.84:
	v_mbcnt_lo_u32_b32 v5, -1, 0
	v_mbcnt_hi_u32_b32 v7, -1, v5
	v_and_b32_e32 v4, 63, v3
	v_and_b32_e32 v5, 64, v7
	v_cmp_gt_u32_e32 vcc, 16, v4
	v_add_u32_e32 v8, 64, v5
	v_cmp_ne_u32_e64 s[0:1], 0, v3
	v_mul_u32_u24_e32 v3, 0x104, v4
	v_xor_b32_e32 v4, 8, v7
	v_cmp_lt_i32_e64 s[2:3], v4, v8
	v_xor_b32_e32 v5, 4, v7
	v_cndmask_b32_e64 v4, v7, v4, s[2:3]
	v_cmp_lt_i32_e64 s[2:3], v5, v8
	v_xor_b32_e32 v6, 2, v7
	v_cndmask_b32_e64 v5, v7, v5, s[2:3]
	;; [unrolled: 3-line block ×3, first 2 shown]
	v_cmp_lt_i32_e64 s[2:3], v9, v8
	s_load_dwordx2 s[10:11], s[4:5], 0x30
	v_cndmask_b32_e64 v7, v7, v9, s[2:3]
	v_add_co_u32_e64 v0, s[2:3], v0, v1
	s_lshl_b64 s[4:5], s[6:7], 6
	v_lshlrev_b32_e32 v2, 2, v2
	v_addc_co_u32_e64 v1, s[2:3], 0, 0, s[2:3]
	v_add3_u32 v8, v3, v2, 0
	v_mov_b32_e32 v3, s5
	v_add_co_u32_e64 v2, s[2:3], s4, v0
	v_addc_co_u32_e64 v3, s[2:3], v1, v3, s[2:3]
	v_lshlrev_b64 v[2:3], 1, v[2:3]
	s_waitcnt lgkmcnt(0)
	s_cmp_eq_u64 s[10:11], 0
	v_mov_b32_e32 v9, s11
	v_add_co_u32_e64 v2, s[2:3], s10, v2
	s_mov_b64 s[6:7], 0
	s_cselect_b64 s[8:9], -1, 0
	v_lshlrev_b32_e32 v4, 2, v4
	v_lshlrev_b32_e32 v5, 2, v5
	;; [unrolled: 1-line block ×4, first 2 shown]
	v_addc_co_u32_e64 v3, s[2:3], v9, v3, s[2:3]
	v_mov_b32_e32 v9, s5
                                        ; implicit-def: $vgpr10
	s_branch .LBB172_86
.LBB172_85:                             ;   in Loop: Header=BB172_86 Depth=1
	s_or_b64 exec, exec, s[2:3]
	v_add_co_u32_e64 v0, s[2:3], 16, v0
	v_addc_co_u32_e64 v1, s[2:3], 0, v1, s[2:3]
	v_add_u32_e32 v11, -16, v0
	v_cmp_lt_u32_e64 s[2:3], 47, v11
	s_or_b64 s[6:7], s[2:3], s[6:7]
	v_add_co_u32_e64 v2, s[2:3], 32, v2
	v_add_u32_e32 v8, 64, v8
	v_addc_co_u32_e64 v3, s[2:3], 0, v3, s[2:3]
	s_andn2_b64 exec, exec, s[6:7]
	s_cbranch_execz .LBB172_90
.LBB172_86:                             ; =>This Inner Loop Header: Depth=1
	s_and_saveexec_b64 s[2:3], vcc
	s_cbranch_execz .LBB172_88
; %bb.87:                               ;   in Loop: Header=BB172_86 Depth=1
	ds_read_b32 v10, v8
.LBB172_88:                             ;   in Loop: Header=BB172_86 Depth=1
	s_or_b64 exec, exec, s[2:3]
	s_waitcnt lgkmcnt(0)
	ds_bpermute_b32 v11, v4, v10
	s_waitcnt lgkmcnt(0)
	v_add_f32_e32 v10, v10, v11
	ds_bpermute_b32 v11, v5, v10
	s_waitcnt lgkmcnt(0)
	v_add_f32_e32 v10, v10, v11
	;; [unrolled: 3-line block ×3, first 2 shown]
	ds_bpermute_b32 v13, v7, v12
	v_add_co_u32_e64 v10, s[2:3], s4, v0
	v_addc_co_u32_e64 v11, s[2:3], v9, v1, s[2:3]
	v_cmp_le_i64_e64 s[2:3], s[14:15], v[10:11]
	s_or_b64 s[2:3], s[0:1], s[2:3]
	s_or_b64 s[2:3], s[8:9], s[2:3]
	s_waitcnt lgkmcnt(0)
	v_add_f32_e32 v10, v12, v13
	s_xor_b64 s[10:11], s[2:3], -1
	s_and_saveexec_b64 s[2:3], s[10:11]
	s_cbranch_execz .LBB172_85
; %bb.89:                               ;   in Loop: Header=BB172_86 Depth=1
	v_cvt_f16_f32_e32 v11, v10
	global_store_short v[2:3], v11, off
	s_branch .LBB172_85
.LBB172_90:
	s_endpgm
	.section	.rodata,"a",@progbits
	.p2align	6, 0x0
	.amdhsa_kernel _ZN2at6native12_GLOBAL__N_135GammaBetaBackwardCUDAKernelTemplateIN3c104HalfEfLj64ELj16ELj128ELb0ELb0ELb1EEEvllPKT_S7_PKT0_SA_PS5_SB_
		.amdhsa_group_segment_fixed_size 0
		.amdhsa_private_segment_fixed_size 0
		.amdhsa_kernarg_size 320
		.amdhsa_user_sgpr_count 6
		.amdhsa_user_sgpr_private_segment_buffer 1
		.amdhsa_user_sgpr_dispatch_ptr 0
		.amdhsa_user_sgpr_queue_ptr 0
		.amdhsa_user_sgpr_kernarg_segment_ptr 1
		.amdhsa_user_sgpr_dispatch_id 0
		.amdhsa_user_sgpr_flat_scratch_init 0
		.amdhsa_user_sgpr_kernarg_preload_length 0
		.amdhsa_user_sgpr_kernarg_preload_offset 0
		.amdhsa_user_sgpr_private_segment_size 0
		.amdhsa_uses_dynamic_stack 0
		.amdhsa_system_sgpr_private_segment_wavefront_offset 0
		.amdhsa_system_sgpr_workgroup_id_x 1
		.amdhsa_system_sgpr_workgroup_id_y 1
		.amdhsa_system_sgpr_workgroup_id_z 0
		.amdhsa_system_sgpr_workgroup_info 0
		.amdhsa_system_vgpr_workitem_id 1
		.amdhsa_next_free_vgpr 95
		.amdhsa_next_free_sgpr 42
		.amdhsa_accum_offset 96
		.amdhsa_reserve_vcc 1
		.amdhsa_reserve_flat_scratch 0
		.amdhsa_float_round_mode_32 0
		.amdhsa_float_round_mode_16_64 0
		.amdhsa_float_denorm_mode_32 3
		.amdhsa_float_denorm_mode_16_64 3
		.amdhsa_dx10_clamp 1
		.amdhsa_ieee_mode 1
		.amdhsa_fp16_overflow 0
		.amdhsa_tg_split 0
		.amdhsa_exception_fp_ieee_invalid_op 0
		.amdhsa_exception_fp_denorm_src 0
		.amdhsa_exception_fp_ieee_div_zero 0
		.amdhsa_exception_fp_ieee_overflow 0
		.amdhsa_exception_fp_ieee_underflow 0
		.amdhsa_exception_fp_ieee_inexact 0
		.amdhsa_exception_int_div_zero 0
	.end_amdhsa_kernel
	.section	.text._ZN2at6native12_GLOBAL__N_135GammaBetaBackwardCUDAKernelTemplateIN3c104HalfEfLj64ELj16ELj128ELb0ELb0ELb1EEEvllPKT_S7_PKT0_SA_PS5_SB_,"axG",@progbits,_ZN2at6native12_GLOBAL__N_135GammaBetaBackwardCUDAKernelTemplateIN3c104HalfEfLj64ELj16ELj128ELb0ELb0ELb1EEEvllPKT_S7_PKT0_SA_PS5_SB_,comdat
.Lfunc_end172:
	.size	_ZN2at6native12_GLOBAL__N_135GammaBetaBackwardCUDAKernelTemplateIN3c104HalfEfLj64ELj16ELj128ELb0ELb0ELb1EEEvllPKT_S7_PKT0_SA_PS5_SB_, .Lfunc_end172-_ZN2at6native12_GLOBAL__N_135GammaBetaBackwardCUDAKernelTemplateIN3c104HalfEfLj64ELj16ELj128ELb0ELb0ELb1EEEvllPKT_S7_PKT0_SA_PS5_SB_
                                        ; -- End function
	.section	.AMDGPU.csdata,"",@progbits
; Kernel info:
; codeLenInByte = 7172
; NumSgprs: 46
; NumVgprs: 95
; NumAgprs: 0
; TotalNumVgprs: 95
; ScratchSize: 0
; MemoryBound: 0
; FloatMode: 240
; IeeeMode: 1
; LDSByteSize: 0 bytes/workgroup (compile time only)
; SGPRBlocks: 5
; VGPRBlocks: 11
; NumSGPRsForWavesPerEU: 46
; NumVGPRsForWavesPerEU: 95
; AccumOffset: 96
; Occupancy: 5
; WaveLimiterHint : 0
; COMPUTE_PGM_RSRC2:SCRATCH_EN: 0
; COMPUTE_PGM_RSRC2:USER_SGPR: 6
; COMPUTE_PGM_RSRC2:TRAP_HANDLER: 0
; COMPUTE_PGM_RSRC2:TGID_X_EN: 1
; COMPUTE_PGM_RSRC2:TGID_Y_EN: 1
; COMPUTE_PGM_RSRC2:TGID_Z_EN: 0
; COMPUTE_PGM_RSRC2:TIDIG_COMP_CNT: 1
; COMPUTE_PGM_RSRC3_GFX90A:ACCUM_OFFSET: 23
; COMPUTE_PGM_RSRC3_GFX90A:TG_SPLIT: 0
	.section	.text._ZN2at6native12_GLOBAL__N_135GammaBetaBackwardCUDAKernelTemplateIN3c104HalfEfLj64ELj16ELj256ELb0ELb1ELb1EEEvllPKT_S7_PKT0_SA_PS5_SB_,"axG",@progbits,_ZN2at6native12_GLOBAL__N_135GammaBetaBackwardCUDAKernelTemplateIN3c104HalfEfLj64ELj16ELj256ELb0ELb1ELb1EEEvllPKT_S7_PKT0_SA_PS5_SB_,comdat
	.globl	_ZN2at6native12_GLOBAL__N_135GammaBetaBackwardCUDAKernelTemplateIN3c104HalfEfLj64ELj16ELj256ELb0ELb1ELb1EEEvllPKT_S7_PKT0_SA_PS5_SB_ ; -- Begin function _ZN2at6native12_GLOBAL__N_135GammaBetaBackwardCUDAKernelTemplateIN3c104HalfEfLj64ELj16ELj256ELb0ELb1ELb1EEEvllPKT_S7_PKT0_SA_PS5_SB_
	.p2align	8
	.type	_ZN2at6native12_GLOBAL__N_135GammaBetaBackwardCUDAKernelTemplateIN3c104HalfEfLj64ELj16ELj256ELb0ELb1ELb1EEEvllPKT_S7_PKT0_SA_PS5_SB_,@function
_ZN2at6native12_GLOBAL__N_135GammaBetaBackwardCUDAKernelTemplateIN3c104HalfEfLj64ELj16ELj256ELb0ELb1ELb1EEEvllPKT_S7_PKT0_SA_PS5_SB_: ; @_ZN2at6native12_GLOBAL__N_135GammaBetaBackwardCUDAKernelTemplateIN3c104HalfEfLj64ELj16ELj256ELb0ELb1ELb1EEEvllPKT_S7_PKT0_SA_PS5_SB_
; %bb.0:
	s_load_dwordx4 s[8:11], s[4:5], 0x0
	s_lshl_b32 s16, s7, 8
	s_mov_b32 s17, 0
	v_bfe_u32 v11, v0, 10, 10
	s_waitcnt lgkmcnt(0)
	v_pk_mov_b32 v[2:3], s[8:9], s[8:9] op_sel:[0,1]
	v_cmp_lt_i64_e32 vcc, s[16:17], v[2:3]
	s_cbranch_vccnz .LBB173_2
; %bb.1:
	s_mov_b64 s[0:1], 0
	v_bfe_u32 v5, v0, 10, 10
	s_branch .LBB173_3
.LBB173_2:
	s_mov_b64 s[0:1], -1
                                        ; implicit-def: $vgpr5
.LBB173_3:
	s_load_dwordx2 s[2:3], s[4:5], 0x30
	v_and_b32_e32 v6, 0x3ff, v0
	s_andn2_b64 vcc, exec, s[0:1]
	v_mov_b32_e32 v1, s17
	v_mbcnt_lo_u32_b32 v10, -1, 0
	s_cbranch_vccnz .LBB173_11
; %bb.4:
	s_load_dword s0, s[4:5], 0x4c
	s_load_dword s7, s[4:5], 0x44
	s_load_dwordx4 s[12:15], s[4:5], 0x10
	s_load_dwordx2 s[18:19], s[4:5], 0x28
	v_mbcnt_hi_u32_b32 v4, -1, v10
	v_lshlrev_b32_e32 v2, 4, v11
	s_waitcnt lgkmcnt(0)
	s_and_b32 s0, s0, 0xffff
	v_lshlrev_b32_e32 v4, 2, v4
	v_mad_u32_u24 v0, v11, s0, v6
	v_and_b32_e32 v12, 0x100, v4
	v_mov_b32_e32 v4, s17
	v_add_co_u32_e32 v7, vcc, s16, v2
	v_and_b32_e32 v3, 63, v0
	v_addc_co_u32_e32 v8, vcc, 0, v4, vcc
	v_add_co_u32_e32 v2, vcc, v7, v3
	v_cmp_gt_u32_e64 s[0:1], 16, v3
	v_addc_co_u32_e32 v3, vcc, 0, v8, vcc
	v_lshlrev_b64 v[4:5], 2, v[2:3]
	v_mov_b32_e32 v9, s19
	v_add_co_u32_e32 v4, vcc, s18, v4
	s_lshl_b32 s4, s7, 8
	v_addc_co_u32_e32 v5, vcc, v9, v5, vcc
	v_mul_lo_u32 v28, s11, v7
	v_mul_lo_u32 v29, s10, v8
	v_mad_u64_u32 v[8:9], s[20:21], s10, v7, 0
	v_mov_b32_e32 v1, 0
	v_lshl_add_u32 v0, s6, 6, v6
	v_add3_u32 v9, v9, v29, v28
	s_mul_i32 s7, s11, s4
	s_mul_hi_u32 s20, s10, s4
	s_mov_b32 s5, 0
	v_lshlrev_b64 v[8:9], 1, v[8:9]
	v_lshlrev_b64 v[28:29], 1, v[0:1]
	s_add_i32 s21, s20, s7
	s_mul_i32 s20, s10, s4
	s_lshl_b64 s[18:19], s[4:5], 2
	v_add_co_u32_e32 v0, vcc, v8, v28
	s_lshl_b64 s[20:21], s[20:21], 1
	s_lshl_b64 s[10:11], s[10:11], 1
	v_or_b32_e32 v13, 4, v12
	v_or_b32_e32 v14, 8, v12
	;; [unrolled: 1-line block ×15, first 2 shown]
	v_addc_co_u32_e32 v7, vcc, v9, v29, vcc
	v_mov_b32_e32 v28, s13
	v_mov_b32_e32 v29, s15
	;; [unrolled: 1-line block ×6, first 2 shown]
	v_pk_mov_b32 v[8:9], s[8:9], s[8:9] op_sel:[0,1]
	s_branch .LBB173_7
.LBB173_5:                              ;   in Loop: Header=BB173_7 Depth=1
	s_or_b64 exec, exec, s[24:25]
.LBB173_6:                              ;   in Loop: Header=BB173_7 Depth=1
	s_or_b64 exec, exec, s[22:23]
	v_add_co_u32_e32 v36, vcc, s12, v0
	v_addc_co_u32_e32 v37, vcc, v28, v7, vcc
	v_add_co_u32_e32 v38, vcc, s14, v0
	v_addc_co_u32_e32 v39, vcc, v29, v7, vcc
	global_load_ushort v35, v[36:37], off
	global_load_ushort v42, v[38:39], off
	v_add_co_u32_e32 v36, vcc, s10, v36
	v_addc_co_u32_e32 v37, vcc, v37, v30, vcc
	v_add_co_u32_e32 v38, vcc, s10, v38
	v_addc_co_u32_e32 v39, vcc, v39, v30, vcc
	global_load_ushort v43, v[36:37], off
	global_load_ushort v44, v[38:39], off
	;; [unrolled: 6-line block ×4, first 2 shown]
	v_add_co_u32_e32 v36, vcc, s10, v36
	v_addc_co_u32_e32 v37, vcc, v37, v30, vcc
	v_add_co_u32_e32 v38, vcc, s10, v38
	v_addc_co_u32_e32 v39, vcc, v39, v30, vcc
	global_load_ushort v49, v[36:37], off
	v_add_co_u32_e32 v36, vcc, s10, v36
	v_addc_co_u32_e32 v37, vcc, v37, v30, vcc
	global_load_ushort v50, v[38:39], off
	v_add_co_u32_e32 v38, vcc, s10, v38
	v_addc_co_u32_e32 v39, vcc, v39, v30, vcc
	global_load_ushort v51, v[36:37], off
	v_add_co_u32_e32 v36, vcc, s10, v36
	v_addc_co_u32_e32 v37, vcc, v37, v30, vcc
	global_load_ushort v52, v[38:39], off
	v_add_co_u32_e32 v38, vcc, s10, v38
	v_addc_co_u32_e32 v39, vcc, v39, v30, vcc
	global_load_ushort v53, v[36:37], off
	v_add_co_u32_e32 v36, vcc, s10, v36
	v_addc_co_u32_e32 v37, vcc, v37, v30, vcc
	global_load_ushort v54, v[38:39], off
	v_add_co_u32_e32 v38, vcc, s10, v38
	v_addc_co_u32_e32 v39, vcc, v39, v30, vcc
	global_load_ushort v55, v[36:37], off
	v_add_co_u32_e32 v36, vcc, s10, v36
	v_addc_co_u32_e32 v37, vcc, v37, v30, vcc
	global_load_ushort v56, v[38:39], off
	v_add_co_u32_e32 v38, vcc, s10, v38
	v_addc_co_u32_e32 v39, vcc, v39, v30, vcc
	global_load_ushort v57, v[36:37], off
	v_add_co_u32_e32 v36, vcc, s10, v36
	v_addc_co_u32_e32 v37, vcc, v37, v30, vcc
	global_load_ushort v58, v[38:39], off
	v_add_co_u32_e32 v38, vcc, s10, v38
	v_addc_co_u32_e32 v39, vcc, v39, v30, vcc
	global_load_ushort v59, v[36:37], off
	v_add_co_u32_e32 v36, vcc, s10, v36
	v_addc_co_u32_e32 v37, vcc, v37, v30, vcc
	v_add_co_u32_e32 v40, vcc, s10, v38
	v_addc_co_u32_e32 v41, vcc, v39, v30, vcc
	global_load_ushort v60, v[38:39], off
	v_add_co_u32_e32 v38, vcc, s10, v36
	global_load_ushort v61, v[36:37], off
	s_waitcnt vmcnt(20)
	v_cvt_f32_f16_e32 v35, v35
	s_waitcnt vmcnt(19)
	v_cvt_f32_f16_e32 v36, v42
	v_addc_co_u32_e32 v39, vcc, v37, v30, vcc
	global_load_ushort v42, v[38:39], off
	v_mul_f32_e32 v35, v35, v36
	ds_bpermute_b32 v36, v12, v34
	s_add_u32 s16, s16, s4
	s_addc_u32 s17, s17, 0
	s_waitcnt lgkmcnt(0)
	v_fmac_f32_e32 v1, v35, v36
	v_add_co_u32_e32 v36, vcc, s10, v40
	v_addc_co_u32_e32 v37, vcc, v41, v30, vcc
	global_load_ushort v35, v[40:41], off
	v_add_co_u32_e32 v40, vcc, s10, v38
	v_addc_co_u32_e32 v41, vcc, v39, v30, vcc
	s_waitcnt vmcnt(20)
	v_cvt_f32_f16_e32 v38, v43
	s_waitcnt vmcnt(19)
	v_cvt_f32_f16_e32 v39, v44
	global_load_ushort v43, v[36:37], off
	global_load_ushort v44, v[40:41], off
	v_mul_f32_e32 v38, v38, v39
	ds_bpermute_b32 v39, v13, v34
	s_waitcnt lgkmcnt(0)
	v_fmac_f32_e32 v1, v38, v39
	v_add_co_u32_e32 v38, vcc, s10, v36
	v_addc_co_u32_e32 v39, vcc, v37, v30, vcc
	v_add_co_u32_e32 v36, vcc, s10, v40
	v_addc_co_u32_e32 v37, vcc, v41, v30, vcc
	s_waitcnt vmcnt(20)
	v_cvt_f32_f16_e32 v40, v45
	s_waitcnt vmcnt(19)
	v_cvt_f32_f16_e32 v41, v46
	global_load_ushort v45, v[38:39], off
	global_load_ushort v46, v[36:37], off
	v_mul_f32_e32 v40, v40, v41
	ds_bpermute_b32 v41, v14, v34
	s_waitcnt lgkmcnt(0)
	v_fmac_f32_e32 v1, v40, v41
	v_add_co_u32_e32 v40, vcc, s10, v38
	v_addc_co_u32_e32 v41, vcc, v39, v30, vcc
	;; [unrolled: 14-line block ×3, first 2 shown]
	v_add_co_u32_e32 v40, vcc, s10, v38
	v_addc_co_u32_e32 v41, vcc, v39, v30, vcc
	v_add_co_u32_e32 v38, vcc, s10, v36
	v_addc_co_u32_e32 v39, vcc, v37, v30, vcc
	global_load_ushort v62, v[36:37], off
	global_load_ushort v63, v[40:41], off
                                        ; kill: killed $vgpr36 killed $vgpr37
                                        ; kill: killed $vgpr40 killed $vgpr41
	s_nop 0
	global_load_ushort v36, v[38:39], off
	s_waitcnt vmcnt(23)
	v_cvt_f32_f16_e32 v37, v49
	s_waitcnt vmcnt(22)
	v_cvt_f32_f16_e32 v38, v50
	;; [unrolled: 2-line block ×4, first 2 shown]
	ds_bpermute_b32 v58, v16, v34
	v_cvt_f32_f16_e32 v39, v51
	v_cvt_f32_f16_e32 v40, v52
	v_mul_f32_e32 v37, v37, v38
	ds_bpermute_b32 v38, v17, v34
	v_cvt_f32_f16_e32 v49, v54
	s_waitcnt lgkmcnt(1)
	v_fmac_f32_e32 v1, v37, v58
	ds_bpermute_b32 v37, v18, v34
	v_mul_f32_e32 v39, v39, v40
	v_cvt_f32_f16_e32 v50, v55
	v_cvt_f32_f16_e32 v51, v56
	s_waitcnt lgkmcnt(1)
	v_fmac_f32_e32 v1, v39, v38
	ds_bpermute_b32 v38, v19, v34
	v_mul_f32_e32 v39, v41, v49
	v_cvt_f32_f16_e32 v52, v57
	s_waitcnt lgkmcnt(1)
	v_fmac_f32_e32 v1, v39, v37
	ds_bpermute_b32 v37, v20, v34
	v_mul_f32_e32 v39, v50, v51
	s_waitcnt vmcnt(13)
	v_cvt_f32_f16_e32 v54, v59
	s_waitcnt vmcnt(12)
	v_cvt_f32_f16_e32 v55, v60
	s_waitcnt lgkmcnt(1)
	v_fmac_f32_e32 v1, v39, v38
	ds_bpermute_b32 v38, v21, v34
	v_mul_f32_e32 v39, v52, v53
	s_waitcnt vmcnt(11)
	v_cvt_f32_f16_e32 v56, v61
	s_waitcnt vmcnt(9)
	v_cvt_f32_f16_e32 v35, v35
	s_waitcnt lgkmcnt(1)
	v_fmac_f32_e32 v1, v39, v37
	ds_bpermute_b32 v37, v22, v34
	v_mul_f32_e32 v39, v54, v55
	v_cvt_f32_f16_e32 v42, v42
	s_waitcnt vmcnt(8)
	v_cvt_f32_f16_e32 v43, v43
	s_waitcnt lgkmcnt(1)
	v_fmac_f32_e32 v1, v39, v38
	ds_bpermute_b32 v38, v23, v34
	v_mul_f32_e32 v35, v56, v35
	s_waitcnt vmcnt(7)
	v_cvt_f32_f16_e32 v44, v44
	s_waitcnt vmcnt(6)
	v_cvt_f32_f16_e32 v45, v45
	s_waitcnt lgkmcnt(1)
	v_fmac_f32_e32 v1, v35, v37
	ds_bpermute_b32 v35, v24, v34
	v_mul_f32_e32 v37, v42, v43
	s_waitcnt vmcnt(5)
	v_cvt_f32_f16_e32 v46, v46
	s_waitcnt lgkmcnt(1)
	v_fmac_f32_e32 v1, v37, v38
	v_mul_f32_e32 v37, v44, v45
	ds_bpermute_b32 v38, v25, v34
	v_add_co_u32_e32 v4, vcc, s18, v4
	s_waitcnt lgkmcnt(1)
	v_fmac_f32_e32 v1, v37, v35
	ds_bpermute_b32 v35, v26, v34
	v_addc_co_u32_e32 v5, vcc, v5, v31, vcc
	ds_bpermute_b32 v34, v27, v34
	v_add_co_u32_e32 v2, vcc, s4, v2
	v_addc_co_u32_e32 v3, vcc, v3, v32, vcc
	s_waitcnt vmcnt(4)
	v_cvt_f32_f16_e32 v47, v47
	s_waitcnt vmcnt(3)
	v_cvt_f32_f16_e32 v48, v48
	v_add_co_u32_e32 v0, vcc, s20, v0
	v_mul_f32_e32 v37, v46, v47
	s_waitcnt lgkmcnt(2)
	v_fmac_f32_e32 v1, v37, v38
	v_addc_co_u32_e32 v7, vcc, v7, v33, vcc
	v_cmp_lt_i64_e32 vcc, s[16:17], v[8:9]
	s_and_b64 vcc, exec, vcc
	s_waitcnt vmcnt(2)
	v_cvt_f32_f16_e32 v57, v62
	s_waitcnt vmcnt(1)
	v_cvt_f32_f16_e32 v59, v63
	;; [unrolled: 2-line block ×3, first 2 shown]
	v_mul_f32_e32 v37, v48, v57
	s_waitcnt lgkmcnt(1)
	v_fmac_f32_e32 v1, v37, v35
	v_mul_f32_e32 v35, v59, v36
	s_waitcnt lgkmcnt(0)
	v_fmac_f32_e32 v1, v35, v34
	s_cbranch_vccz .LBB173_10
.LBB173_7:                              ; =>This Inner Loop Header: Depth=1
	v_mov_b32_e32 v34, 0
	s_and_saveexec_b64 s[22:23], s[0:1]
	s_cbranch_execz .LBB173_6
; %bb.8:                                ;   in Loop: Header=BB173_7 Depth=1
	v_cmp_gt_i64_e32 vcc, s[8:9], v[2:3]
	v_mov_b32_e32 v34, 0
	s_and_saveexec_b64 s[24:25], vcc
	s_cbranch_execz .LBB173_5
; %bb.9:                                ;   in Loop: Header=BB173_7 Depth=1
	global_load_dword v34, v[4:5], off
	s_branch .LBB173_5
.LBB173_10:
	v_mov_b32_e32 v5, v11
.LBB173_11:
	s_movk_i32 s0, 0x41
	v_mad_u32_u24 v0, v5, s0, v6
	v_lshl_add_u32 v0, v0, 2, 0
	ds_write_b32 v0, v1
	v_mov_b32_e32 v1, 0
	ds_write_b32 v0, v1 offset:4160
	v_lshrrev_b32_e32 v0, 6, v6
	v_add_u32_e32 v1, v0, v5
	s_mov_b32 s7, 0
	v_cmp_gt_u32_e32 vcc, 64, v1
	s_waitcnt lgkmcnt(0)
	s_barrier
	s_and_saveexec_b64 s[0:1], vcc
	s_cbranch_execz .LBB173_18
; %bb.12:
	v_mbcnt_hi_u32_b32 v7, -1, v10
	v_and_b32_e32 v2, 63, v6
	v_and_b32_e32 v3, 64, v7
	s_cmp_lg_u64 s[2:3], 0
	v_cmp_gt_u32_e32 vcc, 16, v2
	v_add_u32_e32 v8, 64, v3
	v_cmp_eq_u32_e64 s[0:1], 0, v6
	s_cselect_b64 s[8:9], -1, 0
	v_mul_u32_u24_e32 v9, 0x104, v2
	v_xor_b32_e32 v2, 8, v7
	s_and_b64 s[8:9], s[0:1], s[8:9]
	v_cmp_lt_i32_e64 s[0:1], v2, v8
	v_xor_b32_e32 v3, 4, v7
	v_cndmask_b32_e64 v2, v7, v2, s[0:1]
	v_cmp_lt_i32_e64 s[0:1], v3, v8
	v_xor_b32_e32 v4, 2, v7
	v_cndmask_b32_e64 v3, v7, v3, s[0:1]
	v_cmp_lt_i32_e64 s[0:1], v4, v8
	v_xor_b32_e32 v6, 1, v7
	v_cndmask_b32_e64 v4, v7, v4, s[0:1]
	v_cmp_lt_i32_e64 s[0:1], v6, v8
	v_cndmask_b32_e64 v6, v7, v6, s[0:1]
	v_add_co_u32_e64 v0, s[0:1], v0, v5
	s_lshl_b64 s[6:7], s[6:7], 7
	v_lshlrev_b32_e32 v7, 2, v1
	v_add_u32_e32 v8, -16, v1
	v_addc_co_u32_e64 v1, s[0:1], 0, 0, s[0:1]
	s_add_u32 s0, s2, s6
	v_lshlrev_b64 v[0:1], 1, v[0:1]
	s_addc_u32 s1, s3, s7
	v_mov_b32_e32 v5, s1
	v_add_co_u32_e64 v0, s[0:1], s0, v0
	s_mov_b64 s[4:5], 0
	v_lshlrev_b32_e32 v2, 2, v2
	v_lshlrev_b32_e32 v3, 2, v3
	;; [unrolled: 1-line block ×4, first 2 shown]
	v_add3_u32 v7, v9, v7, 0
	v_addc_co_u32_e64 v1, s[0:1], v5, v1, s[0:1]
                                        ; implicit-def: $vgpr5
	s_branch .LBB173_14
.LBB173_13:                             ;   in Loop: Header=BB173_14 Depth=1
	s_or_b64 exec, exec, s[0:1]
	v_add_u32_e32 v8, 16, v8
	v_cmp_lt_u32_e64 s[0:1], 47, v8
	s_or_b64 s[4:5], s[0:1], s[4:5]
	v_add_co_u32_e64 v0, s[0:1], 32, v0
	v_add_u32_e32 v7, 64, v7
	v_addc_co_u32_e64 v1, s[0:1], 0, v1, s[0:1]
	s_andn2_b64 exec, exec, s[4:5]
	s_cbranch_execz .LBB173_18
.LBB173_14:                             ; =>This Inner Loop Header: Depth=1
	s_and_saveexec_b64 s[0:1], vcc
	s_cbranch_execz .LBB173_16
; %bb.15:                               ;   in Loop: Header=BB173_14 Depth=1
	ds_read_b32 v5, v7
.LBB173_16:                             ;   in Loop: Header=BB173_14 Depth=1
	s_or_b64 exec, exec, s[0:1]
	s_waitcnt lgkmcnt(0)
	ds_bpermute_b32 v9, v2, v5
	s_waitcnt lgkmcnt(0)
	v_add_f32_e32 v5, v5, v9
	ds_bpermute_b32 v9, v3, v5
	s_waitcnt lgkmcnt(0)
	v_add_f32_e32 v5, v5, v9
	ds_bpermute_b32 v9, v4, v5
	s_waitcnt lgkmcnt(0)
	v_add_f32_e32 v5, v5, v9
	ds_bpermute_b32 v9, v6, v5
	s_waitcnt lgkmcnt(0)
	v_add_f32_e32 v5, v5, v9
	s_and_saveexec_b64 s[0:1], s[8:9]
	s_cbranch_execz .LBB173_13
; %bb.17:                               ;   in Loop: Header=BB173_14 Depth=1
	v_cvt_f16_f32_e32 v9, v5
	global_store_short v[0:1], v9, off
	s_branch .LBB173_13
.LBB173_18:
	s_endpgm
	.section	.rodata,"a",@progbits
	.p2align	6, 0x0
	.amdhsa_kernel _ZN2at6native12_GLOBAL__N_135GammaBetaBackwardCUDAKernelTemplateIN3c104HalfEfLj64ELj16ELj256ELb0ELb1ELb1EEEvllPKT_S7_PKT0_SA_PS5_SB_
		.amdhsa_group_segment_fixed_size 0
		.amdhsa_private_segment_fixed_size 0
		.amdhsa_kernarg_size 320
		.amdhsa_user_sgpr_count 6
		.amdhsa_user_sgpr_private_segment_buffer 1
		.amdhsa_user_sgpr_dispatch_ptr 0
		.amdhsa_user_sgpr_queue_ptr 0
		.amdhsa_user_sgpr_kernarg_segment_ptr 1
		.amdhsa_user_sgpr_dispatch_id 0
		.amdhsa_user_sgpr_flat_scratch_init 0
		.amdhsa_user_sgpr_kernarg_preload_length 0
		.amdhsa_user_sgpr_kernarg_preload_offset 0
		.amdhsa_user_sgpr_private_segment_size 0
		.amdhsa_uses_dynamic_stack 0
		.amdhsa_system_sgpr_private_segment_wavefront_offset 0
		.amdhsa_system_sgpr_workgroup_id_x 1
		.amdhsa_system_sgpr_workgroup_id_y 1
		.amdhsa_system_sgpr_workgroup_id_z 0
		.amdhsa_system_sgpr_workgroup_info 0
		.amdhsa_system_vgpr_workitem_id 1
		.amdhsa_next_free_vgpr 64
		.amdhsa_next_free_sgpr 26
		.amdhsa_accum_offset 64
		.amdhsa_reserve_vcc 1
		.amdhsa_reserve_flat_scratch 0
		.amdhsa_float_round_mode_32 0
		.amdhsa_float_round_mode_16_64 0
		.amdhsa_float_denorm_mode_32 3
		.amdhsa_float_denorm_mode_16_64 3
		.amdhsa_dx10_clamp 1
		.amdhsa_ieee_mode 1
		.amdhsa_fp16_overflow 0
		.amdhsa_tg_split 0
		.amdhsa_exception_fp_ieee_invalid_op 0
		.amdhsa_exception_fp_denorm_src 0
		.amdhsa_exception_fp_ieee_div_zero 0
		.amdhsa_exception_fp_ieee_overflow 0
		.amdhsa_exception_fp_ieee_underflow 0
		.amdhsa_exception_fp_ieee_inexact 0
		.amdhsa_exception_int_div_zero 0
	.end_amdhsa_kernel
	.section	.text._ZN2at6native12_GLOBAL__N_135GammaBetaBackwardCUDAKernelTemplateIN3c104HalfEfLj64ELj16ELj256ELb0ELb1ELb1EEEvllPKT_S7_PKT0_SA_PS5_SB_,"axG",@progbits,_ZN2at6native12_GLOBAL__N_135GammaBetaBackwardCUDAKernelTemplateIN3c104HalfEfLj64ELj16ELj256ELb0ELb1ELb1EEEvllPKT_S7_PKT0_SA_PS5_SB_,comdat
.Lfunc_end173:
	.size	_ZN2at6native12_GLOBAL__N_135GammaBetaBackwardCUDAKernelTemplateIN3c104HalfEfLj64ELj16ELj256ELb0ELb1ELb1EEEvllPKT_S7_PKT0_SA_PS5_SB_, .Lfunc_end173-_ZN2at6native12_GLOBAL__N_135GammaBetaBackwardCUDAKernelTemplateIN3c104HalfEfLj64ELj16ELj256ELb0ELb1ELb1EEEvllPKT_S7_PKT0_SA_PS5_SB_
                                        ; -- End function
	.section	.AMDGPU.csdata,"",@progbits
; Kernel info:
; codeLenInByte = 2052
; NumSgprs: 30
; NumVgprs: 64
; NumAgprs: 0
; TotalNumVgprs: 64
; ScratchSize: 0
; MemoryBound: 0
; FloatMode: 240
; IeeeMode: 1
; LDSByteSize: 0 bytes/workgroup (compile time only)
; SGPRBlocks: 3
; VGPRBlocks: 7
; NumSGPRsForWavesPerEU: 30
; NumVGPRsForWavesPerEU: 64
; AccumOffset: 64
; Occupancy: 8
; WaveLimiterHint : 0
; COMPUTE_PGM_RSRC2:SCRATCH_EN: 0
; COMPUTE_PGM_RSRC2:USER_SGPR: 6
; COMPUTE_PGM_RSRC2:TRAP_HANDLER: 0
; COMPUTE_PGM_RSRC2:TGID_X_EN: 1
; COMPUTE_PGM_RSRC2:TGID_Y_EN: 1
; COMPUTE_PGM_RSRC2:TGID_Z_EN: 0
; COMPUTE_PGM_RSRC2:TIDIG_COMP_CNT: 1
; COMPUTE_PGM_RSRC3_GFX90A:ACCUM_OFFSET: 15
; COMPUTE_PGM_RSRC3_GFX90A:TG_SPLIT: 0
	.section	.text._ZN2at6native12_GLOBAL__N_135GammaBetaBackwardCUDAKernelTemplateIN3c104HalfEfLj64ELj16ELj256ELb0ELb0ELb1EEEvllPKT_S7_PKT0_SA_PS5_SB_,"axG",@progbits,_ZN2at6native12_GLOBAL__N_135GammaBetaBackwardCUDAKernelTemplateIN3c104HalfEfLj64ELj16ELj256ELb0ELb0ELb1EEEvllPKT_S7_PKT0_SA_PS5_SB_,comdat
	.globl	_ZN2at6native12_GLOBAL__N_135GammaBetaBackwardCUDAKernelTemplateIN3c104HalfEfLj64ELj16ELj256ELb0ELb0ELb1EEEvllPKT_S7_PKT0_SA_PS5_SB_ ; -- Begin function _ZN2at6native12_GLOBAL__N_135GammaBetaBackwardCUDAKernelTemplateIN3c104HalfEfLj64ELj16ELj256ELb0ELb0ELb1EEEvllPKT_S7_PKT0_SA_PS5_SB_
	.p2align	8
	.type	_ZN2at6native12_GLOBAL__N_135GammaBetaBackwardCUDAKernelTemplateIN3c104HalfEfLj64ELj16ELj256ELb0ELb0ELb1EEEvllPKT_S7_PKT0_SA_PS5_SB_,@function
_ZN2at6native12_GLOBAL__N_135GammaBetaBackwardCUDAKernelTemplateIN3c104HalfEfLj64ELj16ELj256ELb0ELb0ELb1EEEvllPKT_S7_PKT0_SA_PS5_SB_: ; @_ZN2at6native12_GLOBAL__N_135GammaBetaBackwardCUDAKernelTemplateIN3c104HalfEfLj64ELj16ELj256ELb0ELb0ELb1EEEvllPKT_S7_PKT0_SA_PS5_SB_
; %bb.0:
	s_mov_b64 s[54:55], s[2:3]
	s_load_dwordx8 s[36:43], s[4:5], 0x0
	s_load_dwordx2 s[28:29], s[4:5], 0x28
	s_mov_b64 s[52:53], s[0:1]
	s_add_u32 s52, s52, s8
	s_addc_u32 s53, s53, 0
	s_lshl_b32 s33, s6, 6
	v_mov_b32_e32 v122, v0
	s_or_b32 s30, s33, 63
	s_mov_b32 s31, 0
	s_waitcnt lgkmcnt(0)
	v_pk_mov_b32 v[0:1], s[38:39], s[38:39] op_sel:[0,1]
	v_cmp_ge_i64_e32 vcc, s[30:31], v[0:1]
	s_lshl_b32 s30, s7, 8
	v_pk_mov_b32 v[0:1], s[36:37], s[36:37] op_sel:[0,1]
	v_cmp_lt_i64_e64 s[0:1], s[30:31], v[0:1]
	v_cndmask_b32_e64 v0, 0, 1, s[0:1]
	v_cmp_ne_u32_e64 s[0:1], 1, v0
	s_cbranch_vccz .LBB174_81
; %bb.1:
	s_and_b64 vcc, exec, s[0:1]
	v_mov_b32_e32 v2, 0
	s_cbranch_vccnz .LBB174_82
; %bb.2:
	v_bfe_u32 v0, v122, 10, 10
	v_lshlrev_b32_e32 v50, 4, v0
	v_mov_b32_e32 v1, s31
	v_add_co_u32_e32 v2, vcc, s30, v50
	v_addc_co_u32_e32 v8, vcc, 0, v1, vcc
	v_add_co_u32_e32 v1, vcc, 15, v2
	v_addc_co_u32_e32 v3, vcc, 0, v8, vcc
	v_mul_lo_u32 v6, s39, v1
	v_mul_lo_u32 v3, s38, v3
	v_mad_u64_u32 v[4:5], s[2:3], s38, v1, 0
	v_add3_u32 v5, v5, v3, v6
	v_lshlrev_b64 v[6:7], 1, v[4:5]
	v_mov_b32_e32 v3, s41
	v_add_co_u32_e32 v52, vcc, s40, v6
	v_addc_co_u32_e32 v1, vcc, v3, v7, vcc
	v_mov_b32_e32 v4, s43
	v_add_co_u32_e32 v54, vcc, s42, v6
	v_addc_co_u32_e32 v51, vcc, v4, v7, vcc
	v_add_co_u32_e32 v5, vcc, 14, v2
	v_addc_co_u32_e32 v6, vcc, 0, v8, vcc
	v_mul_lo_u32 v9, s39, v5
	v_mul_lo_u32 v10, s38, v6
	v_mad_u64_u32 v[6:7], s[2:3], s38, v5, 0
	v_add3_u32 v7, v7, v10, v9
	v_lshlrev_b64 v[6:7], 1, v[6:7]
	v_add_co_u32_e32 v56, vcc, s40, v6
	v_addc_co_u32_e32 v53, vcc, v3, v7, vcc
	v_add_co_u32_e32 v58, vcc, s42, v6
	v_addc_co_u32_e32 v55, vcc, v4, v7, vcc
	v_add_co_u32_e32 v5, vcc, 13, v2
	v_addc_co_u32_e32 v6, vcc, 0, v8, vcc
	v_mul_lo_u32 v9, s39, v5
	v_mul_lo_u32 v10, s38, v6
	v_mad_u64_u32 v[6:7], s[2:3], s38, v5, 0
	v_add3_u32 v7, v7, v10, v9
	v_lshlrev_b64 v[6:7], 1, v[6:7]
	v_add_co_u32_e32 v60, vcc, s40, v6
	v_addc_co_u32_e32 v57, vcc, v3, v7, vcc
	;; [unrolled: 11-line block ×13, first 2 shown]
	v_add_co_u32_e32 v106, vcc, s42, v6
	v_addc_co_u32_e32 v103, vcc, v4, v7, vcc
	v_pk_mov_b32 v[6:7], s[38:39], s[38:39] op_sel:[0,1]
	v_mad_u64_u32 v[6:7], s[2:3], s38, v2, v[6:7]
	v_mul_lo_u32 v5, s38, v8
	v_mul_lo_u32 v10, s39, v2
	v_add3_u32 v7, v10, v7, v5
	v_lshlrev_b64 v[6:7], 1, v[6:7]
	v_add_co_u32_e32 v108, vcc, s40, v6
	s_load_dword s7, s[4:5], 0x44
	v_mad_u64_u32 v[8:9], s[2:3], s38, v2, 0
	v_addc_co_u32_e32 v105, vcc, v3, v7, vcc
	v_add3_u32 v9, v9, v5, v10
	v_add_co_u32_e32 v110, vcc, s42, v6
	v_addc_co_u32_e32 v107, vcc, v4, v7, vcc
	v_lshlrev_b64 v[6:7], 1, v[8:9]
	v_add_co_u32_e32 v112, vcc, s40, v6
	s_add_u32 s10, s4, 64
	v_addc_co_u32_e32 v109, vcc, v3, v7, vcc
	s_addc_u32 s11, s5, 0
	s_waitcnt lgkmcnt(0)
	s_lshl_b32 s7, s7, 8
	v_add_co_u32_e32 v114, vcc, s42, v6
	s_mul_i32 s8, s39, s7
	s_mul_hi_u32 s9, s38, s7
	v_addc_co_u32_e32 v111, vcc, v4, v7, vcc
	s_add_i32 s9, s9, s8
	s_mul_i32 s8, s38, s7
	v_mbcnt_lo_u32_b32 v4, -1, 0
	v_and_b32_e32 v113, 0x3ff, v122
	s_lshl_b64 s[34:35], s[8:9], 1
	v_mbcnt_hi_u32_b32 v4, -1, v4
	v_add_u32_e32 v2, s33, v113
	v_mov_b32_e32 v3, 0
	s_add_u32 s44, s30, 0xff
	v_lshlrev_b32_e32 v4, 2, v4
	s_mov_b32 s12, 0
	v_cmp_gt_i64_e64 s[2:3], s[38:39], v[2:3]
	s_addc_u32 s45, 0, 0
	v_and_b32_e32 v115, 0x100, v4
	s_mov_b64 s[46:47], s[30:31]
	v_mov_b32_e32 v118, 0
	v_lshlrev_b64 v[116:117], 1, v[2:3]
.LBB174_3:                              ; =>This Inner Loop Header: Depth=1
	v_pk_mov_b32 v[4:5], s[36:37], s[36:37] op_sel:[0,1]
	v_cmp_ge_i64_e32 vcc, s[44:45], v[4:5]
	v_mov_b32_e32 v2, s45
	v_add_co_u32_e64 v119, s[8:9], s44, v50
	v_addc_co_u32_e64 v120, s[8:9], 0, v2, s[8:9]
	s_cbranch_vccz .LBB174_41
; %bb.4:                                ;   in Loop: Header=BB174_3 Depth=1
	s_load_dword s8, s[10:11], 0xc
	v_mov_b32_e32 v121, 0
	s_waitcnt lgkmcnt(0)
	s_and_b32 s8, s8, 0xffff
	v_mad_u32_u24 v2, v0, s8, v113
	v_and_b32_e32 v2, 63, v2
	v_cmp_gt_u32_e32 vcc, 16, v2
	s_and_saveexec_b64 s[8:9], vcc
	s_cbranch_execz .LBB174_8
; %bb.5:                                ;   in Loop: Header=BB174_3 Depth=1
	v_add_co_u32_e32 v2, vcc, v119, v2
	v_addc_co_u32_e32 v5, vcc, 0, v120, vcc
	v_add_co_u32_e32 v4, vcc, 0xffffff01, v2
	v_addc_co_u32_e32 v5, vcc, -1, v5, vcc
	v_cmp_gt_i64_e32 vcc, s[36:37], v[4:5]
	v_mov_b32_e32 v121, 0
	s_and_saveexec_b64 s[14:15], vcc
	s_cbranch_execz .LBB174_7
; %bb.6:                                ;   in Loop: Header=BB174_3 Depth=1
	v_lshlrev_b64 v[4:5], 2, v[4:5]
	v_mov_b32_e32 v2, s29
	v_add_co_u32_e32 v4, vcc, s28, v4
	v_addc_co_u32_e32 v5, vcc, v2, v5, vcc
	global_load_dword v121, v[4:5], off
.LBB174_7:                              ;   in Loop: Header=BB174_3 Depth=1
	s_or_b64 exec, exec, s[14:15]
.LBB174_8:                              ;   in Loop: Header=BB174_3 Depth=1
	s_or_b64 exec, exec, s[8:9]
	v_add_co_u32_e32 v4, vcc, 0xffffff01, v119
	s_mov_b32 s26, s12
	s_mov_b32 s27, s12
	v_addc_co_u32_e32 v5, vcc, -1, v120, vcc
	s_mov_b32 s13, s12
	s_mov_b32 s14, s12
	;; [unrolled: 1-line block ×13, first 2 shown]
	v_pk_mov_b32 v[32:33], s[26:27], s[26:27] op_sel:[0,1]
	v_cmp_gt_i64_e32 vcc, s[36:37], v[4:5]
	v_pk_mov_b32 v[30:31], s[24:25], s[24:25] op_sel:[0,1]
	v_pk_mov_b32 v[28:29], s[22:23], s[22:23] op_sel:[0,1]
	v_pk_mov_b32 v[26:27], s[20:21], s[20:21] op_sel:[0,1]
	v_pk_mov_b32 v[24:25], s[18:19], s[18:19] op_sel:[0,1]
	v_pk_mov_b32 v[22:23], s[16:17], s[16:17] op_sel:[0,1]
	v_pk_mov_b32 v[20:21], s[14:15], s[14:15] op_sel:[0,1]
	v_pk_mov_b32 v[18:19], s[12:13], s[12:13] op_sel:[0,1]
	v_pk_mov_b32 v[48:49], v[32:33], v[32:33] op_sel:[0,1]
	s_and_b64 s[48:49], s[2:3], vcc
	v_pk_mov_b32 v[46:47], v[30:31], v[30:31] op_sel:[0,1]
	v_pk_mov_b32 v[44:45], v[28:29], v[28:29] op_sel:[0,1]
	;; [unrolled: 1-line block ×7, first 2 shown]
	s_and_saveexec_b64 s[8:9], s[48:49]
	s_cbranch_execz .LBB174_10
; %bb.9:                                ;   in Loop: Header=BB174_3 Depth=1
	v_add_co_u32_e32 v4, vcc, v112, v116
	v_addc_co_u32_e32 v5, vcc, v109, v117, vcc
	global_load_ushort v2, v[4:5], off
	v_add_co_u32_e32 v4, vcc, v114, v116
	v_addc_co_u32_e32 v5, vcc, v111, v117, vcc
	global_load_ushort v18, v[4:5], off
	v_mov_b32_e32 v16, v3
	v_mov_b32_e32 v17, v3
	;; [unrolled: 1-line block ×29, first 2 shown]
	s_waitcnt vmcnt(1)
	v_cvt_f32_f16_e32 v2, v2
	v_pk_mov_b32 v[48:49], v[16:17], v[16:17] op_sel:[0,1]
	v_pk_mov_b32 v[46:47], v[14:15], v[14:15] op_sel:[0,1]
	;; [unrolled: 1-line block ×4, first 2 shown]
	s_waitcnt vmcnt(0)
	v_cvt_f32_f16_e32 v18, v18
	v_pk_mov_b32 v[40:41], v[8:9], v[8:9] op_sel:[0,1]
	v_pk_mov_b32 v[38:39], v[6:7], v[6:7] op_sel:[0,1]
	;; [unrolled: 1-line block ×4, first 2 shown]
.LBB174_10:                             ;   in Loop: Header=BB174_3 Depth=1
	s_or_b64 exec, exec, s[8:9]
	v_add_co_u32_e32 v4, vcc, 0xffffff02, v119
	v_addc_co_u32_e32 v5, vcc, -1, v120, vcc
	v_cmp_gt_i64_e32 vcc, s[36:37], v[4:5]
	s_and_b64 s[14:15], s[2:3], vcc
	s_and_saveexec_b64 s[8:9], s[14:15]
	s_cbranch_execz .LBB174_12
; %bb.11:                               ;   in Loop: Header=BB174_3 Depth=1
	v_add_co_u32_e32 v4, vcc, v108, v116
	v_addc_co_u32_e32 v5, vcc, v105, v117, vcc
	global_load_ushort v2, v[4:5], off
	v_add_co_u32_e32 v4, vcc, v110, v116
	v_addc_co_u32_e32 v5, vcc, v107, v117, vcc
	global_load_ushort v4, v[4:5], off
	s_waitcnt vmcnt(1)
	v_cvt_f32_f16_e32 v35, v2
	s_waitcnt vmcnt(0)
	v_cvt_f32_f16_e32 v19, v4
.LBB174_12:                             ;   in Loop: Header=BB174_3 Depth=1
	s_or_b64 exec, exec, s[8:9]
	v_add_co_u32_e32 v4, vcc, 0xffffff03, v119
	v_addc_co_u32_e32 v5, vcc, -1, v120, vcc
	v_cmp_gt_i64_e32 vcc, s[36:37], v[4:5]
	s_and_b64 s[14:15], s[2:3], vcc
	s_and_saveexec_b64 s[8:9], s[14:15]
	s_cbranch_execz .LBB174_14
; %bb.13:                               ;   in Loop: Header=BB174_3 Depth=1
	v_add_co_u32_e32 v4, vcc, v104, v116
	v_addc_co_u32_e32 v5, vcc, v101, v117, vcc
	global_load_ushort v2, v[4:5], off
	v_add_co_u32_e32 v4, vcc, v106, v116
	v_addc_co_u32_e32 v5, vcc, v103, v117, vcc
	global_load_ushort v4, v[4:5], off
	s_waitcnt vmcnt(1)
	v_cvt_f32_f16_e32 v36, v2
	s_waitcnt vmcnt(0)
	v_cvt_f32_f16_e32 v20, v4
.LBB174_14:                             ;   in Loop: Header=BB174_3 Depth=1
	;; [unrolled: 19-line block ×15, first 2 shown]
	s_or_b64 exec, exec, s[8:9]
	s_waitcnt vmcnt(0)
	ds_bpermute_b32 v2, v115, v121
	ds_bpermute_b32 v4, v115, v121 offset:4
	ds_bpermute_b32 v6, v115, v121 offset:8
	v_mul_f32_e32 v5, v18, v34
	v_mul_f32_e32 v7, v19, v35
	s_waitcnt lgkmcnt(2)
	v_fma_f32 v2, v5, v2, v118
	s_waitcnt lgkmcnt(1)
	v_fmac_f32_e32 v2, v7, v4
	v_mul_f32_e32 v4, v20, v36
	s_waitcnt lgkmcnt(0)
	v_fmac_f32_e32 v2, v4, v6
	ds_bpermute_b32 v4, v115, v121 offset:12
	ds_bpermute_b32 v5, v115, v121 offset:16
	v_pk_mul_f32 v[16:17], v[20:21], v[36:37]
	v_pk_mul_f32 v[18:19], v[22:23], v[38:39]
	v_mov_b32_e32 v16, v17
	v_mov_b32_e32 v17, v18
	s_waitcnt lgkmcnt(0)
	v_pk_mul_f32 v[4:5], v[16:17], v[4:5]
	ds_bpermute_b32 v16, v115, v121 offset:20
	ds_bpermute_b32 v17, v115, v121 offset:24
	v_pk_mul_f32 v[14:15], v[24:25], v[40:41]
	v_add_f32_e32 v2, v2, v4
	v_add_f32_e32 v2, v2, v5
	v_mov_b32_e32 v4, v19
	v_mov_b32_e32 v5, v14
	s_waitcnt lgkmcnt(0)
	v_pk_mul_f32 v[4:5], v[4:5], v[16:17]
	ds_bpermute_b32 v16, v115, v121 offset:28
	ds_bpermute_b32 v17, v115, v121 offset:32
	v_pk_mul_f32 v[12:13], v[26:27], v[42:43]
	v_add_f32_e32 v2, v2, v4
	v_mov_b32_e32 v4, v15
	ds_bpermute_b32 v14, v115, v121 offset:36
	ds_bpermute_b32 v15, v115, v121 offset:40
	v_add_f32_e32 v2, v2, v5
	v_mov_b32_e32 v5, v12
	s_waitcnt lgkmcnt(2)
	v_pk_mul_f32 v[4:5], v[4:5], v[16:17]
	v_pk_mul_f32 v[10:11], v[28:29], v[44:45]
	v_add_f32_e32 v2, v2, v4
	v_mov_b32_e32 v4, v13
	ds_bpermute_b32 v12, v115, v121 offset:44
	ds_bpermute_b32 v13, v115, v121 offset:48
	v_add_f32_e32 v2, v2, v5
	v_mov_b32_e32 v5, v10
	s_waitcnt lgkmcnt(2)
	v_pk_mul_f32 v[4:5], v[4:5], v[14:15]
	;; [unrolled: 9-line block ×3, first 2 shown]
	v_pk_mul_f32 v[6:7], v[32:33], v[48:49]
	v_add_f32_e32 v2, v2, v4
	ds_bpermute_b32 v4, v115, v121 offset:60
	v_mov_b32_e32 v8, v9
	v_mov_b32_e32 v9, v6
	v_add_f32_e32 v2, v2, v5
	s_waitcnt lgkmcnt(1)
	v_pk_mul_f32 v[6:7], v[8:9], v[10:11]
	v_add_f32_e32 v2, v2, v6
	v_add_f32_e32 v2, v2, v7
	s_branch .LBB174_64
.LBB174_41:                             ;   in Loop: Header=BB174_3 Depth=1
                                        ; implicit-def: $vgpr2
                                        ; implicit-def: $vgpr18_vgpr19_vgpr20_vgpr21_vgpr22_vgpr23_vgpr24_vgpr25_vgpr26_vgpr27_vgpr28_vgpr29_vgpr30_vgpr31_vgpr32_vgpr33
                                        ; implicit-def: $vgpr34_vgpr35_vgpr36_vgpr37_vgpr38_vgpr39_vgpr40_vgpr41_vgpr42_vgpr43_vgpr44_vgpr45_vgpr46_vgpr47_vgpr48_vgpr49
                                        ; implicit-def: $vgpr4
	s_cbranch_execz .LBB174_64
; %bb.42:                               ;   in Loop: Header=BB174_3 Depth=1
	s_load_dword s8, s[10:11], 0x0
	v_mov_b32_e32 v121, 0
	s_waitcnt lgkmcnt(0)
	s_cmp_lt_u32 s6, s8
	s_cselect_b32 s8, 12, 18
	s_add_u32 s8, s10, s8
	s_addc_u32 s9, s11, 0
	global_load_ushort v2, v3, s[8:9]
	s_waitcnt vmcnt(0)
	v_mad_u32_u24 v2, v0, v2, v113
	v_and_b32_e32 v2, 63, v2
	v_cmp_gt_u32_e32 vcc, 16, v2
	s_and_saveexec_b64 s[8:9], vcc
	s_cbranch_execz .LBB174_46
; %bb.43:                               ;   in Loop: Header=BB174_3 Depth=1
	v_add_co_u32_e32 v2, vcc, v119, v2
	v_addc_co_u32_e32 v5, vcc, 0, v120, vcc
	v_add_co_u32_e32 v4, vcc, 0xffffff01, v2
	v_addc_co_u32_e32 v5, vcc, -1, v5, vcc
	v_cmp_gt_i64_e32 vcc, s[36:37], v[4:5]
	v_mov_b32_e32 v121, 0
	s_and_saveexec_b64 s[14:15], vcc
	s_cbranch_execz .LBB174_45
; %bb.44:                               ;   in Loop: Header=BB174_3 Depth=1
	v_lshlrev_b64 v[4:5], 2, v[4:5]
	v_mov_b32_e32 v2, s29
	v_add_co_u32_e32 v4, vcc, s28, v4
	v_addc_co_u32_e32 v5, vcc, v2, v5, vcc
	global_load_dword v121, v[4:5], off
.LBB174_45:                             ;   in Loop: Header=BB174_3 Depth=1
	s_or_b64 exec, exec, s[14:15]
.LBB174_46:                             ;   in Loop: Header=BB174_3 Depth=1
	s_or_b64 exec, exec, s[8:9]
	s_mov_b32 s26, s12
	s_mov_b32 s27, s12
	;; [unrolled: 1-line block ×15, first 2 shown]
	v_pk_mov_b32 v[32:33], s[26:27], s[26:27] op_sel:[0,1]
	v_pk_mov_b32 v[30:31], s[24:25], s[24:25] op_sel:[0,1]
	;; [unrolled: 1-line block ×16, first 2 shown]
	s_and_saveexec_b64 s[8:9], s[2:3]
	s_cbranch_execnz .LBB174_66
; %bb.47:                               ;   in Loop: Header=BB174_3 Depth=1
	s_or_b64 exec, exec, s[8:9]
	s_and_saveexec_b64 s[8:9], s[2:3]
	s_cbranch_execnz .LBB174_67
.LBB174_48:                             ;   in Loop: Header=BB174_3 Depth=1
	s_or_b64 exec, exec, s[8:9]
	s_and_saveexec_b64 s[8:9], s[2:3]
	s_cbranch_execnz .LBB174_68
.LBB174_49:                             ;   in Loop: Header=BB174_3 Depth=1
	s_or_b64 exec, exec, s[8:9]
	s_and_saveexec_b64 s[8:9], s[2:3]
	s_cbranch_execnz .LBB174_69
.LBB174_50:                             ;   in Loop: Header=BB174_3 Depth=1
	s_or_b64 exec, exec, s[8:9]
	s_and_saveexec_b64 s[8:9], s[2:3]
	s_cbranch_execnz .LBB174_70
.LBB174_51:                             ;   in Loop: Header=BB174_3 Depth=1
	s_or_b64 exec, exec, s[8:9]
	s_and_saveexec_b64 s[8:9], s[2:3]
	s_cbranch_execnz .LBB174_71
.LBB174_52:                             ;   in Loop: Header=BB174_3 Depth=1
	s_or_b64 exec, exec, s[8:9]
	s_and_saveexec_b64 s[8:9], s[2:3]
	s_cbranch_execnz .LBB174_72
.LBB174_53:                             ;   in Loop: Header=BB174_3 Depth=1
	s_or_b64 exec, exec, s[8:9]
	s_and_saveexec_b64 s[8:9], s[2:3]
	s_cbranch_execnz .LBB174_73
.LBB174_54:                             ;   in Loop: Header=BB174_3 Depth=1
	s_or_b64 exec, exec, s[8:9]
	s_and_saveexec_b64 s[8:9], s[2:3]
	s_cbranch_execnz .LBB174_74
.LBB174_55:                             ;   in Loop: Header=BB174_3 Depth=1
	s_or_b64 exec, exec, s[8:9]
	s_and_saveexec_b64 s[8:9], s[2:3]
	s_cbranch_execnz .LBB174_75
.LBB174_56:                             ;   in Loop: Header=BB174_3 Depth=1
	s_or_b64 exec, exec, s[8:9]
	s_and_saveexec_b64 s[8:9], s[2:3]
	s_cbranch_execnz .LBB174_76
.LBB174_57:                             ;   in Loop: Header=BB174_3 Depth=1
	s_or_b64 exec, exec, s[8:9]
	s_and_saveexec_b64 s[8:9], s[2:3]
	s_cbranch_execnz .LBB174_77
.LBB174_58:                             ;   in Loop: Header=BB174_3 Depth=1
	s_or_b64 exec, exec, s[8:9]
	s_and_saveexec_b64 s[8:9], s[2:3]
	s_cbranch_execnz .LBB174_78
.LBB174_59:                             ;   in Loop: Header=BB174_3 Depth=1
	s_or_b64 exec, exec, s[8:9]
	s_and_saveexec_b64 s[8:9], s[2:3]
	s_cbranch_execnz .LBB174_79
.LBB174_60:                             ;   in Loop: Header=BB174_3 Depth=1
	s_or_b64 exec, exec, s[8:9]
	s_and_saveexec_b64 s[8:9], s[2:3]
	s_cbranch_execnz .LBB174_80
.LBB174_61:                             ;   in Loop: Header=BB174_3 Depth=1
	s_or_b64 exec, exec, s[8:9]
	s_and_saveexec_b64 s[8:9], s[2:3]
	s_cbranch_execz .LBB174_63
.LBB174_62:                             ;   in Loop: Header=BB174_3 Depth=1
	v_add_co_u32_e32 v4, vcc, v52, v116
	v_addc_co_u32_e32 v5, vcc, v1, v117, vcc
	global_load_ushort v2, v[4:5], off
	v_add_co_u32_e32 v4, vcc, v54, v116
	v_addc_co_u32_e32 v5, vcc, v51, v117, vcc
	global_load_ushort v4, v[4:5], off
	s_waitcnt vmcnt(1)
	v_cvt_f32_f16_e32 v49, v2
	s_waitcnt vmcnt(0)
	v_cvt_f32_f16_e32 v33, v4
.LBB174_63:                             ;   in Loop: Header=BB174_3 Depth=1
	s_or_b64 exec, exec, s[8:9]
	s_waitcnt vmcnt(0)
	ds_bpermute_b32 v2, v115, v121
	ds_bpermute_b32 v4, v115, v121 offset:4
	v_mul_f32_e32 v5, v18, v34
	v_mul_f32_e32 v7, v19, v35
	ds_bpermute_b32 v6, v115, v121 offset:8
	s_waitcnt lgkmcnt(2)
	v_fmac_f32_e32 v118, v5, v2
	s_waitcnt lgkmcnt(1)
	v_fmac_f32_e32 v118, v7, v4
	ds_bpermute_b32 v4, v115, v121 offset:12
	ds_bpermute_b32 v5, v115, v121 offset:16
	v_pk_mul_f32 v[16:17], v[20:21], v[36:37]
	v_pk_mul_f32 v[18:19], v[22:23], v[38:39]
	v_mov_b32_e32 v16, v17
	v_mov_b32_e32 v17, v18
	s_waitcnt lgkmcnt(0)
	v_pk_mul_f32 v[4:5], v[16:17], v[4:5]
	ds_bpermute_b32 v16, v115, v121 offset:20
	ds_bpermute_b32 v17, v115, v121 offset:24
	v_mul_f32_e32 v2, v20, v36
	v_fmac_f32_e32 v118, v2, v6
	v_pk_mul_f32 v[14:15], v[24:25], v[40:41]
	v_add_f32_e32 v2, v118, v4
	v_add_f32_e32 v2, v2, v5
	v_mov_b32_e32 v4, v19
	v_mov_b32_e32 v5, v14
	s_waitcnt lgkmcnt(0)
	v_pk_mul_f32 v[4:5], v[4:5], v[16:17]
	ds_bpermute_b32 v16, v115, v121 offset:28
	ds_bpermute_b32 v17, v115, v121 offset:32
	v_pk_mul_f32 v[12:13], v[26:27], v[42:43]
	v_add_f32_e32 v2, v2, v4
	v_mov_b32_e32 v4, v15
	ds_bpermute_b32 v14, v115, v121 offset:36
	ds_bpermute_b32 v15, v115, v121 offset:40
	v_add_f32_e32 v2, v2, v5
	v_mov_b32_e32 v5, v12
	s_waitcnt lgkmcnt(2)
	v_pk_mul_f32 v[4:5], v[4:5], v[16:17]
	v_pk_mul_f32 v[10:11], v[28:29], v[44:45]
	v_add_f32_e32 v2, v2, v4
	v_add_f32_e32 v2, v2, v5
	v_mov_b32_e32 v4, v13
	v_mov_b32_e32 v5, v10
	ds_bpermute_b32 v12, v115, v121 offset:44
	ds_bpermute_b32 v13, v115, v121 offset:48
	s_waitcnt lgkmcnt(2)
	v_pk_mul_f32 v[4:5], v[4:5], v[14:15]
	v_add_f32_e32 v2, v2, v4
	v_mov_b32_e32 v4, v11
	ds_bpermute_b32 v10, v115, v121 offset:52
	ds_bpermute_b32 v11, v115, v121 offset:56
	v_pk_mul_f32 v[8:9], v[30:31], v[46:47]
	v_add_f32_e32 v2, v2, v5
	v_mov_b32_e32 v5, v8
	v_pk_mul_f32 v[6:7], v[32:33], v[48:49]
	s_waitcnt lgkmcnt(2)
	v_pk_mul_f32 v[4:5], v[4:5], v[12:13]
	v_add_f32_e32 v2, v2, v4
	v_mov_b32_e32 v8, v9
	v_mov_b32_e32 v9, v6
	v_add_f32_e32 v2, v2, v5
	s_waitcnt lgkmcnt(0)
	v_pk_mul_f32 v[6:7], v[8:9], v[10:11]
	v_add_f32_e32 v2, v2, v6
	ds_bpermute_b32 v4, v115, v121 offset:60
	v_add_f32_e32 v2, v2, v7
.LBB174_64:                             ;   in Loop: Header=BB174_3 Depth=1
	v_mul_f32_e32 v5, v49, v33
	s_add_u32 s46, s46, s7
	s_waitcnt lgkmcnt(0)
	v_fmac_f32_e32 v2, v5, v4
	s_addc_u32 s47, s47, 0
	v_pk_mov_b32 v[4:5], s[36:37], s[36:37] op_sel:[0,1]
	v_cmp_lt_i64_e32 vcc, s[46:47], v[4:5]
	v_mov_b32_e32 v4, s35
	v_add_co_u32_e64 v52, s[8:9], s34, v52
	v_addc_co_u32_e64 v1, s[8:9], v1, v4, s[8:9]
	v_add_co_u32_e64 v54, s[8:9], s34, v54
	v_addc_co_u32_e64 v51, s[8:9], v51, v4, s[8:9]
	;; [unrolled: 2-line block ×31, first 2 shown]
	v_add_co_u32_e64 v114, s[8:9], s34, v114
	s_add_u32 s44, s44, s7
	v_addc_co_u32_e64 v111, s[8:9], v111, v4, s[8:9]
	s_addc_u32 s45, s45, 0
	s_cbranch_vccz .LBB174_82
; %bb.65:                               ;   in Loop: Header=BB174_3 Depth=1
	v_mov_b32_e32 v118, v2
	s_branch .LBB174_3
.LBB174_66:                             ;   in Loop: Header=BB174_3 Depth=1
	v_add_co_u32_e32 v4, vcc, v112, v116
	v_addc_co_u32_e32 v5, vcc, v109, v117, vcc
	global_load_ushort v2, v[4:5], off
	v_add_co_u32_e32 v4, vcc, v114, v116
	v_addc_co_u32_e32 v5, vcc, v111, v117, vcc
	global_load_ushort v18, v[4:5], off
	v_mov_b32_e32 v16, v3
	v_mov_b32_e32 v17, v3
	v_mov_b32_e32 v4, v3
	v_mov_b32_e32 v5, v3
	v_mov_b32_e32 v6, v3
	v_mov_b32_e32 v7, v3
	v_mov_b32_e32 v8, v3
	v_mov_b32_e32 v9, v3
	v_mov_b32_e32 v10, v3
	v_mov_b32_e32 v11, v3
	v_mov_b32_e32 v12, v3
	v_mov_b32_e32 v13, v3
	v_mov_b32_e32 v14, v3
	v_mov_b32_e32 v15, v3
	v_mov_b32_e32 v19, v3
	v_mov_b32_e32 v20, v3
	v_mov_b32_e32 v21, v3
	v_mov_b32_e32 v22, v3
	v_mov_b32_e32 v23, v3
	v_mov_b32_e32 v24, v3
	v_mov_b32_e32 v25, v3
	v_mov_b32_e32 v26, v3
	v_mov_b32_e32 v27, v3
	v_mov_b32_e32 v28, v3
	v_mov_b32_e32 v29, v3
	v_mov_b32_e32 v30, v3
	v_mov_b32_e32 v31, v3
	v_mov_b32_e32 v32, v3
	v_mov_b32_e32 v33, v3
	s_waitcnt vmcnt(1)
	v_cvt_f32_f16_e32 v2, v2
	v_pk_mov_b32 v[48:49], v[16:17], v[16:17] op_sel:[0,1]
	v_pk_mov_b32 v[46:47], v[14:15], v[14:15] op_sel:[0,1]
	;; [unrolled: 1-line block ×4, first 2 shown]
	s_waitcnt vmcnt(0)
	v_cvt_f32_f16_e32 v18, v18
	v_pk_mov_b32 v[40:41], v[8:9], v[8:9] op_sel:[0,1]
	v_pk_mov_b32 v[38:39], v[6:7], v[6:7] op_sel:[0,1]
	;; [unrolled: 1-line block ×4, first 2 shown]
	s_or_b64 exec, exec, s[8:9]
	s_and_saveexec_b64 s[8:9], s[2:3]
	s_cbranch_execz .LBB174_48
.LBB174_67:                             ;   in Loop: Header=BB174_3 Depth=1
	v_add_co_u32_e32 v4, vcc, v108, v116
	v_addc_co_u32_e32 v5, vcc, v105, v117, vcc
	global_load_ushort v2, v[4:5], off
	v_add_co_u32_e32 v4, vcc, v110, v116
	v_addc_co_u32_e32 v5, vcc, v107, v117, vcc
	global_load_ushort v4, v[4:5], off
	s_waitcnt vmcnt(1)
	v_cvt_f32_f16_e32 v35, v2
	s_waitcnt vmcnt(0)
	v_cvt_f32_f16_e32 v19, v4
	s_or_b64 exec, exec, s[8:9]
	s_and_saveexec_b64 s[8:9], s[2:3]
	s_cbranch_execz .LBB174_49
.LBB174_68:                             ;   in Loop: Header=BB174_3 Depth=1
	v_add_co_u32_e32 v4, vcc, v104, v116
	v_addc_co_u32_e32 v5, vcc, v101, v117, vcc
	global_load_ushort v2, v[4:5], off
	v_add_co_u32_e32 v4, vcc, v106, v116
	v_addc_co_u32_e32 v5, vcc, v103, v117, vcc
	global_load_ushort v4, v[4:5], off
	s_waitcnt vmcnt(1)
	v_cvt_f32_f16_e32 v36, v2
	s_waitcnt vmcnt(0)
	v_cvt_f32_f16_e32 v20, v4
	s_or_b64 exec, exec, s[8:9]
	s_and_saveexec_b64 s[8:9], s[2:3]
	s_cbranch_execz .LBB174_50
.LBB174_69:                             ;   in Loop: Header=BB174_3 Depth=1
	v_add_co_u32_e32 v4, vcc, v100, v116
	v_addc_co_u32_e32 v5, vcc, v97, v117, vcc
	global_load_ushort v2, v[4:5], off
	v_add_co_u32_e32 v4, vcc, v102, v116
	v_addc_co_u32_e32 v5, vcc, v99, v117, vcc
	global_load_ushort v4, v[4:5], off
	s_waitcnt vmcnt(1)
	v_cvt_f32_f16_e32 v37, v2
	s_waitcnt vmcnt(0)
	v_cvt_f32_f16_e32 v21, v4
	s_or_b64 exec, exec, s[8:9]
	s_and_saveexec_b64 s[8:9], s[2:3]
	s_cbranch_execz .LBB174_51
.LBB174_70:                             ;   in Loop: Header=BB174_3 Depth=1
	v_add_co_u32_e32 v4, vcc, v96, v116
	v_addc_co_u32_e32 v5, vcc, v93, v117, vcc
	global_load_ushort v2, v[4:5], off
	v_add_co_u32_e32 v4, vcc, v98, v116
	v_addc_co_u32_e32 v5, vcc, v95, v117, vcc
	global_load_ushort v4, v[4:5], off
	s_waitcnt vmcnt(1)
	v_cvt_f32_f16_e32 v38, v2
	s_waitcnt vmcnt(0)
	v_cvt_f32_f16_e32 v22, v4
	s_or_b64 exec, exec, s[8:9]
	s_and_saveexec_b64 s[8:9], s[2:3]
	s_cbranch_execz .LBB174_52
.LBB174_71:                             ;   in Loop: Header=BB174_3 Depth=1
	v_add_co_u32_e32 v4, vcc, v92, v116
	v_addc_co_u32_e32 v5, vcc, v89, v117, vcc
	global_load_ushort v2, v[4:5], off
	v_add_co_u32_e32 v4, vcc, v94, v116
	v_addc_co_u32_e32 v5, vcc, v91, v117, vcc
	global_load_ushort v4, v[4:5], off
	s_waitcnt vmcnt(1)
	v_cvt_f32_f16_e32 v39, v2
	s_waitcnt vmcnt(0)
	v_cvt_f32_f16_e32 v23, v4
	s_or_b64 exec, exec, s[8:9]
	s_and_saveexec_b64 s[8:9], s[2:3]
	s_cbranch_execz .LBB174_53
.LBB174_72:                             ;   in Loop: Header=BB174_3 Depth=1
	v_add_co_u32_e32 v4, vcc, v88, v116
	v_addc_co_u32_e32 v5, vcc, v85, v117, vcc
	global_load_ushort v2, v[4:5], off
	v_add_co_u32_e32 v4, vcc, v90, v116
	v_addc_co_u32_e32 v5, vcc, v87, v117, vcc
	global_load_ushort v4, v[4:5], off
	s_waitcnt vmcnt(1)
	v_cvt_f32_f16_e32 v40, v2
	s_waitcnt vmcnt(0)
	v_cvt_f32_f16_e32 v24, v4
	s_or_b64 exec, exec, s[8:9]
	s_and_saveexec_b64 s[8:9], s[2:3]
	s_cbranch_execz .LBB174_54
.LBB174_73:                             ;   in Loop: Header=BB174_3 Depth=1
	v_add_co_u32_e32 v4, vcc, v84, v116
	v_addc_co_u32_e32 v5, vcc, v81, v117, vcc
	global_load_ushort v2, v[4:5], off
	v_add_co_u32_e32 v4, vcc, v86, v116
	v_addc_co_u32_e32 v5, vcc, v83, v117, vcc
	global_load_ushort v4, v[4:5], off
	s_waitcnt vmcnt(1)
	v_cvt_f32_f16_e32 v41, v2
	s_waitcnt vmcnt(0)
	v_cvt_f32_f16_e32 v25, v4
	s_or_b64 exec, exec, s[8:9]
	s_and_saveexec_b64 s[8:9], s[2:3]
	s_cbranch_execz .LBB174_55
.LBB174_74:                             ;   in Loop: Header=BB174_3 Depth=1
	v_add_co_u32_e32 v4, vcc, v80, v116
	v_addc_co_u32_e32 v5, vcc, v77, v117, vcc
	global_load_ushort v2, v[4:5], off
	v_add_co_u32_e32 v4, vcc, v82, v116
	v_addc_co_u32_e32 v5, vcc, v79, v117, vcc
	global_load_ushort v4, v[4:5], off
	s_waitcnt vmcnt(1)
	v_cvt_f32_f16_e32 v42, v2
	s_waitcnt vmcnt(0)
	v_cvt_f32_f16_e32 v26, v4
	s_or_b64 exec, exec, s[8:9]
	s_and_saveexec_b64 s[8:9], s[2:3]
	s_cbranch_execz .LBB174_56
.LBB174_75:                             ;   in Loop: Header=BB174_3 Depth=1
	v_add_co_u32_e32 v4, vcc, v76, v116
	v_addc_co_u32_e32 v5, vcc, v73, v117, vcc
	global_load_ushort v2, v[4:5], off
	v_add_co_u32_e32 v4, vcc, v78, v116
	v_addc_co_u32_e32 v5, vcc, v75, v117, vcc
	global_load_ushort v4, v[4:5], off
	s_waitcnt vmcnt(1)
	v_cvt_f32_f16_e32 v43, v2
	s_waitcnt vmcnt(0)
	v_cvt_f32_f16_e32 v27, v4
	s_or_b64 exec, exec, s[8:9]
	s_and_saveexec_b64 s[8:9], s[2:3]
	s_cbranch_execz .LBB174_57
.LBB174_76:                             ;   in Loop: Header=BB174_3 Depth=1
	v_add_co_u32_e32 v4, vcc, v72, v116
	v_addc_co_u32_e32 v5, vcc, v69, v117, vcc
	global_load_ushort v2, v[4:5], off
	v_add_co_u32_e32 v4, vcc, v74, v116
	v_addc_co_u32_e32 v5, vcc, v71, v117, vcc
	global_load_ushort v4, v[4:5], off
	s_waitcnt vmcnt(1)
	v_cvt_f32_f16_e32 v44, v2
	s_waitcnt vmcnt(0)
	v_cvt_f32_f16_e32 v28, v4
	s_or_b64 exec, exec, s[8:9]
	s_and_saveexec_b64 s[8:9], s[2:3]
	s_cbranch_execz .LBB174_58
.LBB174_77:                             ;   in Loop: Header=BB174_3 Depth=1
	v_add_co_u32_e32 v4, vcc, v68, v116
	v_addc_co_u32_e32 v5, vcc, v65, v117, vcc
	global_load_ushort v2, v[4:5], off
	v_add_co_u32_e32 v4, vcc, v70, v116
	v_addc_co_u32_e32 v5, vcc, v67, v117, vcc
	global_load_ushort v4, v[4:5], off
	s_waitcnt vmcnt(1)
	v_cvt_f32_f16_e32 v45, v2
	s_waitcnt vmcnt(0)
	v_cvt_f32_f16_e32 v29, v4
	s_or_b64 exec, exec, s[8:9]
	s_and_saveexec_b64 s[8:9], s[2:3]
	s_cbranch_execz .LBB174_59
.LBB174_78:                             ;   in Loop: Header=BB174_3 Depth=1
	v_add_co_u32_e32 v4, vcc, v64, v116
	v_addc_co_u32_e32 v5, vcc, v61, v117, vcc
	global_load_ushort v2, v[4:5], off
	v_add_co_u32_e32 v4, vcc, v66, v116
	v_addc_co_u32_e32 v5, vcc, v63, v117, vcc
	global_load_ushort v4, v[4:5], off
	s_waitcnt vmcnt(1)
	v_cvt_f32_f16_e32 v46, v2
	s_waitcnt vmcnt(0)
	v_cvt_f32_f16_e32 v30, v4
	s_or_b64 exec, exec, s[8:9]
	s_and_saveexec_b64 s[8:9], s[2:3]
	s_cbranch_execz .LBB174_60
.LBB174_79:                             ;   in Loop: Header=BB174_3 Depth=1
	v_add_co_u32_e32 v4, vcc, v60, v116
	v_addc_co_u32_e32 v5, vcc, v57, v117, vcc
	global_load_ushort v2, v[4:5], off
	v_add_co_u32_e32 v4, vcc, v62, v116
	v_addc_co_u32_e32 v5, vcc, v59, v117, vcc
	global_load_ushort v4, v[4:5], off
	s_waitcnt vmcnt(1)
	v_cvt_f32_f16_e32 v47, v2
	s_waitcnt vmcnt(0)
	v_cvt_f32_f16_e32 v31, v4
	s_or_b64 exec, exec, s[8:9]
	s_and_saveexec_b64 s[8:9], s[2:3]
	s_cbranch_execz .LBB174_61
.LBB174_80:                             ;   in Loop: Header=BB174_3 Depth=1
	v_add_co_u32_e32 v4, vcc, v56, v116
	v_addc_co_u32_e32 v5, vcc, v53, v117, vcc
	global_load_ushort v2, v[4:5], off
	v_add_co_u32_e32 v4, vcc, v58, v116
	v_addc_co_u32_e32 v5, vcc, v55, v117, vcc
	global_load_ushort v4, v[4:5], off
	s_waitcnt vmcnt(1)
	v_cvt_f32_f16_e32 v48, v2
	s_waitcnt vmcnt(0)
	v_cvt_f32_f16_e32 v32, v4
	s_or_b64 exec, exec, s[8:9]
	s_and_saveexec_b64 s[8:9], s[2:3]
	s_cbranch_execnz .LBB174_62
	s_branch .LBB174_63
.LBB174_81:
                                        ; implicit-def: $vgpr2
	s_branch .LBB174_83
.LBB174_82:
	s_cbranch_execnz .LBB174_132
.LBB174_83:
	s_and_b64 vcc, exec, s[0:1]
	v_mov_b32_e32 v2, 0
	s_cbranch_vccnz .LBB174_132
; %bb.84:
	s_load_dword s0, s[4:5], 0x44
	s_add_u32 s2, s4, 64
	s_addc_u32 s3, s5, 0
	v_bfe_u32 v36, v122, 10, 10
	v_lshlrev_b32_e32 v0, 5, v36
	s_waitcnt lgkmcnt(0)
	s_lshl_b32 s7, s0, 8
	s_add_u32 s24, s30, 0xff
	s_addc_u32 s25, 0, 0
	s_lshl_b64 s[0:1], s[30:31], 1
	v_mov_b32_e32 v1, s1
	v_add_co_u32_e32 v4, vcc, s0, v0
	v_addc_co_u32_e32 v5, vcc, 0, v1, vcc
	v_add_co_u32_e32 v6, vcc, 2, v4
	v_addc_co_u32_e32 v0, vcc, 0, v5, vcc
	v_add_co_u32_e32 v9, vcc, 4, v4
	v_mul_lo_u32 v7, s38, v0
	v_addc_co_u32_e32 v0, vcc, 0, v5, vcc
	v_add_co_u32_e32 v12, vcc, 6, v4
	v_mul_lo_u32 v10, s38, v0
	;; [unrolled: 3-line block ×9, first 2 shown]
	v_addc_co_u32_e32 v0, vcc, 0, v5, vcc
	v_pk_mov_b32 v[2:3], s[40:41], s[40:41] op_sel:[0,1]
	v_mul_lo_u32 v34, s38, v0
	v_pk_mov_b32 v[0:1], s[42:43], s[42:43] op_sel:[0,1]
	v_mad_u64_u32 v[50:51], s[0:1], s38, v6, v[2:3]
	v_mul_lo_u32 v8, s39, v6
	v_mad_u64_u32 v[70:71], s[0:1], s38, v6, v[0:1]
	v_add_co_u32_e32 v6, vcc, 22, v4
	v_add3_u32 v51, v8, v51, v7
	v_add3_u32 v71, v8, v71, v7
	v_addc_co_u32_e32 v7, vcc, 0, v5, vcc
	v_mad_u64_u32 v[52:53], s[0:1], s38, v9, v[2:3]
	v_mul_lo_u32 v11, s39, v9
	v_mad_u64_u32 v[72:73], s[0:1], s38, v9, v[0:1]
	v_add_co_u32_e32 v9, vcc, 24, v4
	v_add3_u32 v53, v11, v53, v10
	v_add3_u32 v73, v11, v73, v10
	v_addc_co_u32_e32 v10, vcc, 0, v5, vcc
	v_mad_u64_u32 v[76:77], s[0:1], s38, v6, v[2:3]
	v_mul_lo_u32 v7, s38, v7
	v_mul_lo_u32 v8, s39, v6
	v_mad_u64_u32 v[94:95], s[0:1], s38, v6, v[0:1]
	v_add_co_u32_e32 v6, vcc, 26, v4
	v_add3_u32 v77, v8, v77, v7
	v_add3_u32 v95, v8, v95, v7
	v_addc_co_u32_e32 v7, vcc, 0, v5, vcc
	v_mad_u64_u32 v[98:99], s[0:1], s38, v6, v[2:3]
	v_mul_lo_u32 v7, s38, v7
	v_mul_lo_u32 v8, s39, v6
	v_mad_u64_u32 v[100:101], s[0:1], s38, v6, v[0:1]
	v_add_co_u32_e32 v6, vcc, 28, v4
	v_add3_u32 v99, v8, v99, v7
	v_add3_u32 v101, v8, v101, v7
	v_addc_co_u32_e32 v7, vcc, 0, v5, vcc
	v_add_co_u32_e32 v4, vcc, 30, v4
	v_addc_co_u32_e32 v5, vcc, 0, v5, vcc
	v_mad_u64_u32 v[54:55], s[0:1], s38, v12, v[2:3]
	v_mad_u64_u32 v[56:57], s[0:1], s38, v15, v[2:3]
	;; [unrolled: 1-line block ×21, first 2 shown]
	v_mul_lo_u32 v2, s38, v5
	v_mad_u64_u32 v[108:109], s[0:1], s38, v4, v[0:1]
	v_mul_lo_u32 v0, s39, v4
	v_add3_u32 v107, v0, v107, v2
	v_add3_u32 v109, v0, v109, v2
	v_lshlrev_b32_e32 v2, 4, v36
	v_mov_b32_e32 v1, s31
	v_mov_b32_e32 v0, v2
	buffer_store_dword v36, off, s[52:55], 0 offset:408 ; 4-byte Folded Spill
	buffer_store_dword v0, off, s[52:55], 0 offset:412 ; 4-byte Folded Spill
	s_nop 0
	buffer_store_dword v1, off, s[52:55], 0 offset:416 ; 4-byte Folded Spill
	v_add_co_u32_e32 v0, vcc, s30, v2
	v_mul_lo_u32 v7, s38, v7
	v_mul_lo_u32 v8, s39, v6
	v_add3_u32 v103, v8, v103, v7
	v_add3_u32 v105, v8, v105, v7
	v_mul_lo_u32 v11, s39, v9
	v_mul_lo_u32 v10, s38, v10
	v_add3_u32 v89, v11, v89, v10
	v_add3_u32 v97, v11, v97, v10
	v_mul_lo_u32 v14, s39, v12
	v_add3_u32 v55, v14, v55, v13
	v_add3_u32 v75, v14, v75, v13
	;; [unrolled: 3-line block ×8, first 2 shown]
	v_mul_lo_u32 v35, s39, v33
	v_mul_lo_u32 v33, s39, v0
	v_add3_u32 v69, v35, v69, v34
	v_add3_u32 v93, v35, v93, v34
	v_mov_b32_e32 v34, s43
	s_mov_b32 s8, 0
	v_addc_co_u32_e32 v1, vcc, 0, v1, vcc
	v_add_co_u32_e32 v2, vcc, 15, v0
	v_addc_co_u32_e32 v3, vcc, 0, v1, vcc
	v_mul_lo_u32 v4, s38, v3
	v_mul_lo_u32 v5, s39, v2
	v_mad_u64_u32 v[2:3], s[0:1], s38, v2, 0
	v_add3_u32 v3, v3, v4, v5
	v_add_co_u32_e32 v4, vcc, 14, v0
	v_addc_co_u32_e32 v5, vcc, 0, v1, vcc
	v_mul_lo_u32 v6, s38, v5
	v_mul_lo_u32 v7, s39, v4
	v_mad_u64_u32 v[4:5], s[0:1], s38, v4, 0
	v_add3_u32 v5, v5, v6, v7
	;; [unrolled: 6-line block ×14, first 2 shown]
	v_pk_mov_b32 v[30:31], s[38:39], s[38:39] op_sel:[0,1]
	v_mul_lo_u32 v32, s38, v1
	v_mad_u64_u32 v[30:31], s[0:1], s38, v0, v[30:31]
	v_mad_u64_u32 v[0:1], s[0:1], s38, v0, 0
	v_add3_u32 v1, v1, v32, v33
	v_add3_u32 v31, v33, v31, v32
	v_lshlrev_b64 v[32:33], 1, v[0:1]
	v_mov_b32_e32 v0, s41
	v_add_co_u32_e32 v112, vcc, s40, v32
	v_addc_co_u32_e32 v1, vcc, v0, v33, vcc
	v_add_co_u32_e32 v114, vcc, s42, v32
	v_addc_co_u32_e32 v111, vcc, v34, v33, vcc
	v_lshlrev_b64 v[2:3], 1, v[2:3]
	v_add_co_u32_e32 v32, vcc, s40, v2
	buffer_store_dword v32, off, s[52:55], 0 ; 4-byte Folded Spill
	s_nop 0
	buffer_store_dword v33, off, s[52:55], 0 offset:4 ; 4-byte Folded Spill
	v_addc_co_u32_e32 v33, vcc, v0, v3, vcc
	v_add_co_u32_e32 v2, vcc, s42, v2
	buffer_store_dword v32, off, s[52:55], 0 offset:8 ; 4-byte Folded Spill
	s_nop 0
	buffer_store_dword v33, off, s[52:55], 0 offset:12 ; 4-byte Folded Spill
	buffer_store_dword v2, off, s[52:55], 0 offset:16 ; 4-byte Folded Spill
	s_nop 0
	buffer_store_dword v3, off, s[52:55], 0 offset:20 ; 4-byte Folded Spill
	s_mul_i32 s0, s39, s7
	s_mul_hi_u32 s1, s38, s7
	s_add_i32 s1, s1, s0
	s_mul_i32 s0, s38, s7
	s_lshl_b64 s[26:27], s[0:1], 1
	v_addc_co_u32_e32 v3, vcc, v34, v3, vcc
	buffer_store_dword v2, off, s[52:55], 0 offset:24 ; 4-byte Folded Spill
	s_nop 0
	buffer_store_dword v3, off, s[52:55], 0 offset:28 ; 4-byte Folded Spill
	v_lshlrev_b64 v[2:3], 1, v[4:5]
	v_add_co_u32_e32 v4, vcc, s40, v2
	buffer_store_dword v4, off, s[52:55], 0 offset:32 ; 4-byte Folded Spill
	s_nop 0
	buffer_store_dword v5, off, s[52:55], 0 offset:36 ; 4-byte Folded Spill
	v_addc_co_u32_e32 v5, vcc, v0, v3, vcc
	v_add_co_u32_e32 v2, vcc, s42, v2
	buffer_store_dword v4, off, s[52:55], 0 offset:40 ; 4-byte Folded Spill
	s_nop 0
	buffer_store_dword v5, off, s[52:55], 0 offset:44 ; 4-byte Folded Spill
	buffer_store_dword v2, off, s[52:55], 0 offset:48 ; 4-byte Folded Spill
	s_nop 0
	buffer_store_dword v3, off, s[52:55], 0 offset:52 ; 4-byte Folded Spill
	v_addc_co_u32_e32 v119, vcc, v34, v3, vcc
	v_lshlrev_b64 v[2:3], 1, v[6:7]
	v_add_co_u32_e32 v124, vcc, s40, v2
	v_addc_co_u32_e32 v121, vcc, v0, v3, vcc
	v_add_co_u32_e32 v126, vcc, s42, v2
	v_addc_co_u32_e32 v3, vcc, v34, v3, vcc
	buffer_store_dword v2, off, s[52:55], 0 offset:56 ; 4-byte Folded Spill
	s_nop 0
	buffer_store_dword v3, off, s[52:55], 0 offset:60 ; 4-byte Folded Spill
	v_lshlrev_b64 v[2:3], 1, v[8:9]
	v_add_co_u32_e32 v4, vcc, s40, v2
	buffer_store_dword v4, off, s[52:55], 0 offset:64 ; 4-byte Folded Spill
	s_nop 0
	buffer_store_dword v5, off, s[52:55], 0 offset:68 ; 4-byte Folded Spill
	v_addc_co_u32_e32 v5, vcc, v0, v3, vcc
	v_add_co_u32_e32 v2, vcc, s42, v2
	buffer_store_dword v4, off, s[52:55], 0 offset:72 ; 4-byte Folded Spill
	s_nop 0
	buffer_store_dword v5, off, s[52:55], 0 offset:76 ; 4-byte Folded Spill
	buffer_store_dword v2, off, s[52:55], 0 offset:80 ; 4-byte Folded Spill
	s_nop 0
	buffer_store_dword v3, off, s[52:55], 0 offset:84 ; 4-byte Folded Spill
	v_addc_co_u32_e32 v3, vcc, v34, v3, vcc
	buffer_store_dword v2, off, s[52:55], 0 offset:88 ; 4-byte Folded Spill
	s_nop 0
	buffer_store_dword v3, off, s[52:55], 0 offset:92 ; 4-byte Folded Spill
	v_lshlrev_b64 v[2:3], 1, v[10:11]
	v_add_co_u32_e32 v4, vcc, s40, v2
	buffer_store_dword v4, off, s[52:55], 0 offset:96 ; 4-byte Folded Spill
	s_nop 0
	buffer_store_dword v5, off, s[52:55], 0 offset:100 ; 4-byte Folded Spill
	v_addc_co_u32_e32 v5, vcc, v0, v3, vcc
	v_add_co_u32_e32 v2, vcc, s42, v2
	buffer_store_dword v4, off, s[52:55], 0 offset:104 ; 4-byte Folded Spill
	s_nop 0
	buffer_store_dword v5, off, s[52:55], 0 offset:108 ; 4-byte Folded Spill
	buffer_store_dword v2, off, s[52:55], 0 offset:112 ; 4-byte Folded Spill
	s_nop 0
	buffer_store_dword v3, off, s[52:55], 0 offset:116 ; 4-byte Folded Spill
	;; [unrolled: 17-line block ×11, first 2 shown]
	buffer_store_dword v122, off, s[52:55], 0 offset:424 ; 4-byte Folded Spill
	v_addc_co_u32_e32 v125, vcc, v34, v3, vcc
	v_lshlrev_b64 v[2:3], 1, v[30:31]
	v_add_co_u32_e32 v118, vcc, s40, v2
	v_addc_co_u32_e32 v127, vcc, v0, v3, vcc
	v_and_b32_e32 v0, 0x3ff, v122
	v_add_co_u32_e32 v120, vcc, s42, v2
	buffer_store_dword v0, off, s[52:55], 0 offset:420 ; 4-byte Folded Spill
	v_add_u32_e32 v2, s33, v0
	v_mbcnt_lo_u32_b32 v0, -1, 0
	v_mbcnt_hi_u32_b32 v0, -1, v0
	v_addc_co_u32_e32 v123, vcc, v34, v3, vcc
	v_mov_b32_e32 v3, 0
	v_lshlrev_b32_e32 v0, 2, v0
	v_and_b32_e32 v110, 0x100, v0
	v_mov_b32_e32 v0, 0
	v_lshlrev_b64 v[116:117], 1, v[2:3]
.LBB174_85:                             ; =>This Inner Loop Header: Depth=1
	v_pk_mov_b32 v[4:5], s[36:37], s[36:37] op_sel:[0,1]
	v_cmp_ge_i64_e32 vcc, s[24:25], v[4:5]
	buffer_load_dword v4, off, s[52:55], 0 offset:412 ; 4-byte Folded Reload
	buffer_load_dword v5, off, s[52:55], 0 offset:416 ; 4-byte Folded Reload
	v_mov_b32_e32 v2, s25
	s_waitcnt vmcnt(1)
	v_add_co_u32_e64 v113, s[0:1], s24, v4
	v_addc_co_u32_e64 v115, s[0:1], 0, v2, s[0:1]
	s_cbranch_vccz .LBB174_123
; %bb.86:                               ;   in Loop: Header=BB174_85 Depth=1
	s_load_dword s0, s[2:3], 0xc
	buffer_load_dword v2, off, s[52:55], 0 offset:408 ; 4-byte Folded Reload
	buffer_load_dword v4, off, s[52:55], 0 offset:420 ; 4-byte Folded Reload
	v_mov_b32_e32 v122, 0
	s_waitcnt lgkmcnt(0)
	s_and_b32 s0, s0, 0xffff
	s_waitcnt vmcnt(0)
	v_mad_u32_u24 v2, v2, s0, v4
	v_and_b32_e32 v2, 63, v2
	v_cmp_gt_u32_e32 vcc, 16, v2
	s_and_saveexec_b64 s[0:1], vcc
	s_cbranch_execz .LBB174_90
; %bb.87:                               ;   in Loop: Header=BB174_85 Depth=1
	v_add_co_u32_e32 v2, vcc, v113, v2
	v_addc_co_u32_e32 v5, vcc, 0, v115, vcc
	v_add_co_u32_e32 v4, vcc, 0xffffff01, v2
	v_addc_co_u32_e32 v5, vcc, -1, v5, vcc
	v_cmp_gt_i64_e32 vcc, s[36:37], v[4:5]
	v_mov_b32_e32 v122, 0
	s_and_saveexec_b64 s[10:11], vcc
	s_cbranch_execz .LBB174_89
; %bb.88:                               ;   in Loop: Header=BB174_85 Depth=1
	v_lshlrev_b64 v[4:5], 2, v[4:5]
	v_mov_b32_e32 v2, s29
	v_add_co_u32_e32 v4, vcc, s28, v4
	v_addc_co_u32_e32 v5, vcc, v2, v5, vcc
	global_load_dword v122, v[4:5], off
.LBB174_89:                             ;   in Loop: Header=BB174_85 Depth=1
	s_or_b64 exec, exec, s[10:11]
.LBB174_90:                             ;   in Loop: Header=BB174_85 Depth=1
	s_or_b64 exec, exec, s[0:1]
	s_mov_b32 s22, s8
	s_mov_b32 s23, s8
	v_add_co_u32_e32 v4, vcc, 0xffffff01, v113
	s_mov_b32 s9, s8
	s_mov_b32 s10, s8
	;; [unrolled: 1-line block ×13, first 2 shown]
	v_pk_mov_b32 v[32:33], s[22:23], s[22:23] op_sel:[0,1]
	v_addc_co_u32_e32 v5, vcc, -1, v115, vcc
	v_pk_mov_b32 v[30:31], s[20:21], s[20:21] op_sel:[0,1]
	v_pk_mov_b32 v[28:29], s[18:19], s[18:19] op_sel:[0,1]
	v_pk_mov_b32 v[26:27], s[16:17], s[16:17] op_sel:[0,1]
	v_pk_mov_b32 v[24:25], s[14:15], s[14:15] op_sel:[0,1]
	v_pk_mov_b32 v[22:23], s[12:13], s[12:13] op_sel:[0,1]
	v_pk_mov_b32 v[20:21], s[10:11], s[10:11] op_sel:[0,1]
	v_pk_mov_b32 v[18:19], s[8:9], s[8:9] op_sel:[0,1]
	v_pk_mov_b32 v[48:49], v[32:33], v[32:33] op_sel:[0,1]
	v_cmp_gt_i64_e32 vcc, s[36:37], v[4:5]
	v_pk_mov_b32 v[46:47], v[30:31], v[30:31] op_sel:[0,1]
	v_pk_mov_b32 v[44:45], v[28:29], v[28:29] op_sel:[0,1]
	;; [unrolled: 1-line block ×7, first 2 shown]
	s_and_saveexec_b64 s[0:1], vcc
	s_cbranch_execz .LBB174_92
; %bb.91:                               ;   in Loop: Header=BB174_85 Depth=1
	v_add_co_u32_e32 v4, vcc, v112, v116
	v_addc_co_u32_e32 v5, vcc, v1, v117, vcc
	global_load_ushort v2, v[4:5], off
	v_add_co_u32_e32 v4, vcc, v114, v116
	v_addc_co_u32_e32 v5, vcc, v111, v117, vcc
	global_load_ushort v18, v[4:5], off
	v_mov_b32_e32 v16, v3
	v_mov_b32_e32 v17, v3
	;; [unrolled: 1-line block ×29, first 2 shown]
	s_waitcnt vmcnt(1)
	v_cvt_f32_f16_e32 v2, v2
	v_pk_mov_b32 v[48:49], v[16:17], v[16:17] op_sel:[0,1]
	v_pk_mov_b32 v[46:47], v[14:15], v[14:15] op_sel:[0,1]
	;; [unrolled: 1-line block ×4, first 2 shown]
	s_waitcnt vmcnt(0)
	v_cvt_f32_f16_e32 v18, v18
	v_pk_mov_b32 v[40:41], v[8:9], v[8:9] op_sel:[0,1]
	v_pk_mov_b32 v[38:39], v[6:7], v[6:7] op_sel:[0,1]
	;; [unrolled: 1-line block ×4, first 2 shown]
.LBB174_92:                             ;   in Loop: Header=BB174_85 Depth=1
	s_or_b64 exec, exec, s[0:1]
	v_add_co_u32_e32 v4, vcc, 0xffffff02, v113
	v_addc_co_u32_e32 v5, vcc, -1, v115, vcc
	v_cmp_gt_i64_e32 vcc, s[36:37], v[4:5]
	s_and_saveexec_b64 s[0:1], vcc
	s_cbranch_execz .LBB174_94
; %bb.93:                               ;   in Loop: Header=BB174_85 Depth=1
	v_add_co_u32_e32 v4, vcc, v118, v116
	v_addc_co_u32_e32 v5, vcc, v127, v117, vcc
	global_load_ushort v2, v[4:5], off
	v_add_co_u32_e32 v4, vcc, v120, v116
	v_addc_co_u32_e32 v5, vcc, v123, v117, vcc
	global_load_ushort v4, v[4:5], off
	s_waitcnt vmcnt(1)
	v_cvt_f32_f16_e32 v35, v2
	s_waitcnt vmcnt(0)
	v_cvt_f32_f16_e32 v19, v4
.LBB174_94:                             ;   in Loop: Header=BB174_85 Depth=1
	s_or_b64 exec, exec, s[0:1]
	v_add_co_u32_e32 v4, vcc, 0xffffff03, v113
	v_addc_co_u32_e32 v5, vcc, -1, v115, vcc
	v_cmp_gt_i64_e32 vcc, s[36:37], v[4:5]
	s_and_saveexec_b64 s[0:1], vcc
	s_cbranch_execz .LBB174_96
; %bb.95:                               ;   in Loop: Header=BB174_85 Depth=1
	buffer_load_dword v4, off, s[52:55], 0 offset:384 ; 4-byte Folded Reload
	buffer_load_dword v5, off, s[52:55], 0 offset:388 ; 4-byte Folded Reload
	;; [unrolled: 1-line block ×4, first 2 shown]
	s_waitcnt vmcnt(3)
	v_add_co_u32_e32 v4, vcc, v4, v116
	s_waitcnt vmcnt(0)
	v_addc_co_u32_e32 v5, vcc, v7, v117, vcc
	global_load_ushort v2, v[4:5], off
	s_nop 0
	buffer_load_dword v4, off, s[52:55], 0 offset:400 ; 4-byte Folded Reload
	buffer_load_dword v5, off, s[52:55], 0 offset:404 ; 4-byte Folded Reload
	s_waitcnt vmcnt(2)
	v_cvt_f32_f16_e32 v36, v2
	s_waitcnt vmcnt(1)
	v_add_co_u32_e32 v4, vcc, v4, v116
	s_waitcnt vmcnt(0)
	v_addc_co_u32_e32 v5, vcc, v125, v117, vcc
	global_load_ushort v4, v[4:5], off
	s_waitcnt vmcnt(0)
	v_cvt_f32_f16_e32 v20, v4
.LBB174_96:                             ;   in Loop: Header=BB174_85 Depth=1
	s_or_b64 exec, exec, s[0:1]
	v_add_co_u32_e32 v4, vcc, 0xffffff04, v113
	v_addc_co_u32_e32 v5, vcc, -1, v115, vcc
	v_cmp_gt_i64_e32 vcc, s[36:37], v[4:5]
	s_and_saveexec_b64 s[0:1], vcc
	s_cbranch_execz .LBB174_98
; %bb.97:                               ;   in Loop: Header=BB174_85 Depth=1
	buffer_load_dword v4, off, s[52:55], 0 offset:352 ; 4-byte Folded Reload
	buffer_load_dword v5, off, s[52:55], 0 offset:356 ; 4-byte Folded Reload
	;; [unrolled: 1-line block ×4, first 2 shown]
	s_waitcnt vmcnt(3)
	v_add_co_u32_e32 v4, vcc, v4, v116
	s_waitcnt vmcnt(0)
	v_addc_co_u32_e32 v5, vcc, v7, v117, vcc
	global_load_ushort v2, v[4:5], off
	s_nop 0
	buffer_load_dword v4, off, s[52:55], 0 offset:368 ; 4-byte Folded Reload
	buffer_load_dword v5, off, s[52:55], 0 offset:372 ; 4-byte Folded Reload
	;; [unrolled: 1-line block ×4, first 2 shown]
	s_waitcnt vmcnt(4)
	v_cvt_f32_f16_e32 v37, v2
	s_waitcnt vmcnt(3)
	v_add_co_u32_e32 v4, vcc, v4, v116
	s_waitcnt vmcnt(0)
	v_addc_co_u32_e32 v5, vcc, v7, v117, vcc
	global_load_ushort v4, v[4:5], off
	s_waitcnt vmcnt(0)
	v_cvt_f32_f16_e32 v21, v4
.LBB174_98:                             ;   in Loop: Header=BB174_85 Depth=1
	s_or_b64 exec, exec, s[0:1]
	v_add_co_u32_e32 v4, vcc, 0xffffff05, v113
	v_addc_co_u32_e32 v5, vcc, -1, v115, vcc
	v_cmp_gt_i64_e32 vcc, s[36:37], v[4:5]
	s_and_saveexec_b64 s[0:1], vcc
	s_cbranch_execz .LBB174_100
; %bb.99:                               ;   in Loop: Header=BB174_85 Depth=1
	buffer_load_dword v4, off, s[52:55], 0 offset:320 ; 4-byte Folded Reload
	buffer_load_dword v5, off, s[52:55], 0 offset:324 ; 4-byte Folded Reload
	;; [unrolled: 1-line block ×4, first 2 shown]
	s_waitcnt vmcnt(3)
	v_add_co_u32_e32 v4, vcc, v4, v116
	s_waitcnt vmcnt(0)
	v_addc_co_u32_e32 v5, vcc, v7, v117, vcc
	global_load_ushort v2, v[4:5], off
	s_nop 0
	buffer_load_dword v4, off, s[52:55], 0 offset:336 ; 4-byte Folded Reload
	buffer_load_dword v5, off, s[52:55], 0 offset:340 ; 4-byte Folded Reload
	;; [unrolled: 1-line block ×4, first 2 shown]
	s_waitcnt vmcnt(4)
	v_cvt_f32_f16_e32 v38, v2
	s_waitcnt vmcnt(3)
	v_add_co_u32_e32 v4, vcc, v4, v116
	s_waitcnt vmcnt(0)
	v_addc_co_u32_e32 v5, vcc, v7, v117, vcc
	global_load_ushort v4, v[4:5], off
	s_waitcnt vmcnt(0)
	v_cvt_f32_f16_e32 v22, v4
.LBB174_100:                            ;   in Loop: Header=BB174_85 Depth=1
	s_or_b64 exec, exec, s[0:1]
	v_add_co_u32_e32 v4, vcc, 0xffffff06, v113
	v_addc_co_u32_e32 v5, vcc, -1, v115, vcc
	v_cmp_gt_i64_e32 vcc, s[36:37], v[4:5]
	s_and_saveexec_b64 s[0:1], vcc
	s_cbranch_execz .LBB174_102
; %bb.101:                              ;   in Loop: Header=BB174_85 Depth=1
	buffer_load_dword v4, off, s[52:55], 0 offset:288 ; 4-byte Folded Reload
	buffer_load_dword v5, off, s[52:55], 0 offset:292 ; 4-byte Folded Reload
	buffer_load_dword v6, off, s[52:55], 0 offset:296 ; 4-byte Folded Reload
	buffer_load_dword v7, off, s[52:55], 0 offset:300 ; 4-byte Folded Reload
	s_waitcnt vmcnt(3)
	v_add_co_u32_e32 v4, vcc, v4, v116
	s_waitcnt vmcnt(0)
	v_addc_co_u32_e32 v5, vcc, v7, v117, vcc
	global_load_ushort v2, v[4:5], off
	s_nop 0
	buffer_load_dword v4, off, s[52:55], 0 offset:304 ; 4-byte Folded Reload
	buffer_load_dword v5, off, s[52:55], 0 offset:308 ; 4-byte Folded Reload
	buffer_load_dword v6, off, s[52:55], 0 offset:312 ; 4-byte Folded Reload
	buffer_load_dword v7, off, s[52:55], 0 offset:316 ; 4-byte Folded Reload
	s_waitcnt vmcnt(4)
	v_cvt_f32_f16_e32 v39, v2
	s_waitcnt vmcnt(3)
	v_add_co_u32_e32 v4, vcc, v4, v116
	s_waitcnt vmcnt(0)
	v_addc_co_u32_e32 v5, vcc, v7, v117, vcc
	global_load_ushort v4, v[4:5], off
	s_waitcnt vmcnt(0)
	v_cvt_f32_f16_e32 v23, v4
.LBB174_102:                            ;   in Loop: Header=BB174_85 Depth=1
	s_or_b64 exec, exec, s[0:1]
	v_add_co_u32_e32 v4, vcc, 0xffffff07, v113
	v_addc_co_u32_e32 v5, vcc, -1, v115, vcc
	v_cmp_gt_i64_e32 vcc, s[36:37], v[4:5]
	s_and_saveexec_b64 s[0:1], vcc
	s_cbranch_execz .LBB174_104
; %bb.103:                              ;   in Loop: Header=BB174_85 Depth=1
	buffer_load_dword v4, off, s[52:55], 0 offset:256 ; 4-byte Folded Reload
	buffer_load_dword v5, off, s[52:55], 0 offset:260 ; 4-byte Folded Reload
	buffer_load_dword v6, off, s[52:55], 0 offset:264 ; 4-byte Folded Reload
	buffer_load_dword v7, off, s[52:55], 0 offset:268 ; 4-byte Folded Reload
	s_waitcnt vmcnt(3)
	v_add_co_u32_e32 v4, vcc, v4, v116
	s_waitcnt vmcnt(0)
	v_addc_co_u32_e32 v5, vcc, v7, v117, vcc
	global_load_ushort v2, v[4:5], off
	s_nop 0
	buffer_load_dword v4, off, s[52:55], 0 offset:272 ; 4-byte Folded Reload
	buffer_load_dword v5, off, s[52:55], 0 offset:276 ; 4-byte Folded Reload
	buffer_load_dword v6, off, s[52:55], 0 offset:280 ; 4-byte Folded Reload
	buffer_load_dword v7, off, s[52:55], 0 offset:284 ; 4-byte Folded Reload
	s_waitcnt vmcnt(4)
	v_cvt_f32_f16_e32 v40, v2
	s_waitcnt vmcnt(3)
	v_add_co_u32_e32 v4, vcc, v4, v116
	s_waitcnt vmcnt(0)
	v_addc_co_u32_e32 v5, vcc, v7, v117, vcc
	global_load_ushort v4, v[4:5], off
	s_waitcnt vmcnt(0)
	v_cvt_f32_f16_e32 v24, v4
.LBB174_104:                            ;   in Loop: Header=BB174_85 Depth=1
	;; [unrolled: 31-line block ×8, first 2 shown]
	s_or_b64 exec, exec, s[0:1]
	v_add_co_u32_e32 v4, vcc, 0xffffff0e, v113
	v_addc_co_u32_e32 v5, vcc, -1, v115, vcc
	v_cmp_gt_i64_e32 vcc, s[36:37], v[4:5]
	s_and_saveexec_b64 s[0:1], vcc
	s_cbranch_execz .LBB174_118
; %bb.117:                              ;   in Loop: Header=BB174_85 Depth=1
	v_add_co_u32_e32 v4, vcc, v124, v116
	v_addc_co_u32_e32 v5, vcc, v121, v117, vcc
	global_load_ushort v2, v[4:5], off
	buffer_load_dword v6, off, s[52:55], 0 offset:56 ; 4-byte Folded Reload
	buffer_load_dword v7, off, s[52:55], 0 offset:60 ; 4-byte Folded Reload
	v_add_co_u32_e32 v4, vcc, v126, v116
	s_waitcnt vmcnt(2)
	v_cvt_f32_f16_e32 v47, v2
	s_waitcnt vmcnt(0)
	v_addc_co_u32_e32 v5, vcc, v7, v117, vcc
	global_load_ushort v4, v[4:5], off
	s_waitcnt vmcnt(0)
	v_cvt_f32_f16_e32 v31, v4
.LBB174_118:                            ;   in Loop: Header=BB174_85 Depth=1
	s_or_b64 exec, exec, s[0:1]
	v_add_co_u32_e32 v4, vcc, 0xffffff0f, v113
	v_addc_co_u32_e32 v5, vcc, -1, v115, vcc
	v_cmp_gt_i64_e32 vcc, s[36:37], v[4:5]
	s_and_saveexec_b64 s[0:1], vcc
	s_cbranch_execz .LBB174_120
; %bb.119:                              ;   in Loop: Header=BB174_85 Depth=1
	buffer_load_dword v4, off, s[52:55], 0 offset:32 ; 4-byte Folded Reload
	buffer_load_dword v5, off, s[52:55], 0 offset:36 ; 4-byte Folded Reload
	;; [unrolled: 1-line block ×4, first 2 shown]
	s_waitcnt vmcnt(3)
	v_add_co_u32_e32 v4, vcc, v4, v116
	s_waitcnt vmcnt(0)
	v_addc_co_u32_e32 v5, vcc, v7, v117, vcc
	global_load_ushort v2, v[4:5], off
	s_nop 0
	buffer_load_dword v4, off, s[52:55], 0 offset:48 ; 4-byte Folded Reload
	buffer_load_dword v5, off, s[52:55], 0 offset:52 ; 4-byte Folded Reload
	s_waitcnt vmcnt(2)
	v_cvt_f32_f16_e32 v48, v2
	s_waitcnt vmcnt(1)
	v_add_co_u32_e32 v4, vcc, v4, v116
	s_waitcnt vmcnt(0)
	v_addc_co_u32_e32 v5, vcc, v119, v117, vcc
	global_load_ushort v4, v[4:5], off
	s_waitcnt vmcnt(0)
	v_cvt_f32_f16_e32 v32, v4
.LBB174_120:                            ;   in Loop: Header=BB174_85 Depth=1
	s_or_b64 exec, exec, s[0:1]
	v_add_co_u32_e32 v4, vcc, 0xffffff10, v113
	v_addc_co_u32_e32 v5, vcc, -1, v115, vcc
	v_cmp_gt_i64_e32 vcc, s[36:37], v[4:5]
	s_and_saveexec_b64 s[0:1], vcc
	s_cbranch_execz .LBB174_122
; %bb.121:                              ;   in Loop: Header=BB174_85 Depth=1
	buffer_load_dword v4, off, s[52:55], 0  ; 4-byte Folded Reload
	buffer_load_dword v5, off, s[52:55], 0 offset:4 ; 4-byte Folded Reload
	buffer_load_dword v6, off, s[52:55], 0 offset:8 ; 4-byte Folded Reload
	buffer_load_dword v7, off, s[52:55], 0 offset:12 ; 4-byte Folded Reload
	s_waitcnt vmcnt(3)
	v_add_co_u32_e32 v4, vcc, v4, v116
	s_waitcnt vmcnt(0)
	v_addc_co_u32_e32 v5, vcc, v7, v117, vcc
	global_load_ushort v2, v[4:5], off
	s_nop 0
	buffer_load_dword v4, off, s[52:55], 0 offset:16 ; 4-byte Folded Reload
	buffer_load_dword v5, off, s[52:55], 0 offset:20 ; 4-byte Folded Reload
	;; [unrolled: 1-line block ×4, first 2 shown]
	s_waitcnt vmcnt(4)
	v_cvt_f32_f16_e32 v49, v2
	s_waitcnt vmcnt(3)
	v_add_co_u32_e32 v4, vcc, v4, v116
	s_waitcnt vmcnt(0)
	v_addc_co_u32_e32 v5, vcc, v7, v117, vcc
	global_load_ushort v4, v[4:5], off
	s_waitcnt vmcnt(0)
	v_cvt_f32_f16_e32 v33, v4
.LBB174_122:                            ;   in Loop: Header=BB174_85 Depth=1
	s_or_b64 exec, exec, s[0:1]
	s_waitcnt vmcnt(0)
	ds_bpermute_b32 v2, v110, v122
	v_mul_f32_e32 v4, v18, v34
	v_mul_f32_e32 v5, v19, v35
	ds_bpermute_b32 v6, v110, v122 offset:16
	ds_bpermute_b32 v7, v110, v122 offset:20
	s_waitcnt lgkmcnt(2)
	v_fma_f32 v2, v4, v2, v0
	ds_bpermute_b32 v4, v110, v122 offset:4
	v_pk_mul_f32 v[16:17], v[22:23], v[38:39]
	v_pk_mul_f32 v[14:15], v[24:25], v[40:41]
	s_waitcnt lgkmcnt(1)
	v_pk_mul_f32 v[6:7], v[16:17], v[6:7]
	v_pk_mul_f32 v[12:13], v[26:27], v[42:43]
	s_waitcnt lgkmcnt(0)
	v_fmac_f32_e32 v2, v5, v4
	ds_bpermute_b32 v4, v110, v122 offset:8
	v_mul_f32_e32 v5, v20, v36
	v_pk_mul_f32 v[10:11], v[28:29], v[44:45]
	v_pk_mul_f32 v[8:9], v[30:31], v[46:47]
	s_waitcnt lgkmcnt(0)
	v_fmac_f32_e32 v2, v5, v4
	ds_bpermute_b32 v4, v110, v122 offset:12
	v_mul_f32_e32 v5, v21, v37
	s_waitcnt lgkmcnt(0)
	v_fmac_f32_e32 v2, v5, v4
	v_add_f32_e32 v2, v2, v6
	v_add_f32_e32 v2, v2, v7
	ds_bpermute_b32 v6, v110, v122 offset:24
	ds_bpermute_b32 v7, v110, v122 offset:28
	v_pk_mul_f32 v[4:5], v[32:33], v[48:49]
	s_waitcnt lgkmcnt(0)
	v_pk_mul_f32 v[6:7], v[14:15], v[6:7]
	v_add_f32_e32 v2, v2, v6
	v_add_f32_e32 v2, v2, v7
	ds_bpermute_b32 v6, v110, v122 offset:32
	ds_bpermute_b32 v7, v110, v122 offset:36
	s_waitcnt lgkmcnt(0)
	v_pk_mul_f32 v[6:7], v[12:13], v[6:7]
	v_add_f32_e32 v2, v2, v6
	v_add_f32_e32 v2, v2, v7
	ds_bpermute_b32 v6, v110, v122 offset:40
	ds_bpermute_b32 v7, v110, v122 offset:44
	;; [unrolled: 6-line block ×4, first 2 shown]
	s_waitcnt lgkmcnt(0)
	v_pk_mul_f32 v[4:5], v[4:5], v[6:7]
	v_add_f32_e32 v2, v2, v4
	v_add_f32_e32 v2, v2, v5
	s_branch .LBB174_129
.LBB174_123:                            ;   in Loop: Header=BB174_85 Depth=1
                                        ; implicit-def: $vgpr2
	s_cbranch_execz .LBB174_129
; %bb.124:                              ;   in Loop: Header=BB174_85 Depth=1
	s_load_dword s0, s[2:3], 0x0
	s_waitcnt lgkmcnt(0)
	s_cmp_lt_u32 s6, s0
	s_cselect_b32 s0, 12, 18
	s_add_u32 s0, s2, s0
	s_addc_u32 s1, s3, 0
	global_load_ushort v2, v3, s[0:1]
	buffer_load_dword v4, off, s[52:55], 0 offset:408 ; 4-byte Folded Reload
	buffer_load_dword v5, off, s[52:55], 0 offset:420 ; 4-byte Folded Reload
	s_waitcnt vmcnt(0)
	v_mad_u32_u24 v2, v4, v2, v5
	v_and_b32_e32 v4, 63, v2
	v_cmp_gt_u32_e32 vcc, 16, v4
	v_mov_b32_e32 v2, 0
	s_and_saveexec_b64 s[0:1], vcc
	s_cbranch_execz .LBB174_128
; %bb.125:                              ;   in Loop: Header=BB174_85 Depth=1
	v_add_co_u32_e32 v2, vcc, v113, v4
	v_addc_co_u32_e32 v5, vcc, 0, v115, vcc
	v_add_co_u32_e32 v4, vcc, 0xffffff01, v2
	v_addc_co_u32_e32 v5, vcc, -1, v5, vcc
	v_cmp_gt_i64_e32 vcc, s[36:37], v[4:5]
	v_mov_b32_e32 v2, 0
	s_and_saveexec_b64 s[10:11], vcc
	s_cbranch_execz .LBB174_127
; %bb.126:                              ;   in Loop: Header=BB174_85 Depth=1
	v_lshlrev_b64 v[4:5], 2, v[4:5]
	v_mov_b32_e32 v2, s29
	v_add_co_u32_e32 v4, vcc, s28, v4
	v_addc_co_u32_e32 v5, vcc, v2, v5, vcc
	global_load_dword v2, v[4:5], off
.LBB174_127:                            ;   in Loop: Header=BB174_85 Depth=1
	s_or_b64 exec, exec, s[10:11]
.LBB174_128:                            ;   in Loop: Header=BB174_85 Depth=1
	s_or_b64 exec, exec, s[0:1]
	v_add_co_u32_e32 v4, vcc, v112, v116
	v_addc_co_u32_e32 v5, vcc, v1, v117, vcc
	v_add_co_u32_e32 v6, vcc, v114, v116
	v_addc_co_u32_e32 v7, vcc, v111, v117, vcc
	global_load_ushort v4, v[4:5], off
	s_waitcnt vmcnt(0)
	v_cvt_f32_f16_e32 v4, v4
	global_load_ushort v5, v[6:7], off
	v_add_co_u32_e32 v6, vcc, v50, v116
	v_addc_co_u32_e32 v7, vcc, v51, v117, vcc
	s_waitcnt vmcnt(0)
	v_cvt_f32_f16_e32 v9, v5
	global_load_ushort v5, v[6:7], off
	v_add_co_u32_e32 v6, vcc, v70, v116
	v_addc_co_u32_e32 v7, vcc, v71, v117, vcc
	global_load_ushort v6, v[6:7], off
	v_mul_f32_e32 v4, v4, v9
	s_waitcnt vmcnt(1)
	v_cvt_f32_f16_e32 v5, v5
	s_waitcnt vmcnt(0)
	v_cvt_f32_f16_e32 v11, v6
	v_add_co_u32_e32 v6, vcc, v52, v116
	v_addc_co_u32_e32 v7, vcc, v53, v117, vcc
	v_add_co_u32_e32 v12, vcc, v72, v116
	v_addc_co_u32_e32 v13, vcc, v73, v117, vcc
	global_load_ushort v6, v[6:7], off
	v_add_co_u32_e32 v14, vcc, v54, v116
	global_load_ushort v7, v[12:13], off
	v_addc_co_u32_e32 v15, vcc, v55, v117, vcc
	v_mul_f32_e32 v5, v5, v11
	s_waitcnt vmcnt(1)
	v_cvt_f32_f16_e32 v6, v6
	s_waitcnt vmcnt(0)
	v_cvt_f32_f16_e32 v13, v7
	global_load_ushort v7, v[14:15], off
	v_add_co_u32_e32 v14, vcc, v74, v116
	v_addc_co_u32_e32 v15, vcc, v75, v117, vcc
	global_load_ushort v8, v[14:15], off
	v_add_co_u32_e32 v16, vcc, v56, v116
	v_addc_co_u32_e32 v17, vcc, v57, v117, vcc
	s_waitcnt vmcnt(1)
	v_cvt_f32_f16_e32 v7, v7
	s_waitcnt vmcnt(0)
	v_cvt_f32_f16_e32 v15, v8
	global_load_ushort v8, v[16:17], off
	v_add_co_u32_e32 v16, vcc, v78, v116
	v_addc_co_u32_e32 v17, vcc, v79, v117, vcc
	global_load_ushort v10, v[16:17], off
	v_add_co_u32_e32 v18, vcc, v58, v116
	v_addc_co_u32_e32 v19, vcc, v59, v117, vcc
	;; [unrolled: 10-line block ×5, first 2 shown]
	s_waitcnt vmcnt(1)
	v_cvt_f32_f16_e32 v14, v14
	s_waitcnt vmcnt(0)
	v_cvt_f32_f16_e32 v24, v16
	global_load_ushort v16, v[18:19], off
	v_add_co_u32_e32 v18, vcc, v86, v116
	v_addc_co_u32_e32 v19, vcc, v87, v117, vcc
	global_load_ushort v18, v[18:19], off
	s_waitcnt vmcnt(1)
	v_cvt_f32_f16_e32 v16, v16
	s_waitcnt vmcnt(0)
	v_cvt_f32_f16_e32 v25, v18
	v_add_co_u32_e32 v18, vcc, v66, v116
	v_addc_co_u32_e32 v19, vcc, v67, v117, vcc
	v_add_co_u32_e32 v26, vcc, v90, v116
	v_addc_co_u32_e32 v27, vcc, v91, v117, vcc
	global_load_ushort v18, v[18:19], off
	v_add_co_u32_e32 v28, vcc, v68, v116
	global_load_ushort v19, v[26:27], off
	v_addc_co_u32_e32 v29, vcc, v69, v117, vcc
	s_waitcnt vmcnt(1)
	v_cvt_f32_f16_e32 v18, v18
	s_waitcnt vmcnt(0)
	v_cvt_f32_f16_e32 v26, v19
	global_load_ushort v19, v[28:29], off
	v_add_co_u32_e32 v28, vcc, v92, v116
	v_addc_co_u32_e32 v29, vcc, v93, v117, vcc
	v_add_co_u32_e32 v30, vcc, v76, v116
	v_addc_co_u32_e32 v31, vcc, v77, v117, vcc
	s_waitcnt vmcnt(0)
	v_cvt_f32_f16_e32 v21, v19
	global_load_ushort v19, v[28:29], off
	s_waitcnt vmcnt(0)
	v_cvt_f32_f16_e32 v28, v19
	global_load_ushort v19, v[30:31], off
	v_add_co_u32_e32 v30, vcc, v94, v116
	v_addc_co_u32_e32 v31, vcc, v95, v117, vcc
	v_add_co_u32_e32 v32, vcc, v88, v116
	v_addc_co_u32_e32 v33, vcc, v89, v117, vcc
	s_waitcnt vmcnt(0)
	v_cvt_f32_f16_e32 v23, v19
	global_load_ushort v19, v[30:31], off
	s_waitcnt vmcnt(0)
	v_cvt_f32_f16_e32 v31, v19
	global_load_ushort v19, v[32:33], off
	v_add_co_u32_e32 v32, vcc, v96, v116
	v_addc_co_u32_e32 v33, vcc, v97, v117, vcc
	global_load_ushort v27, v[32:33], off
	v_add_co_u32_e32 v32, vcc, v98, v116
	v_addc_co_u32_e32 v33, vcc, v99, v117, vcc
	;; [unrolled: 3-line block ×4, first 2 shown]
	s_waitcnt vmcnt(3)
	v_cvt_f32_f16_e32 v19, v19
	s_waitcnt vmcnt(2)
	v_cvt_f32_f16_e32 v27, v27
	;; [unrolled: 2-line block ×4, first 2 shown]
	global_load_ushort v30, v[34:35], off
	v_add_co_u32_e32 v34, vcc, v104, v116
	v_addc_co_u32_e32 v35, vcc, v105, v117, vcc
	v_add_co_u32_e32 v36, vcc, v106, v116
	v_addc_co_u32_e32 v37, vcc, v107, v117, vcc
	s_waitcnt vmcnt(0)
	v_cvt_f32_f16_e32 v32, v30
	global_load_ushort v30, v[34:35], off
	s_waitcnt vmcnt(0)
	v_cvt_f32_f16_e32 v35, v30
	global_load_ushort v30, v[36:37], off
	v_add_co_u32_e32 v36, vcc, v108, v116
	v_addc_co_u32_e32 v37, vcc, v109, v117, vcc
	global_load_ushort v34, v[36:37], off
	ds_bpermute_b32 v36, v110, v2
	s_waitcnt lgkmcnt(0)
	v_fmac_f32_e32 v0, v4, v36
	ds_bpermute_b32 v4, v110, v2 offset:4
	s_waitcnt lgkmcnt(0)
	v_fmac_f32_e32 v0, v5, v4
	ds_bpermute_b32 v4, v110, v2 offset:8
	v_mul_f32_e32 v5, v6, v13
	s_waitcnt lgkmcnt(0)
	v_fmac_f32_e32 v0, v5, v4
	ds_bpermute_b32 v4, v110, v2 offset:12
	v_mul_f32_e32 v5, v7, v15
	;; [unrolled: 4-line block ×11, first 2 shown]
	s_waitcnt vmcnt(1)
	v_cvt_f32_f16_e32 v30, v30
	s_waitcnt lgkmcnt(0)
	v_fmac_f32_e32 v0, v5, v4
	ds_bpermute_b32 v4, v110, v2 offset:52
	v_mul_f32_e32 v5, v29, v33
	s_waitcnt vmcnt(0)
	v_cvt_f32_f16_e32 v34, v34
	s_waitcnt lgkmcnt(0)
	v_fmac_f32_e32 v0, v5, v4
	ds_bpermute_b32 v4, v110, v2 offset:56
	ds_bpermute_b32 v2, v110, v2 offset:60
	v_mul_f32_e32 v5, v32, v35
	s_waitcnt lgkmcnt(1)
	v_fmac_f32_e32 v0, v5, v4
	v_mul_f32_e32 v4, v30, v34
	s_waitcnt lgkmcnt(0)
	v_fmac_f32_e32 v0, v4, v2
	v_mov_b32_e32 v2, v0
.LBB174_129:                            ;   in Loop: Header=BB174_85 Depth=1
	buffer_load_dword v4, off, s[52:55], 0  ; 4-byte Folded Reload
	buffer_load_dword v5, off, s[52:55], 0 offset:4 ; 4-byte Folded Reload
	v_add_co_u32_e32 v50, vcc, s26, v50
	v_mov_b32_e32 v0, s27
	v_addc_co_u32_e32 v51, vcc, v51, v0, vcc
	v_add_co_u32_e32 v52, vcc, s26, v52
	v_addc_co_u32_e32 v53, vcc, v53, v0, vcc
	v_add_co_u32_e32 v54, vcc, s26, v54
	;; [unrolled: 2-line block ×31, first 2 shown]
	v_addc_co_u32_e32 v111, vcc, v111, v0, vcc
	s_waitcnt vmcnt(1)
	v_add_co_u32_e32 v4, vcc, s26, v4
	s_waitcnt vmcnt(0)
	buffer_store_dword v4, off, s[52:55], 0 ; 4-byte Folded Spill
	s_nop 0
	buffer_store_dword v5, off, s[52:55], 0 offset:4 ; 4-byte Folded Spill
	buffer_load_dword v4, off, s[52:55], 0 offset:8 ; 4-byte Folded Reload
	s_nop 0
	buffer_load_dword v5, off, s[52:55], 0 offset:12 ; 4-byte Folded Reload
	s_add_u32 s30, s30, s7
	s_addc_u32 s31, s31, 0
	s_add_u32 s24, s24, s7
	s_addc_u32 s25, s25, 0
	s_waitcnt vmcnt(0)
	v_addc_co_u32_e32 v5, vcc, v5, v0, vcc
	buffer_store_dword v4, off, s[52:55], 0 offset:8 ; 4-byte Folded Spill
	s_nop 0
	buffer_store_dword v5, off, s[52:55], 0 offset:12 ; 4-byte Folded Spill
	buffer_load_dword v4, off, s[52:55], 0 offset:16 ; 4-byte Folded Reload
	s_nop 0
	buffer_load_dword v5, off, s[52:55], 0 offset:20 ; 4-byte Folded Reload
	s_waitcnt vmcnt(1)
	v_add_co_u32_e32 v4, vcc, s26, v4
	s_waitcnt vmcnt(0)
	buffer_store_dword v4, off, s[52:55], 0 offset:16 ; 4-byte Folded Spill
	s_nop 0
	buffer_store_dword v5, off, s[52:55], 0 offset:20 ; 4-byte Folded Spill
	buffer_load_dword v4, off, s[52:55], 0 offset:24 ; 4-byte Folded Reload
	s_nop 0
	buffer_load_dword v5, off, s[52:55], 0 offset:28 ; 4-byte Folded Reload
	s_waitcnt vmcnt(0)
	v_addc_co_u32_e32 v5, vcc, v5, v0, vcc
	buffer_store_dword v4, off, s[52:55], 0 offset:24 ; 4-byte Folded Spill
	s_nop 0
	buffer_store_dword v5, off, s[52:55], 0 offset:28 ; 4-byte Folded Spill
	buffer_load_dword v4, off, s[52:55], 0 offset:32 ; 4-byte Folded Reload
	s_nop 0
	buffer_load_dword v5, off, s[52:55], 0 offset:36 ; 4-byte Folded Reload
	s_waitcnt vmcnt(1)
	v_add_co_u32_e32 v4, vcc, s26, v4
	s_waitcnt vmcnt(0)
	buffer_store_dword v4, off, s[52:55], 0 offset:32 ; 4-byte Folded Spill
	s_nop 0
	buffer_store_dword v5, off, s[52:55], 0 offset:36 ; 4-byte Folded Spill
	buffer_load_dword v4, off, s[52:55], 0 offset:40 ; 4-byte Folded Reload
	s_nop 0
	buffer_load_dword v5, off, s[52:55], 0 offset:44 ; 4-byte Folded Reload
	;; [unrolled: 17-line block ×3, first 2 shown]
	v_addc_co_u32_e32 v119, vcc, v119, v0, vcc
	v_add_co_u32_e32 v124, vcc, s26, v124
	v_addc_co_u32_e32 v121, vcc, v121, v0, vcc
	v_add_co_u32_e32 v126, vcc, s26, v126
	s_waitcnt vmcnt(0)
	v_addc_co_u32_e32 v5, vcc, v5, v0, vcc
	buffer_store_dword v4, off, s[52:55], 0 offset:56 ; 4-byte Folded Spill
	s_nop 0
	buffer_store_dword v5, off, s[52:55], 0 offset:60 ; 4-byte Folded Spill
	buffer_load_dword v4, off, s[52:55], 0 offset:64 ; 4-byte Folded Reload
	s_nop 0
	buffer_load_dword v5, off, s[52:55], 0 offset:68 ; 4-byte Folded Reload
	s_waitcnt vmcnt(1)
	v_add_co_u32_e32 v4, vcc, s26, v4
	s_waitcnt vmcnt(0)
	buffer_store_dword v4, off, s[52:55], 0 offset:64 ; 4-byte Folded Spill
	s_nop 0
	buffer_store_dword v5, off, s[52:55], 0 offset:68 ; 4-byte Folded Spill
	buffer_load_dword v4, off, s[52:55], 0 offset:72 ; 4-byte Folded Reload
	s_nop 0
	buffer_load_dword v5, off, s[52:55], 0 offset:76 ; 4-byte Folded Reload
	s_waitcnt vmcnt(0)
	v_addc_co_u32_e32 v5, vcc, v5, v0, vcc
	buffer_store_dword v4, off, s[52:55], 0 offset:72 ; 4-byte Folded Spill
	s_nop 0
	buffer_store_dword v5, off, s[52:55], 0 offset:76 ; 4-byte Folded Spill
	buffer_load_dword v4, off, s[52:55], 0 offset:80 ; 4-byte Folded Reload
	s_nop 0
	buffer_load_dword v5, off, s[52:55], 0 offset:84 ; 4-byte Folded Reload
	s_waitcnt vmcnt(1)
	v_add_co_u32_e32 v4, vcc, s26, v4
	s_waitcnt vmcnt(0)
	buffer_store_dword v4, off, s[52:55], 0 offset:80 ; 4-byte Folded Spill
	s_nop 0
	buffer_store_dword v5, off, s[52:55], 0 offset:84 ; 4-byte Folded Spill
	buffer_load_dword v4, off, s[52:55], 0 offset:88 ; 4-byte Folded Reload
	s_nop 0
	buffer_load_dword v5, off, s[52:55], 0 offset:92 ; 4-byte Folded Reload
	;; [unrolled: 17-line block ×21, first 2 shown]
	s_waitcnt vmcnt(0)
	v_addc_co_u32_e32 v5, vcc, v5, v0, vcc
	buffer_store_dword v4, off, s[52:55], 0 offset:392 ; 4-byte Folded Spill
	s_nop 0
	buffer_store_dword v5, off, s[52:55], 0 offset:396 ; 4-byte Folded Spill
	buffer_load_dword v4, off, s[52:55], 0 offset:400 ; 4-byte Folded Reload
	s_nop 0
	buffer_load_dword v5, off, s[52:55], 0 offset:404 ; 4-byte Folded Reload
	s_waitcnt vmcnt(1)
	v_add_co_u32_e32 v4, vcc, s26, v4
	v_addc_co_u32_e32 v125, vcc, v125, v0, vcc
	v_add_co_u32_e32 v118, vcc, s26, v118
	v_addc_co_u32_e32 v127, vcc, v127, v0, vcc
	s_waitcnt vmcnt(0)
	buffer_store_dword v4, off, s[52:55], 0 offset:400 ; 4-byte Folded Spill
	s_nop 0
	buffer_store_dword v5, off, s[52:55], 0 offset:404 ; 4-byte Folded Spill
	v_add_co_u32_e32 v120, vcc, s26, v120
	v_addc_co_u32_e32 v123, vcc, v123, v0, vcc
	v_pk_mov_b32 v[4:5], s[36:37], s[36:37] op_sel:[0,1]
	v_cmp_ge_i64_e32 vcc, s[30:31], v[4:5]
	s_cbranch_vccnz .LBB174_131
; %bb.130:                              ;   in Loop: Header=BB174_85 Depth=1
	v_mov_b32_e32 v0, v2
	s_branch .LBB174_85
.LBB174_131:
	buffer_load_dword v122, off, s[52:55], 0 offset:424 ; 4-byte Folded Reload
.LBB174_132:
	s_waitcnt vmcnt(0)
	v_bfe_u32 v0, v122, 10, 10
	v_and_b32_e32 v3, 0x3ff, v122
	s_movk_i32 s0, 0x41
	v_mad_u32_u24 v1, v0, s0, v3
	v_lshl_add_u32 v1, v1, 2, 0
	ds_write_b32 v1, v2
	v_mov_b32_e32 v2, 0
	ds_write_b32 v1, v2 offset:4160
	v_lshrrev_b32_e32 v1, 6, v3
	v_add_u32_e32 v2, v1, v0
	s_mov_b32 s7, 0
	v_cmp_gt_u32_e32 vcc, 64, v2
	s_waitcnt lgkmcnt(0)
	s_barrier
	s_and_saveexec_b64 s[0:1], vcc
	s_cbranch_execz .LBB174_139
; %bb.133:
	v_mbcnt_lo_u32_b32 v5, -1, 0
	v_mbcnt_hi_u32_b32 v7, -1, v5
	v_and_b32_e32 v4, 63, v3
	v_and_b32_e32 v5, 64, v7
	v_cmp_gt_u32_e32 vcc, 16, v4
	v_add_u32_e32 v8, 64, v5
	v_cmp_ne_u32_e64 s[0:1], 0, v3
	v_mul_u32_u24_e32 v3, 0x104, v4
	v_xor_b32_e32 v4, 8, v7
	v_cmp_lt_i32_e64 s[2:3], v4, v8
	v_xor_b32_e32 v5, 4, v7
	v_cndmask_b32_e64 v4, v7, v4, s[2:3]
	v_cmp_lt_i32_e64 s[2:3], v5, v8
	v_xor_b32_e32 v6, 2, v7
	v_cndmask_b32_e64 v5, v7, v5, s[2:3]
	;; [unrolled: 3-line block ×3, first 2 shown]
	v_cmp_lt_i32_e64 s[2:3], v9, v8
	s_load_dwordx2 s[10:11], s[4:5], 0x30
	v_cndmask_b32_e64 v7, v7, v9, s[2:3]
	v_add_co_u32_e64 v0, s[2:3], v1, v0
	s_lshl_b64 s[4:5], s[6:7], 6
	v_lshlrev_b32_e32 v2, 2, v2
	v_addc_co_u32_e64 v1, s[2:3], 0, 0, s[2:3]
	v_add3_u32 v8, v3, v2, 0
	v_mov_b32_e32 v3, s5
	v_add_co_u32_e64 v2, s[2:3], s4, v0
	v_addc_co_u32_e64 v3, s[2:3], v1, v3, s[2:3]
	v_lshlrev_b64 v[2:3], 1, v[2:3]
	s_waitcnt lgkmcnt(0)
	s_cmp_eq_u64 s[10:11], 0
	v_mov_b32_e32 v9, s11
	v_add_co_u32_e64 v2, s[2:3], s10, v2
	s_mov_b64 s[6:7], 0
	s_cselect_b64 s[8:9], -1, 0
	v_lshlrev_b32_e32 v4, 2, v4
	v_lshlrev_b32_e32 v5, 2, v5
	;; [unrolled: 1-line block ×4, first 2 shown]
	v_addc_co_u32_e64 v3, s[2:3], v9, v3, s[2:3]
	v_mov_b32_e32 v9, s5
                                        ; implicit-def: $vgpr10
	s_branch .LBB174_135
.LBB174_134:                            ;   in Loop: Header=BB174_135 Depth=1
	s_or_b64 exec, exec, s[2:3]
	v_add_co_u32_e64 v0, s[2:3], 16, v0
	v_addc_co_u32_e64 v1, s[2:3], 0, v1, s[2:3]
	v_add_u32_e32 v11, -16, v0
	v_cmp_lt_u32_e64 s[2:3], 47, v11
	s_or_b64 s[6:7], s[2:3], s[6:7]
	v_add_co_u32_e64 v2, s[2:3], 32, v2
	v_add_u32_e32 v8, 64, v8
	v_addc_co_u32_e64 v3, s[2:3], 0, v3, s[2:3]
	s_andn2_b64 exec, exec, s[6:7]
	s_cbranch_execz .LBB174_139
.LBB174_135:                            ; =>This Inner Loop Header: Depth=1
	s_and_saveexec_b64 s[2:3], vcc
	s_cbranch_execz .LBB174_137
; %bb.136:                              ;   in Loop: Header=BB174_135 Depth=1
	ds_read_b32 v10, v8
.LBB174_137:                            ;   in Loop: Header=BB174_135 Depth=1
	s_or_b64 exec, exec, s[2:3]
	s_waitcnt lgkmcnt(0)
	ds_bpermute_b32 v11, v4, v10
	s_waitcnt lgkmcnt(0)
	v_add_f32_e32 v10, v10, v11
	ds_bpermute_b32 v11, v5, v10
	s_waitcnt lgkmcnt(0)
	v_add_f32_e32 v10, v10, v11
	;; [unrolled: 3-line block ×3, first 2 shown]
	ds_bpermute_b32 v13, v7, v12
	v_add_co_u32_e64 v10, s[2:3], s4, v0
	v_addc_co_u32_e64 v11, s[2:3], v9, v1, s[2:3]
	v_cmp_le_i64_e64 s[2:3], s[38:39], v[10:11]
	s_or_b64 s[2:3], s[0:1], s[2:3]
	s_or_b64 s[2:3], s[8:9], s[2:3]
	s_waitcnt lgkmcnt(0)
	v_add_f32_e32 v10, v12, v13
	s_xor_b64 s[10:11], s[2:3], -1
	s_and_saveexec_b64 s[2:3], s[10:11]
	s_cbranch_execz .LBB174_134
; %bb.138:                              ;   in Loop: Header=BB174_135 Depth=1
	v_cvt_f16_f32_e32 v11, v10
	global_store_short v[2:3], v11, off
	s_branch .LBB174_134
.LBB174_139:
	s_endpgm
	.section	.rodata,"a",@progbits
	.p2align	6, 0x0
	.amdhsa_kernel _ZN2at6native12_GLOBAL__N_135GammaBetaBackwardCUDAKernelTemplateIN3c104HalfEfLj64ELj16ELj256ELb0ELb0ELb1EEEvllPKT_S7_PKT0_SA_PS5_SB_
		.amdhsa_group_segment_fixed_size 0
		.amdhsa_private_segment_fixed_size 432
		.amdhsa_kernarg_size 320
		.amdhsa_user_sgpr_count 6
		.amdhsa_user_sgpr_private_segment_buffer 1
		.amdhsa_user_sgpr_dispatch_ptr 0
		.amdhsa_user_sgpr_queue_ptr 0
		.amdhsa_user_sgpr_kernarg_segment_ptr 1
		.amdhsa_user_sgpr_dispatch_id 0
		.amdhsa_user_sgpr_flat_scratch_init 0
		.amdhsa_user_sgpr_kernarg_preload_length 0
		.amdhsa_user_sgpr_kernarg_preload_offset 0
		.amdhsa_user_sgpr_private_segment_size 0
		.amdhsa_uses_dynamic_stack 0
		.amdhsa_system_sgpr_private_segment_wavefront_offset 1
		.amdhsa_system_sgpr_workgroup_id_x 1
		.amdhsa_system_sgpr_workgroup_id_y 1
		.amdhsa_system_sgpr_workgroup_id_z 0
		.amdhsa_system_sgpr_workgroup_info 0
		.amdhsa_system_vgpr_workitem_id 1
		.amdhsa_next_free_vgpr 128
		.amdhsa_next_free_sgpr 56
		.amdhsa_accum_offset 128
		.amdhsa_reserve_vcc 1
		.amdhsa_reserve_flat_scratch 0
		.amdhsa_float_round_mode_32 0
		.amdhsa_float_round_mode_16_64 0
		.amdhsa_float_denorm_mode_32 3
		.amdhsa_float_denorm_mode_16_64 3
		.amdhsa_dx10_clamp 1
		.amdhsa_ieee_mode 1
		.amdhsa_fp16_overflow 0
		.amdhsa_tg_split 0
		.amdhsa_exception_fp_ieee_invalid_op 0
		.amdhsa_exception_fp_denorm_src 0
		.amdhsa_exception_fp_ieee_div_zero 0
		.amdhsa_exception_fp_ieee_overflow 0
		.amdhsa_exception_fp_ieee_underflow 0
		.amdhsa_exception_fp_ieee_inexact 0
		.amdhsa_exception_int_div_zero 0
	.end_amdhsa_kernel
	.section	.text._ZN2at6native12_GLOBAL__N_135GammaBetaBackwardCUDAKernelTemplateIN3c104HalfEfLj64ELj16ELj256ELb0ELb0ELb1EEEvllPKT_S7_PKT0_SA_PS5_SB_,"axG",@progbits,_ZN2at6native12_GLOBAL__N_135GammaBetaBackwardCUDAKernelTemplateIN3c104HalfEfLj64ELj16ELj256ELb0ELb0ELb1EEEvllPKT_S7_PKT0_SA_PS5_SB_,comdat
.Lfunc_end174:
	.size	_ZN2at6native12_GLOBAL__N_135GammaBetaBackwardCUDAKernelTemplateIN3c104HalfEfLj64ELj16ELj256ELb0ELb0ELb1EEEvllPKT_S7_PKT0_SA_PS5_SB_, .Lfunc_end174-_ZN2at6native12_GLOBAL__N_135GammaBetaBackwardCUDAKernelTemplateIN3c104HalfEfLj64ELj16ELj256ELb0ELb0ELb1EEEvllPKT_S7_PKT0_SA_PS5_SB_
                                        ; -- End function
	.section	.AMDGPU.csdata,"",@progbits
; Kernel info:
; codeLenInByte = 17128
; NumSgprs: 60
; NumVgprs: 128
; NumAgprs: 0
; TotalNumVgprs: 128
; ScratchSize: 432
; MemoryBound: 0
; FloatMode: 240
; IeeeMode: 1
; LDSByteSize: 0 bytes/workgroup (compile time only)
; SGPRBlocks: 7
; VGPRBlocks: 15
; NumSGPRsForWavesPerEU: 60
; NumVGPRsForWavesPerEU: 128
; AccumOffset: 128
; Occupancy: 4
; WaveLimiterHint : 0
; COMPUTE_PGM_RSRC2:SCRATCH_EN: 1
; COMPUTE_PGM_RSRC2:USER_SGPR: 6
; COMPUTE_PGM_RSRC2:TRAP_HANDLER: 0
; COMPUTE_PGM_RSRC2:TGID_X_EN: 1
; COMPUTE_PGM_RSRC2:TGID_Y_EN: 1
; COMPUTE_PGM_RSRC2:TGID_Z_EN: 0
; COMPUTE_PGM_RSRC2:TIDIG_COMP_CNT: 1
; COMPUTE_PGM_RSRC3_GFX90A:ACCUM_OFFSET: 31
; COMPUTE_PGM_RSRC3_GFX90A:TG_SPLIT: 0
	.section	.text._ZN2at6native12_GLOBAL__N_135GammaBetaBackwardCUDAKernelTemplateIN3c104HalfEfLj32ELj1ELj32ELb1ELb1ELb1EEEvllPKT_S7_PKT0_SA_PS5_SB_,"axG",@progbits,_ZN2at6native12_GLOBAL__N_135GammaBetaBackwardCUDAKernelTemplateIN3c104HalfEfLj32ELj1ELj32ELb1ELb1ELb1EEEvllPKT_S7_PKT0_SA_PS5_SB_,comdat
	.globl	_ZN2at6native12_GLOBAL__N_135GammaBetaBackwardCUDAKernelTemplateIN3c104HalfEfLj32ELj1ELj32ELb1ELb1ELb1EEEvllPKT_S7_PKT0_SA_PS5_SB_ ; -- Begin function _ZN2at6native12_GLOBAL__N_135GammaBetaBackwardCUDAKernelTemplateIN3c104HalfEfLj32ELj1ELj32ELb1ELb1ELb1EEEvllPKT_S7_PKT0_SA_PS5_SB_
	.p2align	8
	.type	_ZN2at6native12_GLOBAL__N_135GammaBetaBackwardCUDAKernelTemplateIN3c104HalfEfLj32ELj1ELj32ELb1ELb1ELb1EEEvllPKT_S7_PKT0_SA_PS5_SB_,@function
_ZN2at6native12_GLOBAL__N_135GammaBetaBackwardCUDAKernelTemplateIN3c104HalfEfLj32ELj1ELj32ELb1ELb1ELb1EEEvllPKT_S7_PKT0_SA_PS5_SB_: ; @_ZN2at6native12_GLOBAL__N_135GammaBetaBackwardCUDAKernelTemplateIN3c104HalfEfLj32ELj1ELj32ELb1ELb1ELb1EEEvllPKT_S7_PKT0_SA_PS5_SB_
; %bb.0:
	s_load_dwordx4 s[8:11], s[4:5], 0x0
	s_load_dwordx2 s[16:17], s[4:5], 0x30
	s_lshl_b32 s18, s7, 5
	s_mov_b32 s19, 0
	s_mov_b32 s2, s7
	s_waitcnt lgkmcnt(0)
	v_pk_mov_b32 v[2:3], s[8:9], s[8:9] op_sel:[0,1]
	v_cmp_ge_i64_e32 vcc, s[18:19], v[2:3]
	v_mov_b32_e32 v1, 0
	v_bfe_u32 v2, v0, 10, 10
	s_cbranch_vccnz .LBB175_8
; %bb.1:
	s_load_dword s0, s[4:5], 0x4c
	s_load_dword s3, s[4:5], 0x44
	s_load_dwordx4 s[12:15], s[4:5], 0x10
	s_load_dwordx2 s[22:23], s[4:5], 0x28
	v_and_b32_e32 v1, 0x3ff, v0
	s_waitcnt lgkmcnt(0)
	s_and_b32 s0, s0, 0xffff
	v_mad_u32_u24 v3, v2, s0, v1
	v_lshl_or_b32 v4, s6, 5, v1
	v_mbcnt_lo_u32_b32 v1, -1, 0
	v_mbcnt_hi_u32_b32 v1, -1, v1
	v_lshlrev_b32_e32 v7, 5, v2
	v_lshlrev_b32_e32 v1, 2, v1
	v_and_b32_e32 v6, 63, v3
	v_and_b32_e32 v3, 0x100, v1
	v_mov_b32_e32 v1, s19
	v_add_co_u32_e32 v10, vcc, s18, v7
	v_addc_co_u32_e32 v1, vcc, 0, v1, vcc
	v_cmp_gt_u32_e64 s[0:1], 32, v6
	v_add_co_u32_e32 v6, vcc, v10, v6
	v_addc_co_u32_e32 v7, vcc, 0, v1, vcc
	v_lshlrev_b64 v[8:9], 2, v[6:7]
	v_mov_b32_e32 v11, s23
	v_add_co_u32_e32 v8, vcc, s22, v8
	v_addc_co_u32_e32 v9, vcc, v11, v9, vcc
	v_mul_lo_u32 v12, s11, v10
	v_mul_lo_u32 v1, s10, v1
	v_mad_u64_u32 v[10:11], s[24:25], s10, v10, 0
	v_mov_b32_e32 v5, 0
	s_lshl_b32 s20, s3, 5
	v_add3_u32 v11, v11, v1, v12
	v_lshlrev_b64 v[10:11], 1, v[10:11]
	v_lshlrev_b64 v[12:13], 1, v[4:5]
	s_mul_i32 s3, s11, s20
	s_mul_hi_u32 s7, s10, s20
	s_mov_b32 s21, s19
	v_add_co_u32_e32 v4, vcc, v10, v12
	s_add_i32 s25, s7, s3
	s_mul_i32 s24, s10, s20
	v_or_b32_e32 v14, 4, v3
	v_or_b32_e32 v15, 8, v3
	;; [unrolled: 1-line block ×31, first 2 shown]
	s_lshl_b64 s[22:23], s[20:21], 2
	v_addc_co_u32_e32 v1, vcc, v11, v13, vcc
	s_lshl_b64 s[24:25], s[24:25], 1
	s_lshl_b64 s[26:27], s[10:11], 1
	s_branch .LBB175_4
.LBB175_2:                              ;   in Loop: Header=BB175_4 Depth=1
	s_or_b64 exec, exec, s[30:31]
.LBB175_3:                              ;   in Loop: Header=BB175_4 Depth=1
	s_or_b64 exec, exec, s[28:29]
	v_mov_b32_e32 v11, s13
	v_add_co_u32_e32 v10, vcc, s12, v4
	v_addc_co_u32_e32 v11, vcc, v11, v1, vcc
	v_mov_b32_e32 v13, s15
	v_add_co_u32_e32 v12, vcc, s14, v4
	v_addc_co_u32_e32 v13, vcc, v13, v1, vcc
	global_load_ushort v47, v[10:11], off
	global_load_ushort v52, v[12:13], off
	v_mov_b32_e32 v46, s27
	v_add_co_u32_e32 v10, vcc, s26, v10
	v_addc_co_u32_e32 v11, vcc, v11, v46, vcc
	v_add_co_u32_e32 v12, vcc, s26, v12
	v_addc_co_u32_e32 v13, vcc, v13, v46, vcc
	global_load_ushort v53, v[10:11], off
	global_load_ushort v54, v[12:13], off
	v_add_co_u32_e32 v10, vcc, s26, v10
	v_addc_co_u32_e32 v11, vcc, v11, v46, vcc
	v_add_co_u32_e32 v12, vcc, s26, v12
	v_addc_co_u32_e32 v13, vcc, v13, v46, vcc
	global_load_ushort v55, v[10:11], off
	global_load_ushort v56, v[12:13], off
	;; [unrolled: 6-line block ×4, first 2 shown]
	v_add_co_u32_e32 v48, vcc, s26, v10
	v_addc_co_u32_e32 v49, vcc, v11, v46, vcc
	v_add_co_u32_e32 v50, vcc, s26, v12
	v_addc_co_u32_e32 v51, vcc, v13, v46, vcc
	;; [unrolled: 2-line block ×3, first 2 shown]
	global_load_ushort v61, v[48:49], off
	v_add_co_u32_e32 v12, vcc, s26, v50
	global_load_ushort v50, v[50:51], off
	v_addc_co_u32_e32 v13, vcc, v51, v46, vcc
	global_load_ushort v51, v[12:13], off
	s_add_u32 s18, s18, s20
	s_addc_u32 s19, s19, 0
	s_waitcnt vmcnt(12)
	v_cvt_f32_f16_e32 v47, v47
	s_waitcnt vmcnt(11)
	v_cvt_f32_f16_e32 v48, v52
	v_mul_f32_e32 v47, v47, v48
	ds_bpermute_b32 v48, v3, v45
	s_waitcnt lgkmcnt(0)
	v_fmac_f32_e32 v5, v47, v48
	global_load_ushort v47, v[10:11], off
	v_add_co_u32_e32 v48, vcc, s26, v10
	v_addc_co_u32_e32 v49, vcc, v11, v46, vcc
	v_add_co_u32_e32 v10, vcc, s26, v12
	v_addc_co_u32_e32 v11, vcc, v13, v46, vcc
	s_waitcnt vmcnt(11)
	v_cvt_f32_f16_e32 v12, v53
	s_waitcnt vmcnt(10)
	v_cvt_f32_f16_e32 v13, v54
	global_load_ushort v52, v[48:49], off
	global_load_ushort v53, v[10:11], off
	v_mul_f32_e32 v12, v12, v13
	ds_bpermute_b32 v13, v14, v45
	s_waitcnt lgkmcnt(0)
	v_fmac_f32_e32 v5, v12, v13
	v_add_co_u32_e32 v12, vcc, s26, v48
	v_addc_co_u32_e32 v13, vcc, v49, v46, vcc
	v_add_co_u32_e32 v48, vcc, s26, v10
	v_addc_co_u32_e32 v49, vcc, v11, v46, vcc
	s_waitcnt vmcnt(11)
	v_cvt_f32_f16_e32 v10, v55
	s_waitcnt vmcnt(10)
	v_cvt_f32_f16_e32 v11, v56
	global_load_ushort v54, v[12:13], off
	global_load_ushort v55, v[48:49], off
	v_mul_f32_e32 v10, v10, v11
	ds_bpermute_b32 v11, v15, v45
	s_waitcnt lgkmcnt(0)
	v_fmac_f32_e32 v5, v10, v11
	;; [unrolled: 14-line block ×4, first 2 shown]
	v_add_co_u32_e32 v12, vcc, s26, v48
	v_addc_co_u32_e32 v13, vcc, v49, v46, vcc
	v_add_co_u32_e32 v48, vcc, s26, v10
	v_addc_co_u32_e32 v49, vcc, v11, v46, vcc
	s_waitcnt vmcnt(11)
	v_cvt_f32_f16_e32 v10, v61
	s_waitcnt vmcnt(10)
	v_cvt_f32_f16_e32 v11, v50
	global_load_ushort v50, v[12:13], off
	global_load_ushort v60, v[48:49], off
	s_waitcnt vmcnt(10)
	v_cvt_f32_f16_e32 v47, v47
	v_mul_f32_e32 v10, v10, v11
	ds_bpermute_b32 v11, v18, v45
	s_waitcnt lgkmcnt(0)
	v_fmac_f32_e32 v5, v10, v11
	v_add_co_u32_e32 v10, vcc, s26, v12
	v_addc_co_u32_e32 v11, vcc, v13, v46, vcc
	v_add_co_u32_e32 v12, vcc, s26, v48
	v_cvt_f32_f16_e32 v48, v51
	v_addc_co_u32_e32 v13, vcc, v49, v46, vcc
	global_load_ushort v51, v[12:13], off
	v_mul_f32_e32 v47, v47, v48
	ds_bpermute_b32 v48, v19, v45
	s_waitcnt lgkmcnt(0)
	v_fmac_f32_e32 v5, v47, v48
	global_load_ushort v47, v[10:11], off
	v_add_co_u32_e32 v48, vcc, s26, v10
	v_addc_co_u32_e32 v49, vcc, v11, v46, vcc
	v_add_co_u32_e32 v10, vcc, s26, v12
	v_addc_co_u32_e32 v11, vcc, v13, v46, vcc
	s_waitcnt vmcnt(11)
	v_cvt_f32_f16_e32 v12, v52
	s_waitcnt vmcnt(10)
	v_cvt_f32_f16_e32 v13, v53
	global_load_ushort v52, v[48:49], off
	global_load_ushort v53, v[10:11], off
	v_mul_f32_e32 v12, v12, v13
	ds_bpermute_b32 v13, v20, v45
	s_waitcnt lgkmcnt(0)
	v_fmac_f32_e32 v5, v12, v13
	v_add_co_u32_e32 v12, vcc, s26, v48
	v_addc_co_u32_e32 v13, vcc, v49, v46, vcc
	v_add_co_u32_e32 v48, vcc, s26, v10
	v_addc_co_u32_e32 v49, vcc, v11, v46, vcc
	s_waitcnt vmcnt(11)
	v_cvt_f32_f16_e32 v10, v54
	s_waitcnt vmcnt(10)
	v_cvt_f32_f16_e32 v11, v55
	global_load_ushort v54, v[12:13], off
	global_load_ushort v55, v[48:49], off
	v_mul_f32_e32 v10, v10, v11
	ds_bpermute_b32 v11, v21, v45
	s_waitcnt lgkmcnt(0)
	v_fmac_f32_e32 v5, v10, v11
	;; [unrolled: 14-line block ×4, first 2 shown]
	v_add_co_u32_e32 v12, vcc, s26, v48
	v_addc_co_u32_e32 v13, vcc, v49, v46, vcc
	v_add_co_u32_e32 v48, vcc, s26, v10
	v_addc_co_u32_e32 v49, vcc, v11, v46, vcc
	s_waitcnt vmcnt(11)
	v_cvt_f32_f16_e32 v10, v50
	s_waitcnt vmcnt(10)
	v_cvt_f32_f16_e32 v11, v60
	global_load_ushort v50, v[12:13], off
	global_load_ushort v60, v[48:49], off
	s_waitcnt vmcnt(10)
	v_cvt_f32_f16_e32 v47, v47
	v_mul_f32_e32 v10, v10, v11
	ds_bpermute_b32 v11, v24, v45
	s_waitcnt lgkmcnt(0)
	v_fmac_f32_e32 v5, v10, v11
	v_add_co_u32_e32 v10, vcc, s26, v12
	v_addc_co_u32_e32 v11, vcc, v13, v46, vcc
	v_add_co_u32_e32 v12, vcc, s26, v48
	v_cvt_f32_f16_e32 v48, v51
	v_addc_co_u32_e32 v13, vcc, v49, v46, vcc
	global_load_ushort v51, v[12:13], off
	v_mul_f32_e32 v47, v47, v48
	ds_bpermute_b32 v48, v25, v45
	s_waitcnt lgkmcnt(0)
	v_fmac_f32_e32 v5, v47, v48
	global_load_ushort v47, v[10:11], off
	v_add_co_u32_e32 v48, vcc, s26, v10
	v_addc_co_u32_e32 v49, vcc, v11, v46, vcc
	v_add_co_u32_e32 v10, vcc, s26, v12
	v_addc_co_u32_e32 v11, vcc, v13, v46, vcc
	s_waitcnt vmcnt(11)
	v_cvt_f32_f16_e32 v12, v52
	s_waitcnt vmcnt(10)
	v_cvt_f32_f16_e32 v13, v53
	global_load_ushort v52, v[48:49], off
	global_load_ushort v53, v[10:11], off
	v_mul_f32_e32 v12, v12, v13
	ds_bpermute_b32 v13, v26, v45
	s_waitcnt lgkmcnt(0)
	v_fmac_f32_e32 v5, v12, v13
	v_add_co_u32_e32 v12, vcc, s26, v48
	v_addc_co_u32_e32 v13, vcc, v49, v46, vcc
	v_add_co_u32_e32 v48, vcc, s26, v10
	v_addc_co_u32_e32 v49, vcc, v11, v46, vcc
	s_waitcnt vmcnt(11)
	v_cvt_f32_f16_e32 v10, v54
	s_waitcnt vmcnt(10)
	v_cvt_f32_f16_e32 v11, v55
	global_load_ushort v54, v[12:13], off
	global_load_ushort v55, v[48:49], off
	v_mul_f32_e32 v10, v10, v11
	ds_bpermute_b32 v11, v27, v45
	s_waitcnt lgkmcnt(0)
	v_fmac_f32_e32 v5, v10, v11
	;; [unrolled: 14-line block ×4, first 2 shown]
	v_add_co_u32_e32 v12, vcc, s26, v48
	v_addc_co_u32_e32 v13, vcc, v49, v46, vcc
	v_add_co_u32_e32 v48, vcc, s26, v10
	v_addc_co_u32_e32 v49, vcc, v11, v46, vcc
	s_waitcnt vmcnt(11)
	v_cvt_f32_f16_e32 v10, v50
	s_waitcnt vmcnt(10)
	v_cvt_f32_f16_e32 v11, v60
	global_load_ushort v50, v[12:13], off
	global_load_ushort v60, v[48:49], off
	s_waitcnt vmcnt(10)
	v_cvt_f32_f16_e32 v47, v47
	v_mul_f32_e32 v10, v10, v11
	ds_bpermute_b32 v11, v30, v45
	s_waitcnt lgkmcnt(0)
	v_fmac_f32_e32 v5, v10, v11
	v_add_co_u32_e32 v10, vcc, s26, v12
	v_addc_co_u32_e32 v11, vcc, v13, v46, vcc
	v_add_co_u32_e32 v12, vcc, s26, v48
	v_cvt_f32_f16_e32 v48, v51
	v_addc_co_u32_e32 v13, vcc, v49, v46, vcc
	global_load_ushort v51, v[12:13], off
	v_mul_f32_e32 v47, v47, v48
	ds_bpermute_b32 v48, v31, v45
	s_waitcnt lgkmcnt(0)
	v_fmac_f32_e32 v5, v47, v48
	v_add_co_u32_e32 v48, vcc, s26, v10
	v_addc_co_u32_e32 v49, vcc, v11, v46, vcc
	global_load_ushort v47, v[10:11], off
	v_add_co_u32_e32 v10, vcc, s26, v12
	v_addc_co_u32_e32 v11, vcc, v13, v46, vcc
	s_waitcnt vmcnt(11)
	v_cvt_f32_f16_e32 v12, v52
	s_waitcnt vmcnt(10)
	v_cvt_f32_f16_e32 v13, v53
	global_load_ushort v52, v[48:49], off
	global_load_ushort v53, v[10:11], off
	v_mul_f32_e32 v12, v12, v13
	ds_bpermute_b32 v13, v32, v45
	s_waitcnt lgkmcnt(0)
	v_fmac_f32_e32 v5, v12, v13
	v_add_co_u32_e32 v12, vcc, s26, v48
	v_addc_co_u32_e32 v13, vcc, v49, v46, vcc
	v_add_co_u32_e32 v48, vcc, s26, v10
	v_addc_co_u32_e32 v49, vcc, v11, v46, vcc
	s_waitcnt vmcnt(11)
	v_cvt_f32_f16_e32 v10, v54
	s_waitcnt vmcnt(10)
	v_cvt_f32_f16_e32 v11, v55
	global_load_ushort v54, v[12:13], off
	global_load_ushort v55, v[48:49], off
	v_mul_f32_e32 v10, v10, v11
	ds_bpermute_b32 v11, v33, v45
	s_waitcnt lgkmcnt(0)
	v_fmac_f32_e32 v5, v10, v11
	v_add_co_u32_e32 v10, vcc, s26, v12
	v_addc_co_u32_e32 v11, vcc, v13, v46, vcc
	;; [unrolled: 14-line block ×5, first 2 shown]
	v_add_co_u32_e32 v12, vcc, s26, v48
	v_addc_co_u32_e32 v13, vcc, v49, v46, vcc
	v_add_co_u32_e32 v48, vcc, s26, v10
	v_addc_co_u32_e32 v49, vcc, v11, v46, vcc
	global_load_ushort v61, v[10:11], off
	v_add_co_u32_e32 v10, vcc, s26, v12
	v_addc_co_u32_e32 v11, vcc, v13, v46, vcc
	global_load_ushort v46, v[12:13], off
	global_load_ushort v62, v[48:49], off
	global_load_ushort v63, v[10:11], off
	s_waitcnt vmcnt(14)
	v_cvt_f32_f16_e32 v10, v47
	v_cvt_f32_f16_e32 v11, v51
	s_waitcnt vmcnt(13)
	v_cvt_f32_f16_e32 v12, v52
	s_waitcnt vmcnt(12)
	;; [unrolled: 2-line block ×3, first 2 shown]
	v_cvt_f32_f16_e32 v47, v54
	v_mul_f32_e32 v10, v10, v11
	ds_bpermute_b32 v11, v38, v45
	s_waitcnt vmcnt(10)
	v_cvt_f32_f16_e32 v48, v55
	v_mul_f32_e32 v12, v12, v13
	ds_bpermute_b32 v13, v44, v45
	v_add_co_u32_e32 v8, vcc, s22, v8
	s_waitcnt vmcnt(9)
	v_cvt_f32_f16_e32 v49, v56
	ds_bpermute_b32 v56, v37, v45
	s_waitcnt vmcnt(8)
	v_cvt_f32_f16_e32 v51, v57
	s_waitcnt lgkmcnt(0)
	v_fmac_f32_e32 v5, v10, v56
	ds_bpermute_b32 v10, v39, v45
	v_fmac_f32_e32 v5, v12, v11
	ds_bpermute_b32 v11, v40, v45
	v_mul_f32_e32 v12, v47, v48
	s_waitcnt lgkmcnt(1)
	v_fmac_f32_e32 v5, v12, v10
	ds_bpermute_b32 v10, v41, v45
	v_mul_f32_e32 v12, v49, v51
	s_waitcnt lgkmcnt(1)
	v_fmac_f32_e32 v5, v12, v11
	ds_bpermute_b32 v12, v42, v45
	s_waitcnt vmcnt(7)
	v_cvt_f32_f16_e32 v52, v58
	s_waitcnt vmcnt(6)
	v_cvt_f32_f16_e32 v53, v59
	v_mul_f32_e32 v11, v52, v53
	s_waitcnt lgkmcnt(1)
	v_fmac_f32_e32 v5, v11, v10
	ds_bpermute_b32 v10, v43, v45
	s_waitcnt vmcnt(5)
	v_cvt_f32_f16_e32 v50, v50
	s_waitcnt vmcnt(4)
	v_cvt_f32_f16_e32 v54, v60
	v_mul_f32_e32 v11, v50, v54
	s_waitcnt lgkmcnt(1)
	v_fmac_f32_e32 v5, v11, v12
	s_waitcnt vmcnt(3)
	v_cvt_f32_f16_e32 v55, v61
	s_waitcnt vmcnt(2)
	v_cvt_f32_f16_e32 v46, v46
	;; [unrolled: 2-line block ×4, first 2 shown]
	v_mul_f32_e32 v11, v55, v46
	s_waitcnt lgkmcnt(0)
	v_fmac_f32_e32 v5, v11, v10
	v_mul_f32_e32 v10, v57, v58
	v_fmac_f32_e32 v5, v10, v13
	v_mov_b32_e32 v10, s23
	v_addc_co_u32_e32 v9, vcc, v9, v10, vcc
	v_mov_b32_e32 v10, s21
	v_add_co_u32_e32 v6, vcc, s20, v6
	v_addc_co_u32_e32 v7, vcc, v7, v10, vcc
	v_mov_b32_e32 v10, s25
	v_add_co_u32_e32 v4, vcc, s24, v4
	v_addc_co_u32_e32 v1, vcc, v1, v10, vcc
	v_pk_mov_b32 v[10:11], s[8:9], s[8:9] op_sel:[0,1]
	v_cmp_lt_i64_e32 vcc, s[18:19], v[10:11]
	s_cbranch_vccz .LBB175_7
.LBB175_4:                              ; =>This Inner Loop Header: Depth=1
	v_mov_b32_e32 v45, 0
	s_and_saveexec_b64 s[28:29], s[0:1]
	s_cbranch_execz .LBB175_3
; %bb.5:                                ;   in Loop: Header=BB175_4 Depth=1
	v_cmp_gt_i64_e32 vcc, s[8:9], v[6:7]
	v_mov_b32_e32 v45, 0
	s_and_saveexec_b64 s[30:31], vcc
	s_cbranch_execz .LBB175_2
; %bb.6:                                ;   in Loop: Header=BB175_4 Depth=1
	global_load_dword v45, v[8:9], off
	s_branch .LBB175_2
.LBB175_7:
	v_cvt_f16_f32_e32 v1, v5
.LBB175_8:
	s_cmp_eq_u64 s[16:17], 0
	s_cbranch_scc1 .LBB175_10
; %bb.9:
	s_load_dword s0, s[4:5], 0x4c
	v_mov_b32_e32 v3, 0
	v_mov_b32_e32 v4, s2
	s_mov_b32 s7, 0
	v_and_b32_e32 v0, 0x3ff, v0
	s_waitcnt lgkmcnt(0)
	s_lshr_b32 s0, s0, 16
	v_mad_u64_u32 v[2:3], s[0:1], s0, v4, v[2:3]
	v_mul_lo_u32 v4, v3, s10
	v_mul_lo_u32 v5, v2, s11
	v_mad_u64_u32 v[2:3], s[0:1], v2, s10, 0
	s_lshl_b64 s[0:1], s[6:7], 6
	v_add3_u32 v3, v3, v5, v4
	s_add_u32 s0, s0, s16
	v_lshlrev_b64 v[2:3], 1, v[2:3]
	s_addc_u32 s1, s1, s17
	v_mov_b32_e32 v4, s1
	v_add_co_u32_e32 v2, vcc, s0, v2
	v_addc_co_u32_e32 v3, vcc, v4, v3, vcc
	v_lshlrev_b32_e32 v0, 1, v0
	v_add_co_u32_e32 v2, vcc, v2, v0
	v_addc_co_u32_e32 v3, vcc, 0, v3, vcc
	global_store_short v[2:3], v1, off
.LBB175_10:
	s_endpgm
	.section	.rodata,"a",@progbits
	.p2align	6, 0x0
	.amdhsa_kernel _ZN2at6native12_GLOBAL__N_135GammaBetaBackwardCUDAKernelTemplateIN3c104HalfEfLj32ELj1ELj32ELb1ELb1ELb1EEEvllPKT_S7_PKT0_SA_PS5_SB_
		.amdhsa_group_segment_fixed_size 0
		.amdhsa_private_segment_fixed_size 0
		.amdhsa_kernarg_size 320
		.amdhsa_user_sgpr_count 6
		.amdhsa_user_sgpr_private_segment_buffer 1
		.amdhsa_user_sgpr_dispatch_ptr 0
		.amdhsa_user_sgpr_queue_ptr 0
		.amdhsa_user_sgpr_kernarg_segment_ptr 1
		.amdhsa_user_sgpr_dispatch_id 0
		.amdhsa_user_sgpr_flat_scratch_init 0
		.amdhsa_user_sgpr_kernarg_preload_length 0
		.amdhsa_user_sgpr_kernarg_preload_offset 0
		.amdhsa_user_sgpr_private_segment_size 0
		.amdhsa_uses_dynamic_stack 0
		.amdhsa_system_sgpr_private_segment_wavefront_offset 0
		.amdhsa_system_sgpr_workgroup_id_x 1
		.amdhsa_system_sgpr_workgroup_id_y 1
		.amdhsa_system_sgpr_workgroup_id_z 0
		.amdhsa_system_sgpr_workgroup_info 0
		.amdhsa_system_vgpr_workitem_id 1
		.amdhsa_next_free_vgpr 64
		.amdhsa_next_free_sgpr 32
		.amdhsa_accum_offset 64
		.amdhsa_reserve_vcc 1
		.amdhsa_reserve_flat_scratch 0
		.amdhsa_float_round_mode_32 0
		.amdhsa_float_round_mode_16_64 0
		.amdhsa_float_denorm_mode_32 3
		.amdhsa_float_denorm_mode_16_64 3
		.amdhsa_dx10_clamp 1
		.amdhsa_ieee_mode 1
		.amdhsa_fp16_overflow 0
		.amdhsa_tg_split 0
		.amdhsa_exception_fp_ieee_invalid_op 0
		.amdhsa_exception_fp_denorm_src 0
		.amdhsa_exception_fp_ieee_div_zero 0
		.amdhsa_exception_fp_ieee_overflow 0
		.amdhsa_exception_fp_ieee_underflow 0
		.amdhsa_exception_fp_ieee_inexact 0
		.amdhsa_exception_int_div_zero 0
	.end_amdhsa_kernel
	.section	.text._ZN2at6native12_GLOBAL__N_135GammaBetaBackwardCUDAKernelTemplateIN3c104HalfEfLj32ELj1ELj32ELb1ELb1ELb1EEEvllPKT_S7_PKT0_SA_PS5_SB_,"axG",@progbits,_ZN2at6native12_GLOBAL__N_135GammaBetaBackwardCUDAKernelTemplateIN3c104HalfEfLj32ELj1ELj32ELb1ELb1ELb1EEEvllPKT_S7_PKT0_SA_PS5_SB_,comdat
.Lfunc_end175:
	.size	_ZN2at6native12_GLOBAL__N_135GammaBetaBackwardCUDAKernelTemplateIN3c104HalfEfLj32ELj1ELj32ELb1ELb1ELb1EEEvllPKT_S7_PKT0_SA_PS5_SB_, .Lfunc_end175-_ZN2at6native12_GLOBAL__N_135GammaBetaBackwardCUDAKernelTemplateIN3c104HalfEfLj32ELj1ELj32ELb1ELb1ELb1EEEvllPKT_S7_PKT0_SA_PS5_SB_
                                        ; -- End function
	.section	.AMDGPU.csdata,"",@progbits
; Kernel info:
; codeLenInByte = 2912
; NumSgprs: 36
; NumVgprs: 64
; NumAgprs: 0
; TotalNumVgprs: 64
; ScratchSize: 0
; MemoryBound: 0
; FloatMode: 240
; IeeeMode: 1
; LDSByteSize: 0 bytes/workgroup (compile time only)
; SGPRBlocks: 4
; VGPRBlocks: 7
; NumSGPRsForWavesPerEU: 36
; NumVGPRsForWavesPerEU: 64
; AccumOffset: 64
; Occupancy: 8
; WaveLimiterHint : 0
; COMPUTE_PGM_RSRC2:SCRATCH_EN: 0
; COMPUTE_PGM_RSRC2:USER_SGPR: 6
; COMPUTE_PGM_RSRC2:TRAP_HANDLER: 0
; COMPUTE_PGM_RSRC2:TGID_X_EN: 1
; COMPUTE_PGM_RSRC2:TGID_Y_EN: 1
; COMPUTE_PGM_RSRC2:TGID_Z_EN: 0
; COMPUTE_PGM_RSRC2:TIDIG_COMP_CNT: 1
; COMPUTE_PGM_RSRC3_GFX90A:ACCUM_OFFSET: 15
; COMPUTE_PGM_RSRC3_GFX90A:TG_SPLIT: 0
	.section	.text._ZN2at6native12_GLOBAL__N_135GammaBetaBackwardCUDAKernelTemplateIN3c104HalfEfLj32ELj1ELj32ELb1ELb0ELb1EEEvllPKT_S7_PKT0_SA_PS5_SB_,"axG",@progbits,_ZN2at6native12_GLOBAL__N_135GammaBetaBackwardCUDAKernelTemplateIN3c104HalfEfLj32ELj1ELj32ELb1ELb0ELb1EEEvllPKT_S7_PKT0_SA_PS5_SB_,comdat
	.globl	_ZN2at6native12_GLOBAL__N_135GammaBetaBackwardCUDAKernelTemplateIN3c104HalfEfLj32ELj1ELj32ELb1ELb0ELb1EEEvllPKT_S7_PKT0_SA_PS5_SB_ ; -- Begin function _ZN2at6native12_GLOBAL__N_135GammaBetaBackwardCUDAKernelTemplateIN3c104HalfEfLj32ELj1ELj32ELb1ELb0ELb1EEEvllPKT_S7_PKT0_SA_PS5_SB_
	.p2align	8
	.type	_ZN2at6native12_GLOBAL__N_135GammaBetaBackwardCUDAKernelTemplateIN3c104HalfEfLj32ELj1ELj32ELb1ELb0ELb1EEEvllPKT_S7_PKT0_SA_PS5_SB_,@function
_ZN2at6native12_GLOBAL__N_135GammaBetaBackwardCUDAKernelTemplateIN3c104HalfEfLj32ELj1ELj32ELb1ELb0ELb1EEEvllPKT_S7_PKT0_SA_PS5_SB_: ; @_ZN2at6native12_GLOBAL__N_135GammaBetaBackwardCUDAKernelTemplateIN3c104HalfEfLj32ELj1ELj32ELb1ELb0ELb1EEEvllPKT_S7_PKT0_SA_PS5_SB_
; %bb.0:
	s_load_dwordx8 s[12:19], s[4:5], 0x0
	s_load_dwordx2 s[20:21], s[4:5], 0x28
	s_lshl_b32 s9, s6, 5
	v_mov_b32_e32 v253, v0
	s_or_b32 s22, s9, 31
	s_mov_b32 s23, 0
	s_waitcnt lgkmcnt(0)
	v_pk_mov_b32 v[0:1], s[14:15], s[14:15] op_sel:[0,1]
	v_cmp_ge_i64_e32 vcc, s[22:23], v[0:1]
	s_lshl_b32 s22, s7, 5
	v_pk_mov_b32 v[0:1], s[12:13], s[12:13] op_sel:[0,1]
	v_cmp_lt_i64_e64 s[0:1], s[22:23], v[0:1]
	v_cndmask_b32_e64 v0, 0, 1, s[0:1]
	s_mov_b32 s8, s7
	v_cmp_ne_u32_e64 s[0:1], 1, v0
	s_cbranch_vccz .LBB176_145
; %bb.1:
	s_and_b64 vcc, exec, s[0:1]
	v_mov_b32_e32 v138, 0
	s_cbranch_vccnz .LBB176_146
; %bb.2:
	v_bfe_u32 v0, v253, 10, 10
	v_lshlrev_b32_e32 v2, 5, v0
	v_mov_b32_e32 v1, s23
	v_add_co_u32_e32 v121, vcc, s22, v2
	v_addc_co_u32_e32 v123, vcc, 0, v1, vcc
	v_add_co_u32_e32 v1, vcc, 31, v121
	v_addc_co_u32_e32 v3, vcc, 0, v123, vcc
	v_mul_lo_u32 v6, s15, v1
	v_mul_lo_u32 v3, s14, v3
	v_mad_u64_u32 v[4:5], s[2:3], s14, v1, 0
	v_add3_u32 v5, v5, v3, v6
	v_lshlrev_b64 v[6:7], 1, v[4:5]
	v_mov_b32_e32 v125, s17
	v_add_co_u32_e32 v4, vcc, s16, v6
	v_addc_co_u32_e32 v1, vcc, v125, v7, vcc
	v_mov_b32_e32 v127, s19
	v_add_co_u32_e32 v6, vcc, s18, v6
	v_addc_co_u32_e32 v3, vcc, v127, v7, vcc
	v_add_co_u32_e32 v5, vcc, 30, v121
	v_addc_co_u32_e32 v7, vcc, 0, v123, vcc
	v_mul_lo_u32 v10, s15, v5
	v_mul_lo_u32 v7, s14, v7
	v_mad_u64_u32 v[8:9], s[2:3], s14, v5, 0
	v_add3_u32 v9, v9, v7, v10
	v_lshlrev_b64 v[10:11], 1, v[8:9]
	v_add_co_u32_e32 v8, vcc, s16, v10
	v_addc_co_u32_e32 v5, vcc, v125, v11, vcc
	v_add_co_u32_e32 v10, vcc, s18, v10
	v_addc_co_u32_e32 v7, vcc, v127, v11, vcc
	v_add_co_u32_e32 v9, vcc, 29, v121
	v_addc_co_u32_e32 v11, vcc, 0, v123, vcc
	v_mul_lo_u32 v14, s15, v9
	v_mul_lo_u32 v11, s14, v11
	v_mad_u64_u32 v[12:13], s[2:3], s14, v9, 0
	v_add3_u32 v13, v13, v11, v14
	v_lshlrev_b64 v[14:15], 1, v[12:13]
	v_add_co_u32_e32 v12, vcc, s16, v14
	v_addc_co_u32_e32 v9, vcc, v125, v15, vcc
	;; [unrolled: 11-line block ×29, first 2 shown]
	v_add_co_u32_e32 v122, vcc, s18, v128
	v_addc_co_u32_e32 v119, vcc, v127, v129, vcc
	v_pk_mov_b32 v[128:129], s[14:15], s[14:15] op_sel:[0,1]
	v_mad_u64_u32 v[128:129], s[2:3], s14, v121, v[128:129]
	v_mul_lo_u32 v123, s14, v123
	v_mul_lo_u32 v124, s15, v121
	v_add3_u32 v129, v124, v129, v123
	v_lshlrev_b64 v[128:129], 1, v[128:129]
	v_mad_u64_u32 v[130:131], s[2:3], s14, v121, 0
	v_add3_u32 v131, v131, v123, v124
	v_add_co_u32_e32 v124, vcc, s16, v128
	v_addc_co_u32_e32 v121, vcc, v125, v129, vcc
	s_load_dword s10, s[4:5], 0x44
	v_add_co_u32_e32 v126, vcc, s18, v128
	v_addc_co_u32_e32 v123, vcc, v127, v129, vcc
	v_lshlrev_b64 v[130:131], 1, v[130:131]
	v_add_co_u32_e32 v128, vcc, s16, v130
	v_addc_co_u32_e32 v125, vcc, v125, v131, vcc
	s_add_u32 s24, s4, 64
	v_add_co_u32_e32 v130, vcc, s18, v130
	s_addc_u32 s25, s5, 0
	s_waitcnt lgkmcnt(0)
	s_lshl_b32 s33, s10, 5
	v_mbcnt_lo_u32_b32 v129, -1, 0
	v_addc_co_u32_e32 v127, vcc, v127, v131, vcc
	v_and_b32_e32 v131, 0x3ff, v253
	s_mul_i32 s10, s15, s33
	s_mul_hi_u32 s11, s14, s33
	v_mbcnt_hi_u32_b32 v129, -1, v129
	v_add_u32_e32 v132, s9, v131
	v_mov_b32_e32 v133, 0
	s_add_i32 s11, s11, s10
	s_mul_i32 s10, s14, s33
	v_lshlrev_b32_e32 v129, 2, v129
	s_mov_b32 s7, 0
	v_cmp_gt_i64_e64 s[2:3], s[14:15], v[132:133]
	s_mov_b64 s[26:27], 31
	s_lshl_b64 s[28:29], s[10:11], 1
	v_and_b32_e32 v162, 0x100, v129
	s_mov_b64 s[30:31], s[22:23]
	v_mov_b32_e32 v163, 0
	v_mov_b32_e32 v129, v133
	v_lshlrev_b64 v[134:135], 1, v[132:133]
.LBB176_3:                              ; =>This Inner Loop Header: Depth=1
	s_add_u32 s10, s22, s26
	s_addc_u32 s11, 0, s27
	v_pk_mov_b32 v[136:137], s[12:13], s[12:13] op_sel:[0,1]
	v_cmp_ge_i64_e32 vcc, s[10:11], v[136:137]
	v_mov_b32_e32 v132, s23
	v_add_co_u32_e64 v136, s[10:11], s22, v2
	v_addc_co_u32_e64 v137, s[10:11], v132, v129, s[10:11]
	s_cbranch_vccz .LBB176_73
; %bb.4:                                ;   in Loop: Header=BB176_3 Depth=1
	s_load_dword s10, s[24:25], 0xc
	v_mov_b32_e32 v164, 0
	s_waitcnt lgkmcnt(0)
	s_and_b32 s10, s10, 0xffff
	v_mad_u32_u24 v132, v0, s10, v131
	v_and_b32_e32 v138, 63, v132
	v_cmp_gt_u32_e32 vcc, 32, v138
	v_mov_b32_e32 v132, 0
	s_and_saveexec_b64 s[10:11], vcc
	s_cbranch_execz .LBB176_8
; %bb.5:                                ;   in Loop: Header=BB176_3 Depth=1
	v_add_co_u32_e32 v138, vcc, v136, v138
	v_addc_co_u32_e32 v139, vcc, 0, v137, vcc
	v_cmp_gt_i64_e32 vcc, s[12:13], v[138:139]
	v_mov_b32_e32 v132, 0
	s_and_saveexec_b64 s[34:35], vcc
	s_cbranch_execz .LBB176_7
; %bb.6:                                ;   in Loop: Header=BB176_3 Depth=1
	v_lshlrev_b64 v[138:139], 2, v[138:139]
	v_mov_b32_e32 v132, s21
	v_add_co_u32_e32 v138, vcc, s20, v138
	v_addc_co_u32_e32 v139, vcc, v132, v139, vcc
	global_load_dword v132, v[138:139], off
.LBB176_7:                              ;   in Loop: Header=BB176_3 Depth=1
	s_or_b64 exec, exec, s[34:35]
.LBB176_8:                              ;   in Loop: Header=BB176_3 Depth=1
	s_or_b64 exec, exec, s[10:11]
	v_cmp_gt_i64_e32 vcc, s[12:13], v[136:137]
	s_and_b64 s[34:35], s[2:3], vcc
	v_mov_b32_e32 v165, 0
	s_and_saveexec_b64 s[10:11], s[34:35]
	s_cbranch_execz .LBB176_10
; %bb.9:                                ;   in Loop: Header=BB176_3 Depth=1
	v_add_co_u32_e32 v138, vcc, v128, v134
	v_addc_co_u32_e32 v139, vcc, v125, v135, vcc
	global_load_ushort v140, v[138:139], off
	v_add_co_u32_e32 v138, vcc, v130, v134
	v_addc_co_u32_e32 v139, vcc, v127, v135, vcc
	global_load_ushort v138, v[138:139], off
	s_waitcnt vmcnt(1)
	v_cvt_f32_f16_e32 v164, v140
	s_waitcnt vmcnt(0)
	v_cvt_f32_f16_e32 v165, v138
.LBB176_10:                             ;   in Loop: Header=BB176_3 Depth=1
	s_or_b64 exec, exec, s[10:11]
	v_add_co_u32_e32 v138, vcc, 1, v136
	v_addc_co_u32_e32 v139, vcc, 0, v137, vcc
	v_cmp_gt_i64_e32 vcc, s[12:13], v[138:139]
	s_and_b64 s[34:35], s[2:3], vcc
	v_mov_b32_e32 v166, 0
	v_mov_b32_e32 v167, 0
	v_mov_b32_e32 v168, 0
	s_and_saveexec_b64 s[10:11], s[34:35]
	s_cbranch_execz .LBB176_12
; %bb.11:                               ;   in Loop: Header=BB176_3 Depth=1
	v_add_co_u32_e32 v138, vcc, v124, v134
	v_addc_co_u32_e32 v139, vcc, v121, v135, vcc
	global_load_ushort v140, v[138:139], off
	v_add_co_u32_e32 v138, vcc, v126, v134
	v_addc_co_u32_e32 v139, vcc, v123, v135, vcc
	global_load_ushort v138, v[138:139], off
	s_waitcnt vmcnt(1)
	v_cvt_f32_f16_e32 v167, v140
	s_waitcnt vmcnt(0)
	v_cvt_f32_f16_e32 v168, v138
.LBB176_12:                             ;   in Loop: Header=BB176_3 Depth=1
	s_or_b64 exec, exec, s[10:11]
	v_add_co_u32_e32 v138, vcc, 2, v136
	v_addc_co_u32_e32 v139, vcc, 0, v137, vcc
	v_cmp_gt_i64_e32 vcc, s[12:13], v[138:139]
	s_and_b64 s[34:35], s[2:3], vcc
	v_mov_b32_e32 v169, 0
	s_and_saveexec_b64 s[10:11], s[34:35]
	s_cbranch_execz .LBB176_14
; %bb.13:                               ;   in Loop: Header=BB176_3 Depth=1
	v_add_co_u32_e32 v138, vcc, v120, v134
	v_addc_co_u32_e32 v139, vcc, v117, v135, vcc
	global_load_ushort v140, v[138:139], off
	v_add_co_u32_e32 v138, vcc, v122, v134
	v_addc_co_u32_e32 v139, vcc, v119, v135, vcc
	global_load_ushort v138, v[138:139], off
	s_waitcnt vmcnt(1)
	v_cvt_f32_f16_e32 v166, v140
	s_waitcnt vmcnt(0)
	v_cvt_f32_f16_e32 v169, v138
.LBB176_14:                             ;   in Loop: Header=BB176_3 Depth=1
	s_or_b64 exec, exec, s[10:11]
	v_add_co_u32_e32 v138, vcc, 3, v136
	v_addc_co_u32_e32 v139, vcc, 0, v137, vcc
	v_cmp_gt_i64_e32 vcc, s[12:13], v[138:139]
	s_and_b64 s[34:35], s[2:3], vcc
	v_mov_b32_e32 v170, 0
	v_mov_b32_e32 v171, 0
	v_mov_b32_e32 v172, 0
	s_and_saveexec_b64 s[10:11], s[34:35]
	s_cbranch_execz .LBB176_16
; %bb.15:                               ;   in Loop: Header=BB176_3 Depth=1
	v_add_co_u32_e32 v138, vcc, v116, v134
	v_addc_co_u32_e32 v139, vcc, v113, v135, vcc
	global_load_ushort v140, v[138:139], off
	v_add_co_u32_e32 v138, vcc, v118, v134
	v_addc_co_u32_e32 v139, vcc, v115, v135, vcc
	global_load_ushort v138, v[138:139], off
	s_waitcnt vmcnt(1)
	v_cvt_f32_f16_e32 v171, v140
	s_waitcnt vmcnt(0)
	v_cvt_f32_f16_e32 v172, v138
.LBB176_16:                             ;   in Loop: Header=BB176_3 Depth=1
	s_or_b64 exec, exec, s[10:11]
	v_add_co_u32_e32 v138, vcc, 4, v136
	v_addc_co_u32_e32 v139, vcc, 0, v137, vcc
	v_cmp_gt_i64_e32 vcc, s[12:13], v[138:139]
	s_and_b64 s[34:35], s[2:3], vcc
	v_mov_b32_e32 v173, 0
	s_and_saveexec_b64 s[10:11], s[34:35]
	s_cbranch_execz .LBB176_18
; %bb.17:                               ;   in Loop: Header=BB176_3 Depth=1
	v_add_co_u32_e32 v138, vcc, v112, v134
	v_addc_co_u32_e32 v139, vcc, v109, v135, vcc
	global_load_ushort v140, v[138:139], off
	v_add_co_u32_e32 v138, vcc, v114, v134
	v_addc_co_u32_e32 v139, vcc, v111, v135, vcc
	global_load_ushort v138, v[138:139], off
	s_waitcnt vmcnt(1)
	v_cvt_f32_f16_e32 v170, v140
	s_waitcnt vmcnt(0)
	v_cvt_f32_f16_e32 v173, v138
.LBB176_18:                             ;   in Loop: Header=BB176_3 Depth=1
	;; [unrolled: 42-line block ×15, first 2 shown]
	s_or_b64 exec, exec, s[10:11]
	v_add_co_u32_e32 v202, vcc, 31, v136
	v_addc_co_u32_e32 v203, vcc, 0, v137, vcc
	v_cmp_gt_i64_e32 vcc, s[12:13], v[202:203]
	s_and_b64 s[34:35], s[2:3], vcc
	v_mov_b32_e32 v202, 0
	s_and_saveexec_b64 s[10:11], s[34:35]
	s_cbranch_execz .LBB176_72
; %bb.71:                               ;   in Loop: Header=BB176_3 Depth=1
	v_add_co_u32_e32 v202, vcc, v4, v134
	v_addc_co_u32_e32 v203, vcc, v1, v135, vcc
	global_load_ushort v204, v[202:203], off
	v_add_co_u32_e32 v202, vcc, v6, v134
	v_addc_co_u32_e32 v203, vcc, v3, v135, vcc
	global_load_ushort v202, v[202:203], off
	s_waitcnt vmcnt(1)
	v_cvt_f32_f16_e32 v203, v204
	s_waitcnt vmcnt(0)
	v_cvt_f32_f16_e32 v202, v202
	v_mul_f32_e32 v202, v203, v202
.LBB176_72:                             ;   in Loop: Header=BB176_3 Depth=1
	s_or_b64 exec, exec, s[10:11]
	s_waitcnt vmcnt(0)
	ds_bpermute_b32 v203, v162, v132
	ds_bpermute_b32 v204, v162, v132 offset:4
	v_mul_f32_e32 v164, v164, v165
	v_mul_f32_e32 v165, v167, v168
	ds_bpermute_b32 v167, v162, v132 offset:8
	s_waitcnt lgkmcnt(2)
	v_fma_f32 v168, v164, v203, v163
	ds_bpermute_b32 v164, v162, v132 offset:12
	s_waitcnt lgkmcnt(2)
	v_fmac_f32_e32 v168, v165, v204
	v_mul_f32_e32 v165, v166, v169
	s_waitcnt lgkmcnt(1)
	v_fmac_f32_e32 v168, v165, v167
	ds_bpermute_b32 v165, v162, v132 offset:16
	v_mul_f32_e32 v166, v171, v172
	s_waitcnt lgkmcnt(1)
	v_fmac_f32_e32 v168, v166, v164
	ds_bpermute_b32 v164, v162, v132 offset:20
	;; [unrolled: 4-line block ×10, first 2 shown]
	v_mul_f32_e32 v166, v186, v189
	s_waitcnt lgkmcnt(1)
	v_fmac_f32_e32 v168, v166, v165
	v_mul_f32_e32 v165, v191, v192
	ds_bpermute_b32 v166, v162, v132 offset:56
	s_waitcnt lgkmcnt(1)
	v_fmac_f32_e32 v168, v165, v164
	ds_bpermute_b32 v164, v162, v132 offset:60
	ds_bpermute_b32 v167, v162, v132 offset:64
	v_mul_f32_e32 v165, v190, v193
	s_waitcnt lgkmcnt(2)
	v_fmac_f32_e32 v168, v165, v166
	v_mul_f32_e32 v165, v195, v196
	s_waitcnt lgkmcnt(1)
	v_fmac_f32_e32 v168, v165, v164
	v_mul_f32_e32 v164, v194, v197
	ds_bpermute_b32 v166, v162, v132 offset:68
	s_waitcnt lgkmcnt(1)
	v_fmac_f32_e32 v168, v164, v167
	ds_bpermute_b32 v169, v162, v132 offset:72
	ds_bpermute_b32 v164, v162, v132 offset:76
	;; [unrolled: 1-line block ×3, first 2 shown]
	v_mul_f32_e32 v167, v199, v200
	s_waitcnt lgkmcnt(3)
	v_fmac_f32_e32 v168, v167, v166
	v_mul_f32_e32 v166, v198, v201
	v_pk_mul_f32 v[138:139], v[138:139], v[140:141]
	ds_bpermute_b32 v140, v162, v132 offset:84
	ds_bpermute_b32 v141, v162, v132 offset:88
	s_waitcnt lgkmcnt(4)
	v_fmac_f32_e32 v168, v166, v169
	s_waitcnt lgkmcnt(2)
	v_pk_mul_f32 v[138:139], v[138:139], v[164:165]
	v_add_f32_e32 v138, v168, v138
	v_add_f32_e32 v164, v138, v139
	v_pk_mul_f32 v[138:139], v[142:143], v[144:145]
	ds_bpermute_b32 v142, v162, v132 offset:92
	ds_bpermute_b32 v143, v162, v132 offset:96
	s_waitcnt lgkmcnt(2)
	v_pk_mul_f32 v[138:139], v[138:139], v[140:141]
	v_add_f32_e32 v138, v164, v138
	v_add_f32_e32 v140, v138, v139
	v_pk_mul_f32 v[138:139], v[146:147], v[148:149]
	s_waitcnt lgkmcnt(0)
	v_pk_mul_f32 v[138:139], v[138:139], v[142:143]
	v_add_f32_e32 v138, v140, v138
	ds_bpermute_b32 v140, v162, v132 offset:100
	ds_bpermute_b32 v141, v162, v132 offset:104
	;; [unrolled: 1-line block ×4, first 2 shown]
	v_add_f32_e32 v144, v138, v139
	v_pk_mul_f32 v[138:139], v[150:151], v[152:153]
	s_waitcnt lgkmcnt(2)
	v_pk_mul_f32 v[138:139], v[138:139], v[140:141]
	v_add_f32_e32 v138, v144, v138
	ds_bpermute_b32 v140, v162, v132 offset:116
	ds_bpermute_b32 v141, v162, v132 offset:120
	v_add_f32_e32 v144, v138, v139
	v_pk_mul_f32 v[138:139], v[154:155], v[156:157]
	s_waitcnt lgkmcnt(2)
	v_pk_mul_f32 v[138:139], v[138:139], v[142:143]
	v_add_f32_e32 v138, v144, v138
	ds_bpermute_b32 v132, v162, v132 offset:124
	v_add_f32_e32 v142, v138, v139
	v_pk_mul_f32 v[138:139], v[158:159], v[160:161]
	s_waitcnt lgkmcnt(1)
	v_pk_mul_f32 v[138:139], v[138:139], v[140:141]
	v_add_f32_e32 v138, v142, v138
	v_add_f32_e32 v138, v138, v139
	s_branch .LBB176_141
.LBB176_73:                             ;   in Loop: Header=BB176_3 Depth=1
                                        ; implicit-def: $vgpr138
                                        ; implicit-def: $vgpr202
                                        ; implicit-def: $vgpr132
	s_cbranch_execz .LBB176_141
; %bb.74:                               ;   in Loop: Header=BB176_3 Depth=1
	s_load_dword s10, s[24:25], 0x0
	v_mov_b32_e32 v160, 0
	s_waitcnt lgkmcnt(0)
	s_cmp_lt_u32 s6, s10
	s_cselect_b32 s10, 12, 18
	s_add_u32 s10, s24, s10
	s_addc_u32 s11, s25, 0
	global_load_ushort v132, v133, s[10:11]
	s_waitcnt vmcnt(0)
	v_mad_u32_u24 v132, v0, v132, v131
	v_and_b32_e32 v138, 63, v132
	v_cmp_gt_u32_e32 vcc, 32, v138
	v_mov_b32_e32 v132, 0
	s_and_saveexec_b64 s[10:11], vcc
	s_cbranch_execz .LBB176_78
; %bb.75:                               ;   in Loop: Header=BB176_3 Depth=1
	v_add_co_u32_e32 v136, vcc, v136, v138
	v_addc_co_u32_e32 v137, vcc, 0, v137, vcc
	v_cmp_gt_i64_e32 vcc, s[12:13], v[136:137]
	v_mov_b32_e32 v132, 0
	s_and_saveexec_b64 s[34:35], vcc
	s_cbranch_execz .LBB176_77
; %bb.76:                               ;   in Loop: Header=BB176_3 Depth=1
	v_lshlrev_b64 v[136:137], 2, v[136:137]
	v_mov_b32_e32 v132, s21
	v_add_co_u32_e32 v136, vcc, s20, v136
	v_addc_co_u32_e32 v137, vcc, v132, v137, vcc
	global_load_dword v132, v[136:137], off
.LBB176_77:                             ;   in Loop: Header=BB176_3 Depth=1
	s_or_b64 exec, exec, s[34:35]
.LBB176_78:                             ;   in Loop: Header=BB176_3 Depth=1
	s_or_b64 exec, exec, s[10:11]
	v_mov_b32_e32 v161, 0
	s_and_saveexec_b64 s[10:11], s[2:3]
	s_cbranch_execz .LBB176_80
; %bb.79:                               ;   in Loop: Header=BB176_3 Depth=1
	v_add_co_u32_e32 v136, vcc, v128, v134
	v_addc_co_u32_e32 v137, vcc, v125, v135, vcc
	global_load_ushort v138, v[136:137], off
	v_add_co_u32_e32 v136, vcc, v130, v134
	v_addc_co_u32_e32 v137, vcc, v127, v135, vcc
	global_load_ushort v136, v[136:137], off
	s_waitcnt vmcnt(1)
	v_cvt_f32_f16_e32 v160, v138
	s_waitcnt vmcnt(0)
	v_cvt_f32_f16_e32 v161, v136
.LBB176_80:                             ;   in Loop: Header=BB176_3 Depth=1
	s_or_b64 exec, exec, s[10:11]
	v_mov_b32_e32 v164, 0
	v_mov_b32_e32 v165, 0
	v_mov_b32_e32 v166, 0
	s_and_saveexec_b64 s[10:11], s[2:3]
	s_cbranch_execz .LBB176_82
; %bb.81:                               ;   in Loop: Header=BB176_3 Depth=1
	v_add_co_u32_e32 v136, vcc, v124, v134
	v_addc_co_u32_e32 v137, vcc, v121, v135, vcc
	global_load_ushort v138, v[136:137], off
	v_add_co_u32_e32 v136, vcc, v126, v134
	v_addc_co_u32_e32 v137, vcc, v123, v135, vcc
	global_load_ushort v136, v[136:137], off
	s_waitcnt vmcnt(1)
	v_cvt_f32_f16_e32 v165, v138
	s_waitcnt vmcnt(0)
	v_cvt_f32_f16_e32 v166, v136
.LBB176_82:                             ;   in Loop: Header=BB176_3 Depth=1
	s_or_b64 exec, exec, s[10:11]
	v_mov_b32_e32 v167, 0
	s_and_saveexec_b64 s[10:11], s[2:3]
	s_cbranch_execz .LBB176_84
; %bb.83:                               ;   in Loop: Header=BB176_3 Depth=1
	v_add_co_u32_e32 v136, vcc, v120, v134
	v_addc_co_u32_e32 v137, vcc, v117, v135, vcc
	global_load_ushort v138, v[136:137], off
	v_add_co_u32_e32 v136, vcc, v122, v134
	v_addc_co_u32_e32 v137, vcc, v119, v135, vcc
	global_load_ushort v136, v[136:137], off
	s_waitcnt vmcnt(1)
	v_cvt_f32_f16_e32 v164, v138
	s_waitcnt vmcnt(0)
	v_cvt_f32_f16_e32 v167, v136
.LBB176_84:                             ;   in Loop: Header=BB176_3 Depth=1
	s_or_b64 exec, exec, s[10:11]
	v_mov_b32_e32 v168, 0
	v_mov_b32_e32 v169, 0
	v_mov_b32_e32 v170, 0
	s_and_saveexec_b64 s[10:11], s[2:3]
	s_cbranch_execz .LBB176_86
; %bb.85:                               ;   in Loop: Header=BB176_3 Depth=1
	v_add_co_u32_e32 v136, vcc, v116, v134
	v_addc_co_u32_e32 v137, vcc, v113, v135, vcc
	global_load_ushort v138, v[136:137], off
	v_add_co_u32_e32 v136, vcc, v118, v134
	v_addc_co_u32_e32 v137, vcc, v115, v135, vcc
	global_load_ushort v136, v[136:137], off
	s_waitcnt vmcnt(1)
	v_cvt_f32_f16_e32 v169, v138
	s_waitcnt vmcnt(0)
	v_cvt_f32_f16_e32 v170, v136
.LBB176_86:                             ;   in Loop: Header=BB176_3 Depth=1
	;; [unrolled: 34-line block ×5, first 2 shown]
	s_or_b64 exec, exec, s[10:11]
	v_mov_b32_e32 v183, 0
	s_and_saveexec_b64 s[10:11], s[2:3]
	s_cbranch_execz .LBB176_100
; %bb.99:                               ;   in Loop: Header=BB176_3 Depth=1
	v_add_co_u32_e32 v136, vcc, v88, v134
	v_addc_co_u32_e32 v137, vcc, v85, v135, vcc
	global_load_ushort v138, v[136:137], off
	v_add_co_u32_e32 v136, vcc, v90, v134
	v_addc_co_u32_e32 v137, vcc, v87, v135, vcc
	global_load_ushort v136, v[136:137], off
	s_waitcnt vmcnt(1)
	v_cvt_f32_f16_e32 v180, v138
	s_waitcnt vmcnt(0)
	v_cvt_f32_f16_e32 v183, v136
.LBB176_100:                            ;   in Loop: Header=BB176_3 Depth=1
	s_or_b64 exec, exec, s[10:11]
	v_mov_b32_e32 v184, 0
	v_mov_b32_e32 v185, 0
	v_mov_b32_e32 v186, 0
	s_and_saveexec_b64 s[10:11], s[2:3]
	s_cbranch_execz .LBB176_102
; %bb.101:                              ;   in Loop: Header=BB176_3 Depth=1
	v_add_co_u32_e32 v136, vcc, v84, v134
	v_addc_co_u32_e32 v137, vcc, v81, v135, vcc
	global_load_ushort v138, v[136:137], off
	v_add_co_u32_e32 v136, vcc, v86, v134
	v_addc_co_u32_e32 v137, vcc, v83, v135, vcc
	global_load_ushort v136, v[136:137], off
	s_waitcnt vmcnt(1)
	v_cvt_f32_f16_e32 v185, v138
	s_waitcnt vmcnt(0)
	v_cvt_f32_f16_e32 v186, v136
.LBB176_102:                            ;   in Loop: Header=BB176_3 Depth=1
	s_or_b64 exec, exec, s[10:11]
	v_mov_b32_e32 v187, 0
	s_and_saveexec_b64 s[10:11], s[2:3]
	s_cbranch_execz .LBB176_104
; %bb.103:                              ;   in Loop: Header=BB176_3 Depth=1
	v_add_co_u32_e32 v136, vcc, v80, v134
	v_addc_co_u32_e32 v137, vcc, v77, v135, vcc
	global_load_ushort v138, v[136:137], off
	v_add_co_u32_e32 v136, vcc, v82, v134
	v_addc_co_u32_e32 v137, vcc, v79, v135, vcc
	global_load_ushort v136, v[136:137], off
	s_waitcnt vmcnt(1)
	v_cvt_f32_f16_e32 v184, v138
	s_waitcnt vmcnt(0)
	v_cvt_f32_f16_e32 v187, v136
.LBB176_104:                            ;   in Loop: Header=BB176_3 Depth=1
	s_or_b64 exec, exec, s[10:11]
	v_mov_b32_e32 v188, 0
	v_mov_b32_e32 v189, 0
	v_mov_b32_e32 v190, 0
	s_and_saveexec_b64 s[10:11], s[2:3]
	s_cbranch_execz .LBB176_106
; %bb.105:                              ;   in Loop: Header=BB176_3 Depth=1
	v_add_co_u32_e32 v136, vcc, v76, v134
	v_addc_co_u32_e32 v137, vcc, v73, v135, vcc
	global_load_ushort v138, v[136:137], off
	v_add_co_u32_e32 v136, vcc, v78, v134
	v_addc_co_u32_e32 v137, vcc, v75, v135, vcc
	global_load_ushort v136, v[136:137], off
	s_waitcnt vmcnt(1)
	v_cvt_f32_f16_e32 v189, v138
	s_waitcnt vmcnt(0)
	v_cvt_f32_f16_e32 v190, v136
.LBB176_106:                            ;   in Loop: Header=BB176_3 Depth=1
	s_or_b64 exec, exec, s[10:11]
	v_mov_b32_e32 v191, 0
	s_and_saveexec_b64 s[10:11], s[2:3]
	s_cbranch_execz .LBB176_108
; %bb.107:                              ;   in Loop: Header=BB176_3 Depth=1
	v_add_co_u32_e32 v136, vcc, v72, v134
	v_addc_co_u32_e32 v137, vcc, v69, v135, vcc
	global_load_ushort v138, v[136:137], off
	v_add_co_u32_e32 v136, vcc, v74, v134
	v_addc_co_u32_e32 v137, vcc, v71, v135, vcc
	global_load_ushort v136, v[136:137], off
	s_waitcnt vmcnt(1)
	v_cvt_f32_f16_e32 v188, v138
	s_waitcnt vmcnt(0)
	v_cvt_f32_f16_e32 v191, v136
.LBB176_108:                            ;   in Loop: Header=BB176_3 Depth=1
	;; [unrolled: 34-line block ×9, first 2 shown]
	s_or_b64 exec, exec, s[10:11]
	v_mov_b32_e32 v157, 0
	v_mov_b32_e32 v156, 0
	;; [unrolled: 1-line block ×3, first 2 shown]
	s_and_saveexec_b64 s[10:11], s[2:3]
	s_cbranch_execnz .LBB176_143
; %bb.137:                              ;   in Loop: Header=BB176_3 Depth=1
	s_or_b64 exec, exec, s[10:11]
	v_mov_b32_e32 v159, 0
	s_and_saveexec_b64 s[10:11], s[2:3]
	s_cbranch_execnz .LBB176_144
.LBB176_138:                            ;   in Loop: Header=BB176_3 Depth=1
	s_or_b64 exec, exec, s[10:11]
	v_mov_b32_e32 v202, 0
	s_and_saveexec_b64 s[10:11], s[2:3]
	s_cbranch_execz .LBB176_140
.LBB176_139:                            ;   in Loop: Header=BB176_3 Depth=1
	v_add_co_u32_e32 v200, vcc, v4, v134
	v_addc_co_u32_e32 v201, vcc, v1, v135, vcc
	global_load_ushort v202, v[200:201], off
	v_add_co_u32_e32 v200, vcc, v6, v134
	v_addc_co_u32_e32 v201, vcc, v3, v135, vcc
	global_load_ushort v200, v[200:201], off
	s_waitcnt vmcnt(1)
	v_cvt_f32_f16_e32 v201, v202
	s_waitcnt vmcnt(0)
	v_cvt_f32_f16_e32 v200, v200
	v_mul_f32_e32 v202, v201, v200
.LBB176_140:                            ;   in Loop: Header=BB176_3 Depth=1
	s_or_b64 exec, exec, s[10:11]
	s_waitcnt vmcnt(0)
	ds_bpermute_b32 v200, v162, v132
	ds_bpermute_b32 v201, v162, v132 offset:4
	v_mul_f32_e32 v160, v160, v161
	v_mul_f32_e32 v161, v165, v166
	ds_bpermute_b32 v165, v162, v132 offset:8
	s_waitcnt lgkmcnt(2)
	v_fmac_f32_e32 v163, v160, v200
	ds_bpermute_b32 v160, v162, v132 offset:12
	s_waitcnt lgkmcnt(2)
	v_fmac_f32_e32 v163, v161, v201
	v_mul_f32_e32 v161, v164, v167
	s_waitcnt lgkmcnt(1)
	v_fmac_f32_e32 v163, v161, v165
	ds_bpermute_b32 v161, v162, v132 offset:16
	v_mul_f32_e32 v164, v169, v170
	s_waitcnt lgkmcnt(1)
	v_fmac_f32_e32 v163, v164, v160
	ds_bpermute_b32 v160, v162, v132 offset:20
	;; [unrolled: 4-line block ×10, first 2 shown]
	v_mul_f32_e32 v164, v184, v187
	s_waitcnt lgkmcnt(1)
	v_fmac_f32_e32 v163, v164, v161
	v_mul_f32_e32 v161, v189, v190
	ds_bpermute_b32 v164, v162, v132 offset:56
	s_waitcnt lgkmcnt(1)
	v_fmac_f32_e32 v163, v161, v160
	ds_bpermute_b32 v160, v162, v132 offset:60
	ds_bpermute_b32 v165, v162, v132 offset:64
	v_mul_f32_e32 v161, v188, v191
	s_waitcnt lgkmcnt(2)
	v_fmac_f32_e32 v163, v161, v164
	v_mul_f32_e32 v161, v193, v194
	s_waitcnt lgkmcnt(1)
	v_fmac_f32_e32 v163, v161, v160
	v_mul_f32_e32 v160, v192, v195
	ds_bpermute_b32 v164, v162, v132 offset:68
	s_waitcnt lgkmcnt(1)
	v_fmac_f32_e32 v163, v160, v165
	ds_bpermute_b32 v166, v162, v132 offset:72
	ds_bpermute_b32 v160, v162, v132 offset:76
	;; [unrolled: 1-line block ×3, first 2 shown]
	v_mul_f32_e32 v165, v197, v198
	s_waitcnt lgkmcnt(3)
	v_fmac_f32_e32 v163, v165, v164
	v_mul_f32_e32 v164, v196, v199
	v_pk_mul_f32 v[136:137], v[136:137], v[138:139]
	ds_bpermute_b32 v138, v162, v132 offset:84
	ds_bpermute_b32 v139, v162, v132 offset:88
	s_waitcnt lgkmcnt(4)
	v_fmac_f32_e32 v163, v164, v166
	s_waitcnt lgkmcnt(2)
	v_pk_mul_f32 v[136:137], v[136:137], v[160:161]
	v_add_f32_e32 v136, v163, v136
	v_add_f32_e32 v160, v136, v137
	v_pk_mul_f32 v[136:137], v[140:141], v[142:143]
	ds_bpermute_b32 v140, v162, v132 offset:92
	ds_bpermute_b32 v141, v162, v132 offset:96
	s_waitcnt lgkmcnt(2)
	v_pk_mul_f32 v[136:137], v[136:137], v[138:139]
	v_add_f32_e32 v136, v160, v136
	v_add_f32_e32 v138, v136, v137
	v_pk_mul_f32 v[136:137], v[144:145], v[146:147]
	s_waitcnt lgkmcnt(0)
	v_pk_mul_f32 v[136:137], v[136:137], v[140:141]
	v_add_f32_e32 v136, v138, v136
	ds_bpermute_b32 v138, v162, v132 offset:100
	ds_bpermute_b32 v139, v162, v132 offset:104
	;; [unrolled: 1-line block ×4, first 2 shown]
	v_add_f32_e32 v142, v136, v137
	v_pk_mul_f32 v[136:137], v[148:149], v[150:151]
	s_waitcnt lgkmcnt(2)
	v_pk_mul_f32 v[136:137], v[136:137], v[138:139]
	v_add_f32_e32 v136, v142, v136
	ds_bpermute_b32 v138, v162, v132 offset:116
	ds_bpermute_b32 v139, v162, v132 offset:120
	v_add_f32_e32 v142, v136, v137
	v_pk_mul_f32 v[136:137], v[152:153], v[154:155]
	s_waitcnt lgkmcnt(2)
	v_pk_mul_f32 v[136:137], v[136:137], v[140:141]
	v_add_f32_e32 v136, v142, v136
	v_add_f32_e32 v140, v136, v137
	v_pk_mul_f32 v[136:137], v[156:157], v[158:159]
	s_waitcnt lgkmcnt(0)
	v_pk_mul_f32 v[136:137], v[136:137], v[138:139]
	v_add_f32_e32 v136, v140, v136
	ds_bpermute_b32 v132, v162, v132 offset:124
	v_add_f32_e32 v138, v136, v137
.LBB176_141:                            ;   in Loop: Header=BB176_3 Depth=1
	s_waitcnt lgkmcnt(0)
	v_fmac_f32_e32 v138, v202, v132
	v_mov_b32_e32 v132, s7
	v_add_co_u32_e64 v2, s[10:11], s33, v2
	v_addc_co_u32_e64 v129, s[10:11], v129, v132, s[10:11]
	v_mov_b32_e32 v132, s29
	v_add_co_u32_e64 v4, s[10:11], s28, v4
	v_addc_co_u32_e64 v1, s[10:11], v1, v132, s[10:11]
	v_add_co_u32_e64 v6, s[10:11], s28, v6
	v_addc_co_u32_e64 v3, s[10:11], v3, v132, s[10:11]
	;; [unrolled: 2-line block ×62, first 2 shown]
	s_add_u32 s30, s30, s33
	v_add_co_u32_e64 v128, s[10:11], s28, v128
	s_addc_u32 s31, s31, 0
	v_pk_mov_b32 v[136:137], s[12:13], s[12:13] op_sel:[0,1]
	v_addc_co_u32_e64 v125, s[10:11], v125, v132, s[10:11]
	v_cmp_lt_i64_e32 vcc, s[30:31], v[136:137]
	v_add_co_u32_e64 v130, s[10:11], s28, v130
	s_add_u32 s26, s26, s33
	v_addc_co_u32_e64 v127, s[10:11], v127, v132, s[10:11]
	s_addc_u32 s27, s27, 0
	s_cbranch_vccz .LBB176_146
; %bb.142:                              ;   in Loop: Header=BB176_3 Depth=1
	v_mov_b32_e32 v163, v138
	s_branch .LBB176_3
.LBB176_143:                            ;   in Loop: Header=BB176_3 Depth=1
	v_add_co_u32_e32 v158, vcc, v12, v134
	v_addc_co_u32_e32 v159, vcc, v9, v135, vcc
	global_load_ushort v156, v[158:159], off
	v_add_co_u32_e32 v158, vcc, v14, v134
	v_addc_co_u32_e32 v159, vcc, v11, v135, vcc
	global_load_ushort v158, v[158:159], off
	s_waitcnt vmcnt(1)
	v_cvt_f32_f16_e32 v156, v156
	s_waitcnt vmcnt(0)
	v_cvt_f32_f16_e32 v158, v158
	s_or_b64 exec, exec, s[10:11]
	v_mov_b32_e32 v159, 0
	s_and_saveexec_b64 s[10:11], s[2:3]
	s_cbranch_execz .LBB176_138
.LBB176_144:                            ;   in Loop: Header=BB176_3 Depth=1
	v_add_co_u32_e32 v200, vcc, v8, v134
	v_addc_co_u32_e32 v201, vcc, v5, v135, vcc
	global_load_ushort v157, v[200:201], off
	v_add_co_u32_e32 v200, vcc, v10, v134
	v_addc_co_u32_e32 v201, vcc, v7, v135, vcc
	global_load_ushort v159, v[200:201], off
	s_waitcnt vmcnt(1)
	v_cvt_f32_f16_e32 v157, v157
	s_waitcnt vmcnt(0)
	v_cvt_f32_f16_e32 v159, v159
	s_or_b64 exec, exec, s[10:11]
	v_mov_b32_e32 v202, 0
	s_and_saveexec_b64 s[10:11], s[2:3]
	s_cbranch_execnz .LBB176_139
	s_branch .LBB176_140
.LBB176_145:
                                        ; implicit-def: $vgpr138
	s_load_dwordx2 s[2:3], s[4:5], 0x30
	s_branch .LBB176_147
.LBB176_146:
	s_load_dwordx2 s[2:3], s[4:5], 0x30
	s_cbranch_execnz .LBB176_228
.LBB176_147:
	s_and_b64 vcc, exec, s[0:1]
	v_mov_b32_e32 v138, 0
	s_cbranch_vccnz .LBB176_228
; %bb.148:
	v_bfe_u32 v128, v253, 10, 10
	s_add_u32 s10, s4, 64
	s_addc_u32 s11, s5, 0
	v_lshlrev_b32_e32 v0, 6, v128
	s_lshl_b64 s[0:1], s[22:23], 1
	v_mov_b32_e32 v1, s1
	v_add_co_u32_e32 v0, vcc, s0, v0
	v_addc_co_u32_e32 v1, vcc, 0, v1, vcc
	v_add_co_u32_e32 v22, vcc, 2, v0
	v_addc_co_u32_e32 v4, vcc, 0, v1, vcc
	;; [unrolled: 2-line block ×10, first 2 shown]
	v_add_co_u32_e32 v50, vcc, 20, v0
	v_pk_mov_b32 v[122:123], s[16:17], s[16:17] op_sel:[0,1]
	v_addc_co_u32_e32 v23, vcc, 0, v1, vcc
	v_pk_mov_b32 v[124:125], s[18:19], s[18:19] op_sel:[0,1]
	v_mad_u64_u32 v[2:3], s[0:1], s14, v22, v[122:123]
	v_mul_lo_u32 v24, s14, v4
	v_mul_lo_u32 v25, s15, v22
	;; [unrolled: 1-line block ×3, first 2 shown]
	v_mad_u64_u32 v[22:23], s[0:1], s14, v22, v[124:125]
	v_add3_u32 v3, v25, v3, v24
	v_mad_u64_u32 v[4:5], s[0:1], s14, v26, v[122:123]
	v_mul_lo_u32 v27, s14, v6
	v_mul_lo_u32 v28, s15, v26
	v_add3_u32 v23, v25, v23, v24
	v_mad_u64_u32 v[24:25], s[0:1], s14, v26, v[124:125]
	v_add3_u32 v5, v28, v5, v27
	v_mad_u64_u32 v[6:7], s[0:1], s14, v29, v[122:123]
	v_mul_lo_u32 v30, s14, v8
	v_mul_lo_u32 v31, s15, v29
	v_add3_u32 v25, v28, v25, v27
	v_mad_u64_u32 v[26:27], s[0:1], s14, v29, v[124:125]
	v_add3_u32 v7, v31, v7, v30
	v_mad_u64_u32 v[8:9], s[0:1], s14, v32, v[122:123]
	v_mul_lo_u32 v33, s14, v10
	v_mul_lo_u32 v34, s15, v32
	v_add_co_u32_e32 v53, vcc, 22, v0
	v_add3_u32 v27, v31, v27, v30
	v_mad_u64_u32 v[30:31], s[0:1], s14, v32, v[124:125]
	v_add3_u32 v9, v34, v9, v33
	v_mad_u64_u32 v[10:11], s[0:1], s14, v35, v[122:123]
	v_mul_lo_u32 v36, s14, v12
	v_mul_lo_u32 v37, s15, v35
	v_mad_u64_u32 v[12:13], s[0:1], s14, v38, v[122:123]
	v_mul_lo_u32 v39, s14, v14
	v_mul_lo_u32 v40, s15, v38
	v_addc_co_u32_e32 v54, vcc, 0, v1, vcc
	v_add3_u32 v31, v34, v31, v33
	v_mad_u64_u32 v[32:33], s[0:1], s14, v35, v[124:125]
	v_mad_u64_u32 v[34:35], s[0:1], s14, v38, v[124:125]
	v_add3_u32 v13, v40, v13, v39
	v_mul_lo_u32 v42, s14, v16
	v_mad_u64_u32 v[16:17], s[0:1], s14, v44, v[122:123]
	v_mul_lo_u32 v45, s14, v18
	v_mul_lo_u32 v46, s15, v44
	v_add3_u32 v35, v40, v35, v39
	v_add_co_u32_e32 v56, vcc, 24, v0
	v_mad_u64_u32 v[38:39], s[0:1], s14, v44, v[124:125]
	v_add3_u32 v17, v46, v17, v45
	v_mul_lo_u32 v48, s14, v20
	v_mad_u64_u32 v[20:21], s[0:1], s14, v50, v[122:123]
	v_mul_lo_u32 v52, s15, v50
	v_addc_co_u32_e32 v57, vcc, 0, v1, vcc
	v_add3_u32 v39, v46, v39, v45
	v_mad_u64_u32 v[44:45], s[0:1], s14, v50, v[124:125]
	v_add3_u32 v11, v37, v11, v36
	v_mad_u64_u32 v[14:15], s[0:1], s14, v41, v[122:123]
	v_mul_lo_u32 v43, s15, v41
	v_add3_u32 v21, v52, v21, v51
	v_add3_u32 v33, v37, v33, v36
	v_mad_u64_u32 v[36:37], s[0:1], s14, v41, v[124:125]
	v_add3_u32 v45, v52, v45, v51
	v_add_co_u32_e32 v52, vcc, 26, v0
	v_add3_u32 v15, v43, v15, v42
	v_mad_u64_u32 v[18:19], s[0:1], s14, v47, v[122:123]
	v_mul_lo_u32 v49, s15, v47
	v_mad_u64_u32 v[28:29], s[0:1], s14, v53, v[122:123]
	v_mul_lo_u32 v54, s14, v54
	v_mul_lo_u32 v55, s15, v53
	v_add3_u32 v37, v43, v37, v42
	v_mad_u64_u32 v[42:43], s[0:1], s14, v47, v[124:125]
	v_mad_u64_u32 v[46:47], s[0:1], s14, v53, v[124:125]
	v_addc_co_u32_e32 v53, vcc, 0, v1, vcc
	v_add3_u32 v19, v49, v19, v48
	v_add3_u32 v29, v55, v29, v54
	v_mad_u64_u32 v[40:41], s[0:1], s14, v56, v[122:123]
	v_add3_u32 v43, v49, v43, v48
	v_mul_lo_u32 v58, s15, v56
	v_add3_u32 v47, v55, v47, v54
	v_mad_u64_u32 v[48:49], s[0:1], s14, v56, v[124:125]
	v_mad_u64_u32 v[50:51], s[0:1], s14, v52, v[122:123]
	v_mul_lo_u32 v54, s14, v53
	v_mul_lo_u32 v55, s15, v52
	v_mad_u64_u32 v[52:53], s[0:1], s14, v52, v[124:125]
	v_add_co_u32_e32 v56, vcc, 28, v0
	v_mul_lo_u32 v57, s14, v57
	v_add3_u32 v51, v55, v51, v54
	v_add3_u32 v53, v55, v53, v54
	v_addc_co_u32_e32 v54, vcc, 0, v1, vcc
	v_add3_u32 v41, v58, v41, v57
	v_add3_u32 v49, v58, v49, v57
	v_mul_lo_u32 v58, s14, v54
	v_mul_lo_u32 v59, s15, v56
	v_mad_u64_u32 v[54:55], s[0:1], s14, v56, v[122:123]
	v_mad_u64_u32 v[56:57], s[0:1], s14, v56, v[124:125]
	v_add_co_u32_e32 v60, vcc, 30, v0
	v_add3_u32 v55, v59, v55, v58
	v_add3_u32 v57, v59, v57, v58
	v_addc_co_u32_e32 v58, vcc, 0, v1, vcc
	v_mul_lo_u32 v62, s14, v58
	v_mul_lo_u32 v63, s15, v60
	v_mad_u64_u32 v[58:59], s[0:1], s14, v60, v[122:123]
	v_mad_u64_u32 v[60:61], s[0:1], s14, v60, v[124:125]
	v_add_co_u32_e32 v64, vcc, 32, v0
	v_add3_u32 v59, v63, v59, v62
	v_add3_u32 v61, v63, v61, v62
	v_addc_co_u32_e32 v62, vcc, 0, v1, vcc
	v_mul_lo_u32 v66, s14, v62
	v_mul_lo_u32 v67, s15, v64
	v_mad_u64_u32 v[62:63], s[0:1], s14, v64, v[122:123]
	v_mad_u64_u32 v[64:65], s[0:1], s14, v64, v[124:125]
	v_add_co_u32_e32 v68, vcc, 34, v0
	v_add3_u32 v63, v67, v63, v66
	v_add3_u32 v65, v67, v65, v66
	v_addc_co_u32_e32 v66, vcc, 0, v1, vcc
	v_mul_lo_u32 v70, s14, v66
	v_mul_lo_u32 v71, s15, v68
	v_mad_u64_u32 v[66:67], s[0:1], s14, v68, v[122:123]
	v_mad_u64_u32 v[68:69], s[0:1], s14, v68, v[124:125]
	v_add_co_u32_e32 v72, vcc, 36, v0
	v_add3_u32 v67, v71, v67, v70
	v_add3_u32 v69, v71, v69, v70
	v_addc_co_u32_e32 v70, vcc, 0, v1, vcc
	v_mul_lo_u32 v74, s14, v70
	v_mul_lo_u32 v75, s15, v72
	v_mad_u64_u32 v[70:71], s[0:1], s14, v72, v[122:123]
	v_mad_u64_u32 v[72:73], s[0:1], s14, v72, v[124:125]
	v_add_co_u32_e32 v76, vcc, 38, v0
	v_add3_u32 v71, v75, v71, v74
	v_add3_u32 v73, v75, v73, v74
	v_addc_co_u32_e32 v74, vcc, 0, v1, vcc
	v_mul_lo_u32 v78, s14, v74
	v_mul_lo_u32 v79, s15, v76
	v_mad_u64_u32 v[74:75], s[0:1], s14, v76, v[122:123]
	v_mad_u64_u32 v[76:77], s[0:1], s14, v76, v[124:125]
	v_add_co_u32_e32 v80, vcc, 40, v0
	v_add3_u32 v75, v79, v75, v78
	v_add3_u32 v77, v79, v77, v78
	v_addc_co_u32_e32 v78, vcc, 0, v1, vcc
	v_mul_lo_u32 v82, s14, v78
	v_mul_lo_u32 v83, s15, v80
	v_mad_u64_u32 v[78:79], s[0:1], s14, v80, v[122:123]
	v_mad_u64_u32 v[80:81], s[0:1], s14, v80, v[124:125]
	v_add_co_u32_e32 v84, vcc, 42, v0
	v_add3_u32 v79, v83, v79, v82
	v_add3_u32 v81, v83, v81, v82
	v_addc_co_u32_e32 v82, vcc, 0, v1, vcc
	v_mul_lo_u32 v86, s14, v82
	v_mul_lo_u32 v87, s15, v84
	v_mad_u64_u32 v[82:83], s[0:1], s14, v84, v[122:123]
	v_mad_u64_u32 v[84:85], s[0:1], s14, v84, v[124:125]
	v_add_co_u32_e32 v88, vcc, 44, v0
	v_add3_u32 v83, v87, v83, v86
	v_add3_u32 v85, v87, v85, v86
	v_addc_co_u32_e32 v86, vcc, 0, v1, vcc
	v_mul_lo_u32 v90, s14, v86
	v_mul_lo_u32 v91, s15, v88
	v_mad_u64_u32 v[86:87], s[0:1], s14, v88, v[122:123]
	v_mad_u64_u32 v[88:89], s[0:1], s14, v88, v[124:125]
	v_add_co_u32_e32 v92, vcc, 46, v0
	v_add3_u32 v87, v91, v87, v90
	v_add3_u32 v89, v91, v89, v90
	v_addc_co_u32_e32 v90, vcc, 0, v1, vcc
	v_mul_lo_u32 v94, s14, v90
	v_mul_lo_u32 v95, s15, v92
	v_mad_u64_u32 v[90:91], s[0:1], s14, v92, v[122:123]
	v_mad_u64_u32 v[92:93], s[0:1], s14, v92, v[124:125]
	v_add_co_u32_e32 v96, vcc, 48, v0
	v_add3_u32 v91, v95, v91, v94
	v_add3_u32 v93, v95, v93, v94
	v_addc_co_u32_e32 v94, vcc, 0, v1, vcc
	v_mul_lo_u32 v98, s14, v94
	v_mul_lo_u32 v99, s15, v96
	v_mad_u64_u32 v[94:95], s[0:1], s14, v96, v[122:123]
	v_mad_u64_u32 v[96:97], s[0:1], s14, v96, v[124:125]
	v_add_co_u32_e32 v100, vcc, 50, v0
	v_add3_u32 v95, v99, v95, v98
	v_add3_u32 v97, v99, v97, v98
	v_addc_co_u32_e32 v98, vcc, 0, v1, vcc
	v_mul_lo_u32 v102, s14, v98
	v_mul_lo_u32 v103, s15, v100
	v_mad_u64_u32 v[98:99], s[0:1], s14, v100, v[122:123]
	v_mad_u64_u32 v[100:101], s[0:1], s14, v100, v[124:125]
	v_add_co_u32_e32 v104, vcc, 52, v0
	v_add3_u32 v99, v103, v99, v102
	v_add3_u32 v101, v103, v101, v102
	v_addc_co_u32_e32 v102, vcc, 0, v1, vcc
	v_mul_lo_u32 v106, s14, v102
	v_mul_lo_u32 v107, s15, v104
	v_mad_u64_u32 v[102:103], s[0:1], s14, v104, v[122:123]
	v_mad_u64_u32 v[104:105], s[0:1], s14, v104, v[124:125]
	v_add_co_u32_e32 v108, vcc, 54, v0
	v_add3_u32 v103, v107, v103, v106
	v_add3_u32 v105, v107, v105, v106
	v_addc_co_u32_e32 v106, vcc, 0, v1, vcc
	v_mul_lo_u32 v110, s14, v106
	v_mul_lo_u32 v111, s15, v108
	v_mad_u64_u32 v[106:107], s[0:1], s14, v108, v[122:123]
	v_mad_u64_u32 v[108:109], s[0:1], s14, v108, v[124:125]
	v_add_co_u32_e32 v112, vcc, 56, v0
	v_add3_u32 v107, v111, v107, v110
	v_add3_u32 v109, v111, v109, v110
	v_addc_co_u32_e32 v110, vcc, 0, v1, vcc
	v_mul_lo_u32 v114, s14, v110
	v_mul_lo_u32 v115, s15, v112
	v_mad_u64_u32 v[110:111], s[0:1], s14, v112, v[122:123]
	v_mad_u64_u32 v[112:113], s[0:1], s14, v112, v[124:125]
	v_add_co_u32_e32 v116, vcc, 58, v0
	v_add3_u32 v111, v115, v111, v114
	v_add3_u32 v113, v115, v113, v114
	v_addc_co_u32_e32 v114, vcc, 0, v1, vcc
	v_mul_lo_u32 v118, s14, v114
	v_mul_lo_u32 v119, s15, v116
	v_mad_u64_u32 v[114:115], s[0:1], s14, v116, v[122:123]
	v_mad_u64_u32 v[116:117], s[0:1], s14, v116, v[124:125]
	v_add_co_u32_e32 v120, vcc, 60, v0
	v_add3_u32 v115, v119, v115, v118
	v_add3_u32 v117, v119, v117, v118
	v_addc_co_u32_e32 v118, vcc, 0, v1, vcc
	v_add_co_u32_e32 v0, vcc, 62, v0
	v_mul_lo_u32 v126, s14, v118
	v_mul_lo_u32 v127, s15, v120
	v_mad_u64_u32 v[118:119], s[0:1], s14, v120, v[122:123]
	v_mad_u64_u32 v[120:121], s[0:1], s14, v120, v[124:125]
	v_addc_co_u32_e32 v1, vcc, 0, v1, vcc
	v_add3_u32 v119, v127, v119, v126
	v_add3_u32 v121, v127, v121, v126
	v_mad_u64_u32 v[122:123], s[0:1], s14, v0, v[122:123]
	v_mul_lo_u32 v1, s14, v1
	v_mad_u64_u32 v[124:125], s[0:1], s14, v0, v[124:125]
	v_mul_lo_u32 v0, s15, v0
	v_lshlrev_b32_e32 v126, 5, v128
	v_add3_u32 v123, v0, v123, v1
	v_add3_u32 v125, v0, v125, v1
	v_mov_b32_e32 v1, s23
	v_add_co_u32_e32 v0, vcc, s22, v126
	v_addc_co_u32_e32 v1, vcc, 0, v1, vcc
	v_add_co_u32_e32 v127, vcc, 31, v0
	v_accvgpr_write_b32 a1, v128
	v_addc_co_u32_e32 v128, vcc, 0, v1, vcc
	v_mul_lo_u32 v128, s14, v128
	v_mul_lo_u32 v129, s15, v127
	v_mad_u64_u32 v[132:133], s[0:1], s14, v127, 0
	v_add_co_u32_e32 v127, vcc, 30, v0
	v_add3_u32 v133, v133, v128, v129
	v_addc_co_u32_e32 v128, vcc, 0, v1, vcc
	v_mul_lo_u32 v128, s14, v128
	v_mul_lo_u32 v129, s15, v127
	v_mad_u64_u32 v[134:135], s[0:1], s14, v127, 0
	v_add_co_u32_e32 v127, vcc, 29, v0
	v_add3_u32 v135, v135, v128, v129
	v_addc_co_u32_e32 v128, vcc, 0, v1, vcc
	v_mul_lo_u32 v128, s14, v128
	v_mul_lo_u32 v129, s15, v127
	v_mad_u64_u32 v[136:137], s[0:1], s14, v127, 0
	v_add_co_u32_e32 v127, vcc, 28, v0
	v_add3_u32 v137, v137, v128, v129
	v_addc_co_u32_e32 v128, vcc, 0, v1, vcc
	v_mul_lo_u32 v128, s14, v128
	v_mul_lo_u32 v129, s15, v127
	v_mad_u64_u32 v[138:139], s[0:1], s14, v127, 0
	v_add_co_u32_e32 v127, vcc, 27, v0
	v_add3_u32 v139, v139, v128, v129
	v_addc_co_u32_e32 v128, vcc, 0, v1, vcc
	v_mul_lo_u32 v128, s14, v128
	v_mul_lo_u32 v129, s15, v127
	v_mad_u64_u32 v[140:141], s[0:1], s14, v127, 0
	v_add_co_u32_e32 v127, vcc, 26, v0
	v_add3_u32 v141, v141, v128, v129
	v_addc_co_u32_e32 v128, vcc, 0, v1, vcc
	v_mul_lo_u32 v128, s14, v128
	v_mul_lo_u32 v129, s15, v127
	v_mad_u64_u32 v[142:143], s[0:1], s14, v127, 0
	v_add_co_u32_e32 v127, vcc, 25, v0
	v_add3_u32 v143, v143, v128, v129
	v_addc_co_u32_e32 v128, vcc, 0, v1, vcc
	v_mul_lo_u32 v128, s14, v128
	v_mul_lo_u32 v129, s15, v127
	v_mad_u64_u32 v[144:145], s[0:1], s14, v127, 0
	v_add_co_u32_e32 v127, vcc, 24, v0
	v_add3_u32 v145, v145, v128, v129
	v_addc_co_u32_e32 v128, vcc, 0, v1, vcc
	v_mul_lo_u32 v128, s14, v128
	v_mul_lo_u32 v129, s15, v127
	v_mad_u64_u32 v[146:147], s[0:1], s14, v127, 0
	v_add_co_u32_e32 v127, vcc, 23, v0
	v_add3_u32 v147, v147, v128, v129
	v_addc_co_u32_e32 v128, vcc, 0, v1, vcc
	v_mul_lo_u32 v128, s14, v128
	v_mul_lo_u32 v129, s15, v127
	v_mad_u64_u32 v[148:149], s[0:1], s14, v127, 0
	v_add_co_u32_e32 v127, vcc, 22, v0
	v_add3_u32 v149, v149, v128, v129
	v_addc_co_u32_e32 v128, vcc, 0, v1, vcc
	v_mul_lo_u32 v128, s14, v128
	v_mul_lo_u32 v129, s15, v127
	v_mad_u64_u32 v[150:151], s[0:1], s14, v127, 0
	v_add_co_u32_e32 v127, vcc, 21, v0
	v_add3_u32 v151, v151, v128, v129
	v_addc_co_u32_e32 v128, vcc, 0, v1, vcc
	v_mul_lo_u32 v128, s14, v128
	v_mul_lo_u32 v129, s15, v127
	v_mad_u64_u32 v[152:153], s[0:1], s14, v127, 0
	v_add_co_u32_e32 v127, vcc, 20, v0
	v_add3_u32 v153, v153, v128, v129
	v_addc_co_u32_e32 v128, vcc, 0, v1, vcc
	v_mul_lo_u32 v128, s14, v128
	v_mul_lo_u32 v129, s15, v127
	v_mad_u64_u32 v[154:155], s[0:1], s14, v127, 0
	v_add_co_u32_e32 v127, vcc, 19, v0
	v_add3_u32 v155, v155, v128, v129
	v_addc_co_u32_e32 v128, vcc, 0, v1, vcc
	v_mul_lo_u32 v128, s14, v128
	v_mul_lo_u32 v129, s15, v127
	v_mad_u64_u32 v[156:157], s[0:1], s14, v127, 0
	v_add_co_u32_e32 v127, vcc, 18, v0
	v_add3_u32 v157, v157, v128, v129
	v_addc_co_u32_e32 v128, vcc, 0, v1, vcc
	v_mul_lo_u32 v128, s14, v128
	v_mul_lo_u32 v129, s15, v127
	v_mad_u64_u32 v[184:185], s[0:1], s14, v127, 0
	v_add_co_u32_e32 v127, vcc, 17, v0
	v_add3_u32 v185, v185, v128, v129
	v_addc_co_u32_e32 v128, vcc, 0, v1, vcc
	v_mul_lo_u32 v128, s14, v128
	v_mul_lo_u32 v129, s15, v127
	v_mad_u64_u32 v[188:189], s[0:1], s14, v127, 0
	v_add_co_u32_e32 v127, vcc, 16, v0
	v_add3_u32 v189, v189, v128, v129
	v_addc_co_u32_e32 v128, vcc, 0, v1, vcc
	v_mul_lo_u32 v128, s14, v128
	v_mul_lo_u32 v129, s15, v127
	v_mad_u64_u32 v[192:193], s[0:1], s14, v127, 0
	v_add_co_u32_e32 v127, vcc, 15, v0
	v_add3_u32 v193, v193, v128, v129
	v_addc_co_u32_e32 v128, vcc, 0, v1, vcc
	v_mul_lo_u32 v128, s14, v128
	v_mul_lo_u32 v129, s15, v127
	v_mad_u64_u32 v[196:197], s[0:1], s14, v127, 0
	v_add_co_u32_e32 v127, vcc, 14, v0
	v_add3_u32 v197, v197, v128, v129
	v_addc_co_u32_e32 v128, vcc, 0, v1, vcc
	v_mul_lo_u32 v128, s14, v128
	v_mul_lo_u32 v129, s15, v127
	v_mad_u64_u32 v[200:201], s[0:1], s14, v127, 0
	v_add_co_u32_e32 v127, vcc, 13, v0
	v_add3_u32 v201, v201, v128, v129
	v_addc_co_u32_e32 v128, vcc, 0, v1, vcc
	v_mul_lo_u32 v128, s14, v128
	v_mul_lo_u32 v129, s15, v127
	v_mad_u64_u32 v[204:205], s[0:1], s14, v127, 0
	v_add_co_u32_e32 v127, vcc, 12, v0
	v_add3_u32 v205, v205, v128, v129
	v_addc_co_u32_e32 v128, vcc, 0, v1, vcc
	v_mul_lo_u32 v128, s14, v128
	v_mul_lo_u32 v129, s15, v127
	v_mad_u64_u32 v[208:209], s[0:1], s14, v127, 0
	v_add_co_u32_e32 v127, vcc, 11, v0
	v_add3_u32 v209, v209, v128, v129
	v_addc_co_u32_e32 v128, vcc, 0, v1, vcc
	v_mul_lo_u32 v128, s14, v128
	v_mul_lo_u32 v129, s15, v127
	v_mad_u64_u32 v[212:213], s[0:1], s14, v127, 0
	v_add_co_u32_e32 v127, vcc, 10, v0
	v_add3_u32 v213, v213, v128, v129
	v_addc_co_u32_e32 v128, vcc, 0, v1, vcc
	v_mul_lo_u32 v128, s14, v128
	v_mul_lo_u32 v129, s15, v127
	v_mad_u64_u32 v[216:217], s[0:1], s14, v127, 0
	v_add_co_u32_e32 v127, vcc, 9, v0
	v_add3_u32 v217, v217, v128, v129
	v_addc_co_u32_e32 v128, vcc, 0, v1, vcc
	v_mul_lo_u32 v128, s14, v128
	v_mul_lo_u32 v129, s15, v127
	v_mad_u64_u32 v[220:221], s[0:1], s14, v127, 0
	v_add_co_u32_e32 v127, vcc, 8, v0
	v_add3_u32 v221, v221, v128, v129
	v_addc_co_u32_e32 v128, vcc, 0, v1, vcc
	v_mul_lo_u32 v128, s14, v128
	v_mul_lo_u32 v129, s15, v127
	v_mad_u64_u32 v[158:159], s[0:1], s14, v127, 0
	v_add_co_u32_e32 v127, vcc, 7, v0
	v_add3_u32 v159, v159, v128, v129
	v_addc_co_u32_e32 v128, vcc, 0, v1, vcc
	v_mul_lo_u32 v128, s14, v128
	v_mul_lo_u32 v129, s15, v127
	v_mad_u64_u32 v[160:161], s[0:1], s14, v127, 0
	v_add_co_u32_e32 v127, vcc, 6, v0
	v_add3_u32 v161, v161, v128, v129
	v_addc_co_u32_e32 v128, vcc, 0, v1, vcc
	v_mul_lo_u32 v128, s14, v128
	v_mul_lo_u32 v129, s15, v127
	v_mad_u64_u32 v[162:163], s[0:1], s14, v127, 0
	v_add_co_u32_e32 v127, vcc, 5, v0
	v_add3_u32 v163, v163, v128, v129
	v_addc_co_u32_e32 v128, vcc, 0, v1, vcc
	v_mul_lo_u32 v128, s14, v128
	v_mul_lo_u32 v129, s15, v127
	v_mad_u64_u32 v[164:165], s[0:1], s14, v127, 0
	v_add_co_u32_e32 v127, vcc, 4, v0
	v_add3_u32 v165, v165, v128, v129
	v_addc_co_u32_e32 v128, vcc, 0, v1, vcc
	v_mul_lo_u32 v128, s14, v128
	v_mul_lo_u32 v129, s15, v127
	v_mad_u64_u32 v[166:167], s[0:1], s14, v127, 0
	v_add_co_u32_e32 v127, vcc, 3, v0
	v_add3_u32 v167, v167, v128, v129
	v_addc_co_u32_e32 v128, vcc, 0, v1, vcc
	v_mul_lo_u32 v128, s14, v128
	v_mul_lo_u32 v129, s15, v127
	v_mad_u64_u32 v[168:169], s[0:1], s14, v127, 0
	v_add_co_u32_e32 v127, vcc, 2, v0
	v_add3_u32 v169, v169, v128, v129
	v_addc_co_u32_e32 v128, vcc, 0, v1, vcc
	v_mul_lo_u32 v128, s14, v128
	v_mul_lo_u32 v129, s15, v127
	v_mad_u64_u32 v[170:171], s[0:1], s14, v127, 0
	v_add3_u32 v171, v171, v128, v129
	v_pk_mov_b32 v[128:129], s[14:15], s[14:15] op_sel:[0,1]
	v_mul_lo_u32 v127, s14, v1
	v_mad_u64_u32 v[172:173], s[0:1], s14, v0, v[128:129]
	v_mul_lo_u32 v128, s15, v0
	v_mad_u64_u32 v[0:1], s[0:1], s14, v0, 0
	v_add3_u32 v1, v1, v127, v128
	v_lshlrev_b64 v[130:131], 1, v[0:1]
	v_add3_u32 v173, v128, v173, v127
	v_mov_b32_e32 v0, s17
	v_add_co_u32_e32 v128, vcc, s16, v130
	v_addc_co_u32_e32 v1, vcc, v0, v131, vcc
	v_mov_b32_e32 v129, s19
	v_add_co_u32_e32 v130, vcc, s18, v130
	v_addc_co_u32_e32 v127, vcc, v129, v131, vcc
	v_lshlrev_b64 v[132:133], 1, v[132:133]
	v_add_co_u32_e32 v174, vcc, s16, v132
	v_addc_co_u32_e32 v131, vcc, v0, v133, vcc
	v_add_co_u32_e32 v132, vcc, s18, v132
	v_accvgpr_write_b32 a3, v131
	v_accvgpr_write_b32 a4, v132
	v_addc_co_u32_e32 v131, vcc, v129, v133, vcc
	v_lshlrev_b64 v[132:133], 1, v[134:135]
	v_add_co_u32_e32 v134, vcc, s16, v132
	v_accvgpr_write_b32 a5, v131
	v_addc_co_u32_e32 v131, vcc, v0, v133, vcc
	v_add_co_u32_e32 v132, vcc, s18, v132
	v_accvgpr_write_b32 a7, v131
	v_accvgpr_write_b32 a8, v132
	v_addc_co_u32_e32 v131, vcc, v129, v133, vcc
	v_lshlrev_b64 v[132:133], 1, v[136:137]
	v_accvgpr_write_b32 a6, v134
	v_add_co_u32_e32 v134, vcc, s16, v132
	v_accvgpr_write_b32 a9, v131
	v_addc_co_u32_e32 v131, vcc, v0, v133, vcc
	v_add_co_u32_e32 v132, vcc, s18, v132
	v_accvgpr_write_b32 a11, v131
	v_accvgpr_write_b32 a12, v132
	v_addc_co_u32_e32 v131, vcc, v129, v133, vcc
	v_lshlrev_b64 v[132:133], 1, v[138:139]
	v_accvgpr_write_b32 a10, v134
	;; [unrolled: 9-line block ×16, first 2 shown]
	v_add_co_u32_e32 v134, vcc, s16, v132
	v_addc_co_u32_e32 v197, vcc, v0, v133, vcc
	v_add_co_u32_e32 v202, vcc, s18, v132
	v_accvgpr_write_b32 a69, v131
	v_addc_co_u32_e32 v131, vcc, v129, v133, vcc
	v_lshlrev_b64 v[132:133], 1, v[204:205]
	v_add_co_u32_e32 v204, vcc, s16, v132
	v_accvgpr_write_b32 a71, v131
	v_addc_co_u32_e32 v131, vcc, v0, v133, vcc
	v_add_co_u32_e32 v206, vcc, s18, v132
	v_addc_co_u32_e32 v203, vcc, v129, v133, vcc
	v_lshlrev_b64 v[132:133], 1, v[208:209]
	v_add_co_u32_e32 v208, vcc, s16, v132
	v_addc_co_u32_e32 v205, vcc, v0, v133, vcc
	v_add_co_u32_e32 v210, vcc, s18, v132
	v_addc_co_u32_e32 v207, vcc, v129, v133, vcc
	v_lshlrev_b64 v[132:133], 1, v[212:213]
	v_add_co_u32_e32 v212, vcc, s16, v132
	;; [unrolled: 5-line block ×11, first 2 shown]
	v_addc_co_u32_e32 v245, vcc, v0, v133, vcc
	s_load_dword s0, s[4:5], 0x44
	v_add_co_u32_e32 v250, vcc, s18, v132
	v_addc_co_u32_e32 v247, vcc, v129, v133, vcc
	v_lshlrev_b64 v[132:133], 1, v[172:173]
	v_add_co_u32_e32 v252, vcc, s16, v132
	v_addc_co_u32_e32 v249, vcc, v0, v133, vcc
	v_and_b32_e32 v0, 0x3ff, v253
	v_add_co_u32_e32 v254, vcc, s18, v132
	v_accvgpr_write_b32 a72, v0
	v_add_u32_e32 v132, s9, v0
	s_waitcnt lgkmcnt(0)
	s_lshl_b32 s9, s0, 5
	v_mbcnt_lo_u32_b32 v0, -1, 0
	s_mul_i32 s0, s15, s9
	s_mul_hi_u32 s1, s14, s9
	v_mbcnt_hi_u32_b32 v0, -1, v0
	v_addc_co_u32_e32 v251, vcc, v129, v133, vcc
	v_mov_b32_e32 v133, 0
	s_add_i32 s1, s1, s0
	s_mul_i32 s0, s14, s9
	v_lshlrev_b32_e32 v0, 2, v0
	v_accvgpr_write_b32 a2, v174
	v_accvgpr_write_b32 a70, v134
	;; [unrolled: 1-line block ×3, first 2 shown]
	s_mov_b32 s7, 0
	v_accvgpr_write_b32 a0, v253
	s_lshl_b64 s[16:17], s[0:1], 1
	s_mov_b64 s[18:19], 31
	v_and_b32_e32 v0, 0x100, v0
	s_mov_b64 s[24:25], s[22:23]
	v_mov_b32_e32 v129, 0
	v_mov_b32_e32 v253, v133
	v_accvgpr_write_b32 a75, v133
	v_lshlrev_b64 v[132:133], 1, v[132:133]
.LBB176_149:                            ; =>This Inner Loop Header: Depth=1
	s_add_u32 s0, s22, s18
	s_addc_u32 s1, 0, s19
	v_pk_mov_b32 v[134:135], s[12:13], s[12:13] op_sel:[0,1]
	v_cmp_ge_i64_e32 vcc, s[0:1], v[134:135]
	v_mov_b32_e32 v131, s23
	v_add_co_u32_e64 v134, s[0:1], s22, v126
	v_addc_co_u32_e64 v135, s[0:1], v131, v253, s[0:1]
	s_cbranch_vccz .LBB176_219
; %bb.150:                              ;   in Loop: Header=BB176_149 Depth=1
	s_load_dword s0, s[10:11], 0xc
	v_accvgpr_read_b32 v131, a1
	v_accvgpr_read_b32 v136, a72
	v_mov_b32_e32 v156, 0
	s_waitcnt lgkmcnt(0)
	s_and_b32 s0, s0, 0xffff
	v_mad_u32_u24 v131, v131, s0, v136
	v_and_b32_e32 v136, 63, v131
	v_cmp_gt_u32_e32 vcc, 32, v136
	v_mov_b32_e32 v131, 0
	s_and_saveexec_b64 s[0:1], vcc
	s_cbranch_execz .LBB176_154
; %bb.151:                              ;   in Loop: Header=BB176_149 Depth=1
	v_add_co_u32_e32 v136, vcc, v134, v136
	v_addc_co_u32_e32 v137, vcc, 0, v135, vcc
	v_cmp_gt_i64_e32 vcc, s[12:13], v[136:137]
	v_mov_b32_e32 v131, 0
	s_and_saveexec_b64 s[26:27], vcc
	s_cbranch_execz .LBB176_153
; %bb.152:                              ;   in Loop: Header=BB176_149 Depth=1
	v_lshlrev_b64 v[136:137], 2, v[136:137]
	v_mov_b32_e32 v131, s21
	v_add_co_u32_e32 v136, vcc, s20, v136
	v_addc_co_u32_e32 v137, vcc, v131, v137, vcc
	global_load_dword v131, v[136:137], off
.LBB176_153:                            ;   in Loop: Header=BB176_149 Depth=1
	s_or_b64 exec, exec, s[26:27]
.LBB176_154:                            ;   in Loop: Header=BB176_149 Depth=1
	s_or_b64 exec, exec, s[0:1]
	v_cmp_gt_i64_e32 vcc, s[12:13], v[134:135]
	v_mov_b32_e32 v255, 0
	s_and_saveexec_b64 s[0:1], vcc
	s_cbranch_execz .LBB176_156
; %bb.155:                              ;   in Loop: Header=BB176_149 Depth=1
	v_add_co_u32_e32 v136, vcc, v128, v132
	v_addc_co_u32_e32 v137, vcc, v1, v133, vcc
	global_load_ushort v138, v[136:137], off
	v_add_co_u32_e32 v136, vcc, v130, v132
	v_addc_co_u32_e32 v137, vcc, v127, v133, vcc
	global_load_ushort v136, v[136:137], off
	s_waitcnt vmcnt(1)
	v_cvt_f32_f16_e32 v156, v138
	s_waitcnt vmcnt(0)
	v_cvt_f32_f16_e32 v255, v136
.LBB176_156:                            ;   in Loop: Header=BB176_149 Depth=1
	s_or_b64 exec, exec, s[0:1]
	v_add_co_u32_e32 v136, vcc, 1, v134
	v_addc_co_u32_e32 v137, vcc, 0, v135, vcc
	v_cmp_gt_i64_e32 vcc, s[12:13], v[136:137]
	v_mov_b32_e32 v158, 0
	v_mov_b32_e32 v160, 0
	v_mov_b32_e32 v162, 0
	s_and_saveexec_b64 s[0:1], vcc
	s_cbranch_execz .LBB176_158
; %bb.157:                              ;   in Loop: Header=BB176_149 Depth=1
	v_add_co_u32_e32 v136, vcc, v252, v132
	v_addc_co_u32_e32 v137, vcc, v249, v133, vcc
	global_load_ushort v138, v[136:137], off
	v_add_co_u32_e32 v136, vcc, v254, v132
	v_addc_co_u32_e32 v137, vcc, v251, v133, vcc
	global_load_ushort v136, v[136:137], off
	s_waitcnt vmcnt(1)
	v_cvt_f32_f16_e32 v160, v138
	s_waitcnt vmcnt(0)
	v_cvt_f32_f16_e32 v162, v136
.LBB176_158:                            ;   in Loop: Header=BB176_149 Depth=1
	s_or_b64 exec, exec, s[0:1]
	v_add_co_u32_e32 v136, vcc, 2, v134
	v_addc_co_u32_e32 v137, vcc, 0, v135, vcc
	v_cmp_gt_i64_e32 vcc, s[12:13], v[136:137]
	v_mov_b32_e32 v164, 0
	s_and_saveexec_b64 s[0:1], vcc
	s_cbranch_execz .LBB176_160
; %bb.159:                              ;   in Loop: Header=BB176_149 Depth=1
	v_add_co_u32_e32 v136, vcc, v248, v132
	v_addc_co_u32_e32 v137, vcc, v245, v133, vcc
	global_load_ushort v138, v[136:137], off
	v_add_co_u32_e32 v136, vcc, v250, v132
	v_addc_co_u32_e32 v137, vcc, v247, v133, vcc
	global_load_ushort v136, v[136:137], off
	s_waitcnt vmcnt(1)
	v_cvt_f32_f16_e32 v158, v138
	s_waitcnt vmcnt(0)
	v_cvt_f32_f16_e32 v164, v136
.LBB176_160:                            ;   in Loop: Header=BB176_149 Depth=1
	s_or_b64 exec, exec, s[0:1]
	v_add_co_u32_e32 v136, vcc, 3, v134
	v_addc_co_u32_e32 v137, vcc, 0, v135, vcc
	v_cmp_gt_i64_e32 vcc, s[12:13], v[136:137]
	v_mov_b32_e32 v159, 0
	v_mov_b32_e32 v161, 0
	v_mov_b32_e32 v166, 0
	s_and_saveexec_b64 s[0:1], vcc
	s_cbranch_execz .LBB176_162
; %bb.161:                              ;   in Loop: Header=BB176_149 Depth=1
	v_add_co_u32_e32 v136, vcc, v244, v132
	v_addc_co_u32_e32 v137, vcc, v241, v133, vcc
	global_load_ushort v138, v[136:137], off
	v_add_co_u32_e32 v136, vcc, v246, v132
	v_addc_co_u32_e32 v137, vcc, v243, v133, vcc
	global_load_ushort v136, v[136:137], off
	s_waitcnt vmcnt(1)
	v_cvt_f32_f16_e32 v161, v138
	s_waitcnt vmcnt(0)
	v_cvt_f32_f16_e32 v166, v136
.LBB176_162:                            ;   in Loop: Header=BB176_149 Depth=1
	s_or_b64 exec, exec, s[0:1]
	v_add_co_u32_e32 v136, vcc, 4, v134
	v_addc_co_u32_e32 v137, vcc, 0, v135, vcc
	;; [unrolled: 40-line block ×6, first 2 shown]
	v_cmp_gt_i64_e32 vcc, s[12:13], v[136:137]
	v_mov_b32_e32 v184, 0
	s_and_saveexec_b64 s[0:1], vcc
	s_cbranch_execz .LBB176_180
; %bb.179:                              ;   in Loop: Header=BB176_149 Depth=1
	v_add_co_u32_e32 v136, vcc, v208, v132
	v_addc_co_u32_e32 v137, vcc, v205, v133, vcc
	global_load_ushort v138, v[136:137], off
	v_add_co_u32_e32 v136, vcc, v210, v132
	v_addc_co_u32_e32 v137, vcc, v207, v133, vcc
	global_load_ushort v136, v[136:137], off
	s_waitcnt vmcnt(1)
	v_cvt_f32_f16_e32 v175, v138
	s_waitcnt vmcnt(0)
	v_cvt_f32_f16_e32 v184, v136
.LBB176_180:                            ;   in Loop: Header=BB176_149 Depth=1
	s_or_b64 exec, exec, s[0:1]
	v_add_co_u32_e32 v136, vcc, 13, v134
	v_addc_co_u32_e32 v137, vcc, 0, v135, vcc
	v_cmp_gt_i64_e32 vcc, s[12:13], v[136:137]
	v_mov_b32_e32 v179, 0
	v_mov_b32_e32 v181, 0
	;; [unrolled: 1-line block ×3, first 2 shown]
	s_and_saveexec_b64 s[0:1], vcc
	s_cbranch_execz .LBB176_182
; %bb.181:                              ;   in Loop: Header=BB176_149 Depth=1
	v_add_co_u32_e32 v136, vcc, v204, v132
	v_accvgpr_read_b32 v137, a73
	v_addc_co_u32_e32 v137, vcc, v137, v133, vcc
	global_load_ushort v138, v[136:137], off
	v_add_co_u32_e32 v136, vcc, v206, v132
	v_addc_co_u32_e32 v137, vcc, v203, v133, vcc
	global_load_ushort v136, v[136:137], off
	s_waitcnt vmcnt(1)
	v_cvt_f32_f16_e32 v181, v138
	s_waitcnt vmcnt(0)
	v_cvt_f32_f16_e32 v186, v136
.LBB176_182:                            ;   in Loop: Header=BB176_149 Depth=1
	s_or_b64 exec, exec, s[0:1]
	v_add_co_u32_e32 v136, vcc, 14, v134
	v_addc_co_u32_e32 v137, vcc, 0, v135, vcc
	v_cmp_gt_i64_e32 vcc, s[12:13], v[136:137]
	v_mov_b32_e32 v188, 0
	s_and_saveexec_b64 s[0:1], vcc
	s_cbranch_execz .LBB176_184
; %bb.183:                              ;   in Loop: Header=BB176_149 Depth=1
	v_accvgpr_read_b32 v136, a70
	v_add_co_u32_e32 v136, vcc, v136, v132
	v_addc_co_u32_e32 v137, vcc, v197, v133, vcc
	global_load_ushort v138, v[136:137], off
	v_add_co_u32_e32 v136, vcc, v202, v132
	v_accvgpr_read_b32 v137, a71
	v_addc_co_u32_e32 v137, vcc, v137, v133, vcc
	global_load_ushort v136, v[136:137], off
	s_waitcnt vmcnt(1)
	v_cvt_f32_f16_e32 v179, v138
	s_waitcnt vmcnt(0)
	v_cvt_f32_f16_e32 v188, v136
.LBB176_184:                            ;   in Loop: Header=BB176_149 Depth=1
	s_or_b64 exec, exec, s[0:1]
	v_add_co_u32_e32 v136, vcc, 15, v134
	v_addc_co_u32_e32 v137, vcc, 0, v135, vcc
	v_cmp_gt_i64_e32 vcc, s[12:13], v[136:137]
	v_mov_b32_e32 v183, 0
	v_mov_b32_e32 v185, 0
	v_mov_b32_e32 v190, 0
	s_and_saveexec_b64 s[0:1], vcc
	s_cbranch_execz .LBB176_186
; %bb.185:                              ;   in Loop: Header=BB176_149 Depth=1
	v_accvgpr_read_b32 v136, a66
	v_add_co_u32_e32 v136, vcc, v136, v132
	v_accvgpr_read_b32 v137, a67
	v_addc_co_u32_e32 v137, vcc, v137, v133, vcc
	global_load_ushort v138, v[136:137], off
	v_accvgpr_read_b32 v136, a68
	v_add_co_u32_e32 v136, vcc, v136, v132
	v_accvgpr_read_b32 v137, a69
	v_addc_co_u32_e32 v137, vcc, v137, v133, vcc
	global_load_ushort v136, v[136:137], off
	s_waitcnt vmcnt(1)
	v_cvt_f32_f16_e32 v185, v138
	s_waitcnt vmcnt(0)
	v_cvt_f32_f16_e32 v190, v136
.LBB176_186:                            ;   in Loop: Header=BB176_149 Depth=1
	s_or_b64 exec, exec, s[0:1]
	v_add_co_u32_e32 v136, vcc, 16, v134
	v_addc_co_u32_e32 v137, vcc, 0, v135, vcc
	v_cmp_gt_i64_e32 vcc, s[12:13], v[136:137]
	v_mov_b32_e32 v192, 0
	s_and_saveexec_b64 s[0:1], vcc
	s_cbranch_execz .LBB176_188
; %bb.187:                              ;   in Loop: Header=BB176_149 Depth=1
	v_accvgpr_read_b32 v136, a62
	v_add_co_u32_e32 v136, vcc, v136, v132
	v_accvgpr_read_b32 v137, a63
	v_addc_co_u32_e32 v137, vcc, v137, v133, vcc
	global_load_ushort v138, v[136:137], off
	v_accvgpr_read_b32 v136, a64
	v_add_co_u32_e32 v136, vcc, v136, v132
	v_accvgpr_read_b32 v137, a65
	v_addc_co_u32_e32 v137, vcc, v137, v133, vcc
	global_load_ushort v136, v[136:137], off
	s_waitcnt vmcnt(1)
	v_cvt_f32_f16_e32 v183, v138
	s_waitcnt vmcnt(0)
	v_cvt_f32_f16_e32 v192, v136
.LBB176_188:                            ;   in Loop: Header=BB176_149 Depth=1
	s_or_b64 exec, exec, s[0:1]
	v_add_co_u32_e32 v136, vcc, 17, v134
	v_addc_co_u32_e32 v137, vcc, 0, v135, vcc
	v_cmp_gt_i64_e32 vcc, s[12:13], v[136:137]
	v_mov_b32_e32 v187, 0
	v_mov_b32_e32 v189, 0
	v_mov_b32_e32 v194, 0
	s_and_saveexec_b64 s[0:1], vcc
	s_cbranch_execz .LBB176_190
; %bb.189:                              ;   in Loop: Header=BB176_149 Depth=1
	v_accvgpr_read_b32 v136, a58
	v_add_co_u32_e32 v136, vcc, v136, v132
	v_accvgpr_read_b32 v137, a59
	v_addc_co_u32_e32 v137, vcc, v137, v133, vcc
	global_load_ushort v138, v[136:137], off
	v_accvgpr_read_b32 v136, a60
	v_add_co_u32_e32 v136, vcc, v136, v132
	v_accvgpr_read_b32 v137, a61
	v_addc_co_u32_e32 v137, vcc, v137, v133, vcc
	global_load_ushort v136, v[136:137], off
	s_waitcnt vmcnt(1)
	v_cvt_f32_f16_e32 v189, v138
	s_waitcnt vmcnt(0)
	v_cvt_f32_f16_e32 v194, v136
.LBB176_190:                            ;   in Loop: Header=BB176_149 Depth=1
	s_or_b64 exec, exec, s[0:1]
	v_add_co_u32_e32 v136, vcc, 18, v134
	v_addc_co_u32_e32 v137, vcc, 0, v135, vcc
	v_cmp_gt_i64_e32 vcc, s[12:13], v[136:137]
	v_mov_b32_e32 v191, 0
	s_and_saveexec_b64 s[0:1], vcc
	s_cbranch_execz .LBB176_192
; %bb.191:                              ;   in Loop: Header=BB176_149 Depth=1
	v_accvgpr_read_b32 v136, a54
	v_add_co_u32_e32 v136, vcc, v136, v132
	v_accvgpr_read_b32 v137, a55
	v_addc_co_u32_e32 v137, vcc, v137, v133, vcc
	global_load_ushort v138, v[136:137], off
	v_accvgpr_read_b32 v136, a56
	v_add_co_u32_e32 v136, vcc, v136, v132
	v_accvgpr_read_b32 v137, a57
	v_addc_co_u32_e32 v137, vcc, v137, v133, vcc
	global_load_ushort v136, v[136:137], off
	s_waitcnt vmcnt(1)
	v_cvt_f32_f16_e32 v187, v138
	s_waitcnt vmcnt(0)
	v_cvt_f32_f16_e32 v191, v136
.LBB176_192:                            ;   in Loop: Header=BB176_149 Depth=1
	;; [unrolled: 48-line block ×8, first 2 shown]
	s_or_b64 exec, exec, s[0:1]
	v_add_co_u32_e32 v200, vcc, 31, v134
	v_addc_co_u32_e32 v201, vcc, 0, v135, vcc
	v_cmp_gt_i64_e32 vcc, s[12:13], v[200:201]
	v_mov_b32_e32 v157, 0
	s_and_saveexec_b64 s[0:1], vcc
	s_cbranch_execz .LBB176_218
; %bb.217:                              ;   in Loop: Header=BB176_149 Depth=1
	v_accvgpr_read_b32 v200, a2
	v_add_co_u32_e32 v200, vcc, v200, v132
	v_accvgpr_read_b32 v157, a3
	v_addc_co_u32_e32 v201, vcc, v157, v133, vcc
	global_load_ushort v157, v[200:201], off
	v_accvgpr_read_b32 v200, a4
	v_add_co_u32_e32 v200, vcc, v200, v132
	v_accvgpr_read_b32 v199, a5
	v_addc_co_u32_e32 v201, vcc, v199, v133, vcc
	global_load_ushort v199, v[200:201], off
	s_waitcnt vmcnt(1)
	v_cvt_f32_f16_e32 v157, v157
	s_waitcnt vmcnt(0)
	v_cvt_f32_f16_e32 v199, v199
	v_mul_f32_e32 v157, v157, v199
.LBB176_218:                            ;   in Loop: Header=BB176_149 Depth=1
	s_or_b64 exec, exec, s[0:1]
	s_waitcnt vmcnt(0)
	ds_bpermute_b32 v199, v0, v131
	v_mul_f32_e32 v156, v156, v255
	v_mul_f32_e32 v160, v160, v162
	;; [unrolled: 1-line block ×4, first 2 shown]
	s_waitcnt lgkmcnt(0)
	v_fma_f32 v156, v156, v199, v129
	ds_bpermute_b32 v199, v0, v131 offset:4
	v_pk_mul_f32 v[136:137], v[136:137], v[140:141]
	v_pk_mul_f32 v[138:139], v[138:139], v[144:145]
	s_waitcnt lgkmcnt(0)
	v_fmac_f32_e32 v156, v160, v199
	ds_bpermute_b32 v160, v0, v131 offset:8
	s_waitcnt lgkmcnt(0)
	v_fmac_f32_e32 v156, v158, v160
	ds_bpermute_b32 v158, v0, v131 offset:12
	v_mul_f32_e32 v160, v161, v166
	s_waitcnt lgkmcnt(0)
	v_fmac_f32_e32 v156, v160, v158
	ds_bpermute_b32 v158, v0, v131 offset:16
	s_waitcnt lgkmcnt(0)
	v_fmac_f32_e32 v156, v159, v158
	ds_bpermute_b32 v158, v0, v131 offset:20
	v_mul_f32_e32 v159, v165, v170
	s_waitcnt lgkmcnt(0)
	v_fmac_f32_e32 v156, v159, v158
	ds_bpermute_b32 v158, v0, v131 offset:24
	v_mul_f32_e32 v159, v163, v172
	s_waitcnt lgkmcnt(0)
	v_fmac_f32_e32 v156, v159, v158
	ds_bpermute_b32 v158, v0, v131 offset:28
	v_mul_f32_e32 v159, v169, v174
	s_waitcnt lgkmcnt(0)
	v_fmac_f32_e32 v156, v159, v158
	ds_bpermute_b32 v158, v0, v131 offset:32
	v_mul_f32_e32 v159, v167, v176
	s_waitcnt lgkmcnt(0)
	v_fmac_f32_e32 v156, v159, v158
	ds_bpermute_b32 v158, v0, v131 offset:36
	v_mul_f32_e32 v159, v173, v178
	s_waitcnt lgkmcnt(0)
	v_fmac_f32_e32 v156, v159, v158
	ds_bpermute_b32 v158, v0, v131 offset:40
	v_mul_f32_e32 v159, v171, v180
	s_waitcnt lgkmcnt(0)
	v_fmac_f32_e32 v156, v159, v158
	ds_bpermute_b32 v158, v0, v131 offset:44
	v_mul_f32_e32 v159, v177, v182
	s_waitcnt lgkmcnt(0)
	v_fmac_f32_e32 v156, v159, v158
	ds_bpermute_b32 v158, v0, v131 offset:48
	v_mul_f32_e32 v159, v175, v184
	s_waitcnt lgkmcnt(0)
	v_fmac_f32_e32 v156, v159, v158
	ds_bpermute_b32 v158, v0, v131 offset:52
	v_mul_f32_e32 v159, v181, v186
	s_waitcnt lgkmcnt(0)
	v_fmac_f32_e32 v156, v159, v158
	ds_bpermute_b32 v158, v0, v131 offset:56
	v_mul_f32_e32 v159, v179, v188
	s_waitcnt lgkmcnt(0)
	v_fmac_f32_e32 v156, v159, v158
	ds_bpermute_b32 v158, v0, v131 offset:60
	v_mul_f32_e32 v159, v185, v190
	s_waitcnt lgkmcnt(0)
	v_fmac_f32_e32 v156, v159, v158
	ds_bpermute_b32 v158, v0, v131 offset:64
	v_mul_f32_e32 v159, v183, v192
	s_waitcnt lgkmcnt(0)
	v_fmac_f32_e32 v156, v159, v158
	ds_bpermute_b32 v158, v0, v131 offset:68
	v_mul_f32_e32 v159, v189, v194
	s_waitcnt lgkmcnt(0)
	v_fmac_f32_e32 v156, v159, v158
	ds_bpermute_b32 v158, v0, v131 offset:72
	v_mul_f32_e32 v159, v187, v191
	s_waitcnt lgkmcnt(0)
	v_fmac_f32_e32 v156, v159, v158
	ds_bpermute_b32 v158, v0, v131 offset:76
	v_mul_f32_e32 v159, v196, v193
	s_waitcnt lgkmcnt(0)
	v_fmac_f32_e32 v156, v159, v158
	ds_bpermute_b32 v158, v0, v131 offset:80
	ds_bpermute_b32 v159, v0, v131 offset:84
	s_waitcnt lgkmcnt(0)
	v_pk_mul_f32 v[136:137], v[136:137], v[158:159]
	v_add_f32_e32 v136, v156, v136
	v_add_f32_e32 v140, v136, v137
	ds_bpermute_b32 v136, v0, v131 offset:88
	ds_bpermute_b32 v137, v0, v131 offset:92
	v_mul_f32_e32 v156, v198, v195
	s_waitcnt lgkmcnt(0)
	v_pk_mul_f32 v[136:137], v[138:139], v[136:137]
	v_add_f32_e32 v136, v140, v136
	v_add_f32_e32 v140, v136, v137
	ds_bpermute_b32 v136, v0, v131 offset:96
	ds_bpermute_b32 v137, v0, v131 offset:100
	v_pk_mul_f32 v[138:139], v[142:143], v[148:149]
	s_waitcnt lgkmcnt(0)
	v_pk_mul_f32 v[136:137], v[138:139], v[136:137]
	v_add_f32_e32 v136, v140, v136
	v_add_f32_e32 v140, v136, v137
	ds_bpermute_b32 v136, v0, v131 offset:104
	ds_bpermute_b32 v137, v0, v131 offset:108
	v_pk_mul_f32 v[138:139], v[146:147], v[152:153]
	;; [unrolled: 7-line block ×3, first 2 shown]
	s_waitcnt lgkmcnt(0)
	v_pk_mul_f32 v[136:137], v[138:139], v[136:137]
	v_add_f32_e32 v136, v140, v136
	v_add_f32_e32 v138, v136, v137
	ds_bpermute_b32 v136, v0, v131 offset:120
	ds_bpermute_b32 v137, v0, v131 offset:124
	s_waitcnt lgkmcnt(0)
	v_pk_mul_f32 v[136:137], v[156:157], v[136:137]
	v_add_f32_e32 v131, v138, v136
	v_add_f32_e32 v138, v131, v137
	s_branch .LBB176_225
.LBB176_219:                            ;   in Loop: Header=BB176_149 Depth=1
                                        ; implicit-def: $vgpr138
	s_cbranch_execz .LBB176_225
; %bb.220:                              ;   in Loop: Header=BB176_149 Depth=1
	s_load_dword s0, s[10:11], 0x0
	v_accvgpr_read_b32 v131, a75
	v_accvgpr_read_b32 v136, a1
	;; [unrolled: 1-line block ×3, first 2 shown]
	s_waitcnt lgkmcnt(0)
	s_cmp_lt_u32 s6, s0
	s_cselect_b32 s0, 12, 18
	s_add_u32 s0, s10, s0
	s_addc_u32 s1, s11, 0
	global_load_ushort v131, v131, s[0:1]
	s_waitcnt vmcnt(0)
	v_mad_u32_u24 v131, v136, v131, v137
	v_and_b32_e32 v136, 63, v131
	v_cmp_gt_u32_e32 vcc, 32, v136
	v_mov_b32_e32 v131, 0
	s_and_saveexec_b64 s[0:1], vcc
	s_cbranch_execz .LBB176_224
; %bb.221:                              ;   in Loop: Header=BB176_149 Depth=1
	v_add_co_u32_e32 v134, vcc, v134, v136
	v_addc_co_u32_e32 v135, vcc, 0, v135, vcc
	v_cmp_gt_i64_e32 vcc, s[12:13], v[134:135]
	v_mov_b32_e32 v131, 0
	s_and_saveexec_b64 s[26:27], vcc
	s_cbranch_execz .LBB176_223
; %bb.222:                              ;   in Loop: Header=BB176_149 Depth=1
	v_lshlrev_b64 v[134:135], 2, v[134:135]
	v_mov_b32_e32 v131, s21
	v_add_co_u32_e32 v134, vcc, s20, v134
	v_addc_co_u32_e32 v135, vcc, v131, v135, vcc
	global_load_dword v131, v[134:135], off
.LBB176_223:                            ;   in Loop: Header=BB176_149 Depth=1
	s_or_b64 exec, exec, s[26:27]
.LBB176_224:                            ;   in Loop: Header=BB176_149 Depth=1
	s_or_b64 exec, exec, s[0:1]
	v_add_co_u32_e32 v134, vcc, v128, v132
	v_addc_co_u32_e32 v135, vcc, v1, v133, vcc
	global_load_ushort v134, v[134:135], off
	s_waitcnt vmcnt(0)
	v_cvt_f32_f16_e32 v199, v134
	v_add_co_u32_e32 v134, vcc, v130, v132
	v_addc_co_u32_e32 v135, vcc, v127, v133, vcc
	global_load_ushort v134, v[134:135], off
	s_waitcnt vmcnt(0)
	v_cvt_f32_f16_e32 v139, v134
	v_add_co_u32_e32 v134, vcc, v2, v132
	v_addc_co_u32_e32 v135, vcc, v3, v133, vcc
	global_load_ushort v134, v[134:135], off
	v_add_co_u32_e32 v136, vcc, v22, v132
	v_addc_co_u32_e32 v137, vcc, v23, v133, vcc
	s_waitcnt vmcnt(0)
	v_cvt_f32_f16_e32 v200, v134
	global_load_ushort v134, v[136:137], off
	v_add_co_u32_e32 v136, vcc, v4, v132
	v_addc_co_u32_e32 v137, vcc, v5, v133, vcc
	v_add_co_u32_e32 v142, vcc, v24, v132
	v_addc_co_u32_e32 v143, vcc, v25, v133, vcc
	;; [unrolled: 2-line block ×3, first 2 shown]
	s_waitcnt vmcnt(0)
	v_cvt_f32_f16_e32 v141, v134
	global_load_ushort v134, v[136:137], off
	s_waitcnt vmcnt(0)
	v_cvt_f32_f16_e32 v198, v134
	global_load_ushort v134, v[142:143], off
	;; [unrolled: 3-line block ×3, first 2 shown]
	v_add_co_u32_e32 v144, vcc, v26, v132
	v_addc_co_u32_e32 v145, vcc, v27, v133, vcc
	v_add_co_u32_e32 v146, vcc, v8, v132
	v_addc_co_u32_e32 v147, vcc, v9, v133, vcc
	s_waitcnt vmcnt(0)
	v_cvt_f32_f16_e32 v195, v134
	global_load_ushort v134, v[144:145], off
	s_waitcnt vmcnt(0)
	v_cvt_f32_f16_e32 v145, v134
	global_load_ushort v134, v[146:147], off
	v_add_co_u32_e32 v146, vcc, v30, v132
	v_addc_co_u32_e32 v147, vcc, v31, v133, vcc
	v_add_co_u32_e32 v148, vcc, v10, v132
	v_addc_co_u32_e32 v149, vcc, v11, v133, vcc
	s_waitcnt vmcnt(0)
	v_cvt_f32_f16_e32 v138, v134
	global_load_ushort v134, v[146:147], off
	s_waitcnt vmcnt(0)
	v_cvt_f32_f16_e32 v147, v134
	global_load_ushort v134, v[148:149], off
	;; [unrolled: 10-line block ×18, first 2 shown]
	v_add_co_u32_e32 v180, vcc, v84, v132
	v_addc_co_u32_e32 v181, vcc, v85, v133, vcc
	s_waitcnt vmcnt(0)
	v_cvt_f32_f16_e32 v172, v134
	global_load_ushort v134, v[180:181], off
	v_add_co_u32_e32 v180, vcc, v86, v132
	v_addc_co_u32_e32 v181, vcc, v87, v133, vcc
	s_waitcnt vmcnt(0)
	v_cvt_f32_f16_e32 v182, v134
	global_load_ushort v134, v[180:181], off
	;; [unrolled: 5-line block ×7, first 2 shown]
	v_add_co_u32_e32 v180, vcc, v98, v132
	v_addc_co_u32_e32 v181, vcc, v99, v133, vcc
	v_add_co_u32_e32 v188, vcc, v100, v132
	v_addc_co_u32_e32 v189, vcc, v101, v133, vcc
	;; [unrolled: 2-line block ×3, first 2 shown]
	s_waitcnt vmcnt(0)
	v_cvt_f32_f16_e32 v187, v134
	global_load_ushort v134, v[180:181], off
	s_waitcnt vmcnt(0)
	v_cvt_f32_f16_e32 v180, v134
	global_load_ushort v134, v[188:189], off
	;; [unrolled: 3-line block ×3, first 2 shown]
	v_add_co_u32_e32 v190, vcc, v104, v132
	v_addc_co_u32_e32 v191, vcc, v105, v133, vcc
	v_add_co_u32_e32 v192, vcc, v106, v132
	v_addc_co_u32_e32 v193, vcc, v107, v133, vcc
	s_waitcnt vmcnt(0)
	v_cvt_f32_f16_e32 v183, v134
	global_load_ushort v134, v[190:191], off
	s_waitcnt vmcnt(0)
	v_cvt_f32_f16_e32 v190, v134
	global_load_ushort v134, v[192:193], off
	v_add_co_u32_e32 v192, vcc, v108, v132
	v_addc_co_u32_e32 v193, vcc, v109, v133, vcc
	s_waitcnt vmcnt(0)
	v_cvt_f32_f16_e32 v185, v134
	global_load_ushort v134, v[192:193], off
	v_add_co_u32_e32 v192, vcc, v110, v132
	v_addc_co_u32_e32 v193, vcc, v111, v133, vcc
	;; [unrolled: 5-line block ×6, first 2 shown]
	s_waitcnt vmcnt(0)
	v_cvt_f32_f16_e32 v196, v134
	global_load_ushort v134, v[192:193], off
	s_waitcnt vmcnt(0)
	v_cvt_f32_f16_e32 v193, v134
	v_add_co_u32_e32 v134, vcc, v120, v132
	v_addc_co_u32_e32 v135, vcc, v121, v133, vcc
	v_add_co_u32_e32 v136, vcc, v122, v132
	v_addc_co_u32_e32 v137, vcc, v123, v133, vcc
	global_load_ushort v134, v[134:135], off
	s_waitcnt vmcnt(0)
	v_cvt_f32_f16_e32 v134, v134
	global_load_ushort v135, v[136:137], off
	v_add_co_u32_e32 v136, vcc, v124, v132
	v_addc_co_u32_e32 v137, vcc, v125, v133, vcc
	v_mul_f32_e32 v134, v193, v134
	s_waitcnt vmcnt(0)
	v_cvt_f32_f16_e32 v192, v135
	global_load_ushort v135, v[136:137], off
	v_mul_f32_e32 v136, v199, v139
	s_waitcnt vmcnt(0)
	v_cvt_f32_f16_e32 v255, v135
	ds_bpermute_b32 v135, v0, v131
	s_waitcnt lgkmcnt(0)
	v_fmac_f32_e32 v129, v136, v135
	ds_bpermute_b32 v135, v0, v131 offset:4
	v_mul_f32_e32 v136, v200, v141
	s_waitcnt lgkmcnt(0)
	v_fmac_f32_e32 v129, v136, v135
	ds_bpermute_b32 v135, v0, v131 offset:8
	v_mul_f32_e32 v136, v198, v143
	;; [unrolled: 4-line block ×29, first 2 shown]
	s_waitcnt lgkmcnt(0)
	v_fmac_f32_e32 v129, v136, v135
	ds_bpermute_b32 v135, v0, v131 offset:120
	ds_bpermute_b32 v131, v0, v131 offset:124
	s_waitcnt lgkmcnt(1)
	v_fmac_f32_e32 v129, v134, v135
	v_mul_f32_e32 v134, v192, v255
	s_waitcnt lgkmcnt(0)
	v_fmac_f32_e32 v129, v134, v131
	v_mov_b32_e32 v138, v129
.LBB176_225:                            ;   in Loop: Header=BB176_149 Depth=1
	v_add_co_u32_e32 v126, vcc, s9, v126
	v_mov_b32_e32 v129, s7
	v_addc_co_u32_e32 v253, vcc, v253, v129, vcc
	v_add_co_u32_e32 v2, vcc, s16, v2
	v_mov_b32_e32 v129, s17
	v_addc_co_u32_e32 v3, vcc, v3, v129, vcc
	v_add_co_u32_e32 v4, vcc, s16, v4
	v_addc_co_u32_e32 v5, vcc, v5, v129, vcc
	v_add_co_u32_e32 v6, vcc, s16, v6
	;; [unrolled: 2-line block ×63, first 2 shown]
	v_addc_co_u32_e32 v127, vcc, v127, v129, vcc
	v_accvgpr_read_b32 v134, a2
	v_add_co_u32_e32 v134, vcc, s16, v134
	v_accvgpr_read_b32 v131, a3
	v_accvgpr_write_b32 a2, v134
	v_addc_co_u32_e32 v131, vcc, v131, v129, vcc
	v_accvgpr_read_b32 v134, a4
	v_accvgpr_write_b32 a3, v131
	v_add_co_u32_e32 v134, vcc, s16, v134
	v_accvgpr_read_b32 v131, a5
	v_accvgpr_write_b32 a4, v134
	v_addc_co_u32_e32 v131, vcc, v131, v129, vcc
	v_accvgpr_read_b32 v134, a6
	v_accvgpr_write_b32 a5, v131
	;; [unrolled: 6-line block ×33, first 2 shown]
	v_add_co_u32_e32 v134, vcc, s16, v134
	v_accvgpr_read_b32 v131, a69
	v_accvgpr_write_b32 a68, v134
	v_addc_co_u32_e32 v131, vcc, v131, v129, vcc
	v_accvgpr_read_b32 v134, a70
	v_add_co_u32_e32 v134, vcc, s16, v134
	v_addc_co_u32_e32 v197, vcc, v197, v129, vcc
	v_accvgpr_write_b32 a69, v131
	v_add_co_u32_e32 v202, vcc, s16, v202
	v_accvgpr_read_b32 v131, a71
	v_addc_co_u32_e32 v131, vcc, v131, v129, vcc
	v_accvgpr_write_b32 a71, v131
	v_add_co_u32_e32 v204, vcc, s16, v204
	v_accvgpr_read_b32 v131, a73
	v_addc_co_u32_e32 v131, vcc, v131, v129, vcc
	v_add_co_u32_e32 v206, vcc, s16, v206
	v_addc_co_u32_e32 v203, vcc, v203, v129, vcc
	v_add_co_u32_e32 v208, vcc, s16, v208
	;; [unrolled: 2-line block ×24, first 2 shown]
	v_addc_co_u32_e32 v249, vcc, v249, v129, vcc
	s_add_u32 s24, s24, s9
	v_add_co_u32_e32 v254, vcc, s16, v254
	s_addc_u32 s25, s25, 0
	v_accvgpr_write_b32 a70, v134
	v_addc_co_u32_e32 v251, vcc, v251, v129, vcc
	v_pk_mov_b32 v[134:135], s[12:13], s[12:13] op_sel:[0,1]
	s_add_u32 s18, s18, s9
	v_cmp_ge_i64_e32 vcc, s[24:25], v[134:135]
	s_addc_u32 s19, s19, 0
	s_cbranch_vccnz .LBB176_227
; %bb.226:                              ;   in Loop: Header=BB176_149 Depth=1
	v_accvgpr_write_b32 a73, v131
	v_mov_b32_e32 v129, v138
	s_branch .LBB176_149
.LBB176_227:
	v_accvgpr_read_b32 v253, a0
.LBB176_228:
	s_mov_b32 s7, 0
	s_lshl_b64 s[0:1], s[6:7], 5
	v_and_b32_e32 v0, 0x3ff, v253
	v_or_b32_e32 v2, s0, v0
	v_mov_b32_e32 v3, s1
	s_waitcnt lgkmcnt(0)
	s_cmp_lg_u64 s[2:3], 0
	v_cmp_gt_i64_e32 vcc, s[14:15], v[2:3]
	s_cselect_b64 s[0:1], -1, 0
	s_and_b64 s[0:1], vcc, s[0:1]
	s_and_saveexec_b64 s[6:7], s[0:1]
	s_cbranch_execz .LBB176_230
; %bb.229:
	s_load_dword s0, s[4:5], 0x4c
	v_bfe_u32 v0, v253, 10, 10
	v_mov_b32_e32 v1, 0
	v_mov_b32_e32 v4, s8
	s_waitcnt lgkmcnt(0)
	s_lshr_b32 s0, s0, 16
	v_mad_u64_u32 v[0:1], s[0:1], s0, v4, v[0:1]
	v_mul_lo_u32 v5, v1, s14
	v_mul_lo_u32 v6, v0, s15
	v_mad_u64_u32 v[0:1], s[0:1], v0, s14, 0
	v_add3_u32 v1, v1, v6, v5
	v_lshlrev_b64 v[0:1], 1, v[0:1]
	v_cvt_f16_f32_e32 v4, v138
	v_mov_b32_e32 v5, s3
	v_add_co_u32_e32 v6, vcc, s2, v0
	v_addc_co_u32_e32 v5, vcc, v5, v1, vcc
	v_lshlrev_b64 v[0:1], 1, v[2:3]
	v_add_co_u32_e32 v0, vcc, v6, v0
	v_addc_co_u32_e32 v1, vcc, v5, v1, vcc
	global_store_short v[0:1], v4, off
.LBB176_230:
	s_endpgm
	.section	.rodata,"a",@progbits
	.p2align	6, 0x0
	.amdhsa_kernel _ZN2at6native12_GLOBAL__N_135GammaBetaBackwardCUDAKernelTemplateIN3c104HalfEfLj32ELj1ELj32ELb1ELb0ELb1EEEvllPKT_S7_PKT0_SA_PS5_SB_
		.amdhsa_group_segment_fixed_size 0
		.amdhsa_private_segment_fixed_size 0
		.amdhsa_kernarg_size 320
		.amdhsa_user_sgpr_count 6
		.amdhsa_user_sgpr_private_segment_buffer 1
		.amdhsa_user_sgpr_dispatch_ptr 0
		.amdhsa_user_sgpr_queue_ptr 0
		.amdhsa_user_sgpr_kernarg_segment_ptr 1
		.amdhsa_user_sgpr_dispatch_id 0
		.amdhsa_user_sgpr_flat_scratch_init 0
		.amdhsa_user_sgpr_kernarg_preload_length 0
		.amdhsa_user_sgpr_kernarg_preload_offset 0
		.amdhsa_user_sgpr_private_segment_size 0
		.amdhsa_uses_dynamic_stack 0
		.amdhsa_system_sgpr_private_segment_wavefront_offset 0
		.amdhsa_system_sgpr_workgroup_id_x 1
		.amdhsa_system_sgpr_workgroup_id_y 1
		.amdhsa_system_sgpr_workgroup_id_z 0
		.amdhsa_system_sgpr_workgroup_info 0
		.amdhsa_system_vgpr_workitem_id 1
		.amdhsa_next_free_vgpr 332
		.amdhsa_next_free_sgpr 36
		.amdhsa_accum_offset 256
		.amdhsa_reserve_vcc 1
		.amdhsa_reserve_flat_scratch 0
		.amdhsa_float_round_mode_32 0
		.amdhsa_float_round_mode_16_64 0
		.amdhsa_float_denorm_mode_32 3
		.amdhsa_float_denorm_mode_16_64 3
		.amdhsa_dx10_clamp 1
		.amdhsa_ieee_mode 1
		.amdhsa_fp16_overflow 0
		.amdhsa_tg_split 0
		.amdhsa_exception_fp_ieee_invalid_op 0
		.amdhsa_exception_fp_denorm_src 0
		.amdhsa_exception_fp_ieee_div_zero 0
		.amdhsa_exception_fp_ieee_overflow 0
		.amdhsa_exception_fp_ieee_underflow 0
		.amdhsa_exception_fp_ieee_inexact 0
		.amdhsa_exception_int_div_zero 0
	.end_amdhsa_kernel
	.section	.text._ZN2at6native12_GLOBAL__N_135GammaBetaBackwardCUDAKernelTemplateIN3c104HalfEfLj32ELj1ELj32ELb1ELb0ELb1EEEvllPKT_S7_PKT0_SA_PS5_SB_,"axG",@progbits,_ZN2at6native12_GLOBAL__N_135GammaBetaBackwardCUDAKernelTemplateIN3c104HalfEfLj32ELj1ELj32ELb1ELb0ELb1EEEvllPKT_S7_PKT0_SA_PS5_SB_,comdat
.Lfunc_end176:
	.size	_ZN2at6native12_GLOBAL__N_135GammaBetaBackwardCUDAKernelTemplateIN3c104HalfEfLj32ELj1ELj32ELb1ELb0ELb1EEEvllPKT_S7_PKT0_SA_PS5_SB_, .Lfunc_end176-_ZN2at6native12_GLOBAL__N_135GammaBetaBackwardCUDAKernelTemplateIN3c104HalfEfLj32ELj1ELj32ELb1ELb0ELb1EEEvllPKT_S7_PKT0_SA_PS5_SB_
                                        ; -- End function
	.section	.AMDGPU.csdata,"",@progbits
; Kernel info:
; codeLenInByte = 23136
; NumSgprs: 40
; NumVgprs: 256
; NumAgprs: 76
; TotalNumVgprs: 332
; ScratchSize: 0
; MemoryBound: 0
; FloatMode: 240
; IeeeMode: 1
; LDSByteSize: 0 bytes/workgroup (compile time only)
; SGPRBlocks: 4
; VGPRBlocks: 41
; NumSGPRsForWavesPerEU: 40
; NumVGPRsForWavesPerEU: 332
; AccumOffset: 256
; Occupancy: 1
; WaveLimiterHint : 0
; COMPUTE_PGM_RSRC2:SCRATCH_EN: 0
; COMPUTE_PGM_RSRC2:USER_SGPR: 6
; COMPUTE_PGM_RSRC2:TRAP_HANDLER: 0
; COMPUTE_PGM_RSRC2:TGID_X_EN: 1
; COMPUTE_PGM_RSRC2:TGID_Y_EN: 1
; COMPUTE_PGM_RSRC2:TGID_Z_EN: 0
; COMPUTE_PGM_RSRC2:TIDIG_COMP_CNT: 1
; COMPUTE_PGM_RSRC3_GFX90A:ACCUM_OFFSET: 63
; COMPUTE_PGM_RSRC3_GFX90A:TG_SPLIT: 0
	.section	.text._ZN2at6native12_GLOBAL__N_135GammaBetaBackwardCUDAKernelTemplateIN3c104HalfEfLj32ELj1ELj8ELb1ELb1ELb1EEEvllPKT_S7_PKT0_SA_PS5_SB_,"axG",@progbits,_ZN2at6native12_GLOBAL__N_135GammaBetaBackwardCUDAKernelTemplateIN3c104HalfEfLj32ELj1ELj8ELb1ELb1ELb1EEEvllPKT_S7_PKT0_SA_PS5_SB_,comdat
	.globl	_ZN2at6native12_GLOBAL__N_135GammaBetaBackwardCUDAKernelTemplateIN3c104HalfEfLj32ELj1ELj8ELb1ELb1ELb1EEEvllPKT_S7_PKT0_SA_PS5_SB_ ; -- Begin function _ZN2at6native12_GLOBAL__N_135GammaBetaBackwardCUDAKernelTemplateIN3c104HalfEfLj32ELj1ELj8ELb1ELb1ELb1EEEvllPKT_S7_PKT0_SA_PS5_SB_
	.p2align	8
	.type	_ZN2at6native12_GLOBAL__N_135GammaBetaBackwardCUDAKernelTemplateIN3c104HalfEfLj32ELj1ELj8ELb1ELb1ELb1EEEvllPKT_S7_PKT0_SA_PS5_SB_,@function
_ZN2at6native12_GLOBAL__N_135GammaBetaBackwardCUDAKernelTemplateIN3c104HalfEfLj32ELj1ELj8ELb1ELb1ELb1EEEvllPKT_S7_PKT0_SA_PS5_SB_: ; @_ZN2at6native12_GLOBAL__N_135GammaBetaBackwardCUDAKernelTemplateIN3c104HalfEfLj32ELj1ELj8ELb1ELb1ELb1EEEvllPKT_S7_PKT0_SA_PS5_SB_
; %bb.0:
	s_load_dwordx4 s[8:11], s[4:5], 0x0
	s_load_dwordx2 s[16:17], s[4:5], 0x30
	s_lshl_b32 s18, s7, 3
	s_mov_b32 s19, 0
	s_mov_b32 s2, s7
	s_waitcnt lgkmcnt(0)
	v_pk_mov_b32 v[2:3], s[8:9], s[8:9] op_sel:[0,1]
	v_cmp_ge_i64_e32 vcc, s[18:19], v[2:3]
	v_mov_b32_e32 v1, 0
	v_bfe_u32 v2, v0, 10, 10
	s_cbranch_vccnz .LBB177_8
; %bb.1:
	s_load_dword s0, s[4:5], 0x4c
	s_load_dword s3, s[4:5], 0x44
	s_load_dwordx4 s[12:15], s[4:5], 0x10
	s_load_dwordx2 s[22:23], s[4:5], 0x28
	v_and_b32_e32 v1, 0x3ff, v0
	s_waitcnt lgkmcnt(0)
	s_and_b32 s0, s0, 0xffff
	v_mad_u32_u24 v3, v2, s0, v1
	v_lshl_or_b32 v4, s6, 5, v1
	v_mbcnt_lo_u32_b32 v1, -1, 0
	v_mbcnt_hi_u32_b32 v1, -1, v1
	v_lshlrev_b32_e32 v7, 3, v2
	v_lshlrev_b32_e32 v1, 2, v1
	v_and_b32_e32 v6, 63, v3
	v_and_b32_e32 v3, 0x100, v1
	v_mov_b32_e32 v1, s19
	v_add_co_u32_e32 v10, vcc, s18, v7
	v_addc_co_u32_e32 v1, vcc, 0, v1, vcc
	v_cmp_gt_u32_e64 s[0:1], 8, v6
	v_add_co_u32_e32 v6, vcc, v10, v6
	v_addc_co_u32_e32 v7, vcc, 0, v1, vcc
	v_lshlrev_b64 v[8:9], 2, v[6:7]
	v_mov_b32_e32 v11, s23
	v_add_co_u32_e32 v8, vcc, s22, v8
	s_lshl_b32 s20, s3, 3
	v_addc_co_u32_e32 v9, vcc, v11, v9, vcc
	v_mul_lo_u32 v19, s11, v10
	v_mul_lo_u32 v1, s10, v1
	v_mad_u64_u32 v[10:11], s[24:25], s10, v10, 0
	v_mov_b32_e32 v5, 0
	v_add3_u32 v11, v11, v1, v19
	s_mul_i32 s3, s11, s20
	s_mul_hi_u32 s7, s10, s20
	s_mov_b32 s21, s19
	v_lshlrev_b64 v[10:11], 1, v[10:11]
	v_lshlrev_b64 v[20:21], 1, v[4:5]
	s_add_i32 s25, s7, s3
	s_mul_i32 s24, s10, s20
	s_lshl_b64 s[22:23], s[20:21], 2
	v_add_co_u32_e32 v4, vcc, v10, v20
	s_lshl_b64 s[24:25], s[24:25], 1
	s_lshl_b64 s[26:27], s[10:11], 1
	v_or_b32_e32 v12, 4, v3
	v_or_b32_e32 v13, 8, v3
	;; [unrolled: 1-line block ×7, first 2 shown]
	v_addc_co_u32_e32 v1, vcc, v11, v21, vcc
	v_mov_b32_e32 v19, s13
	v_mov_b32_e32 v20, s15
	;; [unrolled: 1-line block ×6, first 2 shown]
	v_pk_mov_b32 v[10:11], s[8:9], s[8:9] op_sel:[0,1]
	s_branch .LBB177_4
.LBB177_2:                              ;   in Loop: Header=BB177_4 Depth=1
	s_or_b64 exec, exec, s[30:31]
.LBB177_3:                              ;   in Loop: Header=BB177_4 Depth=1
	s_or_b64 exec, exec, s[28:29]
	v_add_co_u32_e32 v26, vcc, s12, v4
	v_addc_co_u32_e32 v27, vcc, v19, v1, vcc
	v_add_co_u32_e32 v28, vcc, s14, v4
	v_addc_co_u32_e32 v29, vcc, v20, v1, vcc
	global_load_ushort v30, v[26:27], off
	v_add_co_u32_e32 v26, vcc, s26, v26
	v_addc_co_u32_e32 v27, vcc, v27, v21, vcc
	global_load_ushort v31, v[28:29], off
	;; [unrolled: 3-line block ×11, first 2 shown]
	global_load_ushort v41, v[28:29], off
	v_add_co_u32_e32 v26, vcc, s26, v26
	v_addc_co_u32_e32 v27, vcc, v27, v21, vcc
	v_add_co_u32_e32 v28, vcc, s26, v28
	v_addc_co_u32_e32 v29, vcc, v29, v21, vcc
	global_load_ushort v43, v[28:29], off
	global_load_ushort v42, v[26:27], off
	v_add_co_u32_e32 v26, vcc, s26, v26
	v_addc_co_u32_e32 v27, vcc, v27, v21, vcc
	global_load_ushort v44, v[26:27], off
	v_add_co_u32_e32 v26, vcc, s26, v28
	v_addc_co_u32_e32 v27, vcc, v29, v21, vcc
	;; [unrolled: 3-line block ×3, first 2 shown]
	v_add_co_u32_e32 v6, vcc, s20, v6
	v_addc_co_u32_e32 v7, vcc, v7, v23, vcc
	s_waitcnt vmcnt(15)
	v_cvt_f32_f16_e32 v27, v30
	s_add_u32 s18, s18, s20
	v_add_co_u32_e32 v4, vcc, s24, v4
	s_addc_u32 s19, s19, 0
	s_waitcnt vmcnt(14)
	v_cvt_f32_f16_e32 v28, v31
	v_addc_co_u32_e32 v1, vcc, v1, v24, vcc
	v_cmp_lt_i64_e32 vcc, s[18:19], v[10:11]
	v_mul_f32_e32 v27, v27, v28
	s_waitcnt vmcnt(13)
	v_cvt_f32_f16_e32 v29, v32
	s_and_b64 vcc, exec, vcc
	s_waitcnt vmcnt(12)
	v_cvt_f32_f16_e32 v30, v33
	v_mul_f32_e32 v28, v29, v30
	s_waitcnt vmcnt(11)
	v_cvt_f32_f16_e32 v31, v34
	s_waitcnt vmcnt(10)
	v_cvt_f32_f16_e32 v32, v35
	v_mul_f32_e32 v29, v31, v32
	s_waitcnt vmcnt(9)
	v_cvt_f32_f16_e32 v33, v36
	s_waitcnt vmcnt(8)
	v_cvt_f32_f16_e32 v34, v37
	;; [unrolled: 2-line block ×6, first 2 shown]
	ds_bpermute_b32 v41, v3, v25
	s_waitcnt lgkmcnt(0)
	v_fmac_f32_e32 v5, v27, v41
	ds_bpermute_b32 v27, v13, v25
	s_waitcnt vmcnt(3)
	v_cvt_f32_f16_e32 v40, v43
	ds_bpermute_b32 v43, v12, v25
	s_waitcnt vmcnt(2)
	v_cvt_f32_f16_e32 v39, v42
	s_waitcnt lgkmcnt(0)
	v_fmac_f32_e32 v5, v28, v43
	ds_bpermute_b32 v28, v14, v25
	v_fmac_f32_e32 v5, v29, v27
	ds_bpermute_b32 v27, v15, v25
	v_mul_f32_e32 v29, v33, v34
	s_waitcnt vmcnt(1)
	v_cvt_f32_f16_e32 v42, v44
	s_waitcnt lgkmcnt(1)
	v_fmac_f32_e32 v5, v29, v28
	v_mul_f32_e32 v28, v35, v36
	ds_bpermute_b32 v29, v16, v25
	s_waitcnt lgkmcnt(1)
	v_fmac_f32_e32 v5, v28, v27
	ds_bpermute_b32 v27, v17, v25
	s_waitcnt vmcnt(0)
	v_cvt_f32_f16_e32 v26, v26
	ds_bpermute_b32 v25, v18, v25
	v_mul_f32_e32 v28, v37, v38
	s_waitcnt lgkmcnt(2)
	v_fmac_f32_e32 v5, v28, v29
	v_mul_f32_e32 v28, v39, v40
	s_waitcnt lgkmcnt(1)
	v_fmac_f32_e32 v5, v28, v27
	;; [unrolled: 3-line block ×3, first 2 shown]
	s_cbranch_vccz .LBB177_7
.LBB177_4:                              ; =>This Inner Loop Header: Depth=1
	v_mov_b32_e32 v25, 0
	s_and_saveexec_b64 s[28:29], s[0:1]
	s_cbranch_execz .LBB177_3
; %bb.5:                                ;   in Loop: Header=BB177_4 Depth=1
	v_cmp_gt_i64_e32 vcc, s[8:9], v[6:7]
	v_mov_b32_e32 v25, 0
	s_and_saveexec_b64 s[30:31], vcc
	s_cbranch_execz .LBB177_2
; %bb.6:                                ;   in Loop: Header=BB177_4 Depth=1
	global_load_dword v25, v[8:9], off
	s_branch .LBB177_2
.LBB177_7:
	v_cvt_f16_f32_e32 v1, v5
.LBB177_8:
	s_cmp_eq_u64 s[16:17], 0
	s_cbranch_scc1 .LBB177_10
; %bb.9:
	s_load_dword s0, s[4:5], 0x4c
	v_mov_b32_e32 v3, 0
	v_mov_b32_e32 v4, s2
	s_mov_b32 s7, 0
	v_and_b32_e32 v0, 0x3ff, v0
	s_waitcnt lgkmcnt(0)
	s_lshr_b32 s0, s0, 16
	v_mad_u64_u32 v[2:3], s[0:1], s0, v4, v[2:3]
	v_mul_lo_u32 v4, v3, s10
	v_mul_lo_u32 v5, v2, s11
	v_mad_u64_u32 v[2:3], s[0:1], v2, s10, 0
	s_lshl_b64 s[0:1], s[6:7], 6
	v_add3_u32 v3, v3, v5, v4
	s_add_u32 s0, s0, s16
	v_lshlrev_b64 v[2:3], 1, v[2:3]
	s_addc_u32 s1, s1, s17
	v_mov_b32_e32 v4, s1
	v_add_co_u32_e32 v2, vcc, s0, v2
	v_addc_co_u32_e32 v3, vcc, v4, v3, vcc
	v_lshlrev_b32_e32 v0, 1, v0
	v_add_co_u32_e32 v2, vcc, v2, v0
	v_addc_co_u32_e32 v3, vcc, 0, v3, vcc
	global_store_short v[2:3], v1, off
.LBB177_10:
	s_endpgm
	.section	.rodata,"a",@progbits
	.p2align	6, 0x0
	.amdhsa_kernel _ZN2at6native12_GLOBAL__N_135GammaBetaBackwardCUDAKernelTemplateIN3c104HalfEfLj32ELj1ELj8ELb1ELb1ELb1EEEvllPKT_S7_PKT0_SA_PS5_SB_
		.amdhsa_group_segment_fixed_size 0
		.amdhsa_private_segment_fixed_size 0
		.amdhsa_kernarg_size 320
		.amdhsa_user_sgpr_count 6
		.amdhsa_user_sgpr_private_segment_buffer 1
		.amdhsa_user_sgpr_dispatch_ptr 0
		.amdhsa_user_sgpr_queue_ptr 0
		.amdhsa_user_sgpr_kernarg_segment_ptr 1
		.amdhsa_user_sgpr_dispatch_id 0
		.amdhsa_user_sgpr_flat_scratch_init 0
		.amdhsa_user_sgpr_kernarg_preload_length 0
		.amdhsa_user_sgpr_kernarg_preload_offset 0
		.amdhsa_user_sgpr_private_segment_size 0
		.amdhsa_uses_dynamic_stack 0
		.amdhsa_system_sgpr_private_segment_wavefront_offset 0
		.amdhsa_system_sgpr_workgroup_id_x 1
		.amdhsa_system_sgpr_workgroup_id_y 1
		.amdhsa_system_sgpr_workgroup_id_z 0
		.amdhsa_system_sgpr_workgroup_info 0
		.amdhsa_system_vgpr_workitem_id 1
		.amdhsa_next_free_vgpr 45
		.amdhsa_next_free_sgpr 32
		.amdhsa_accum_offset 48
		.amdhsa_reserve_vcc 1
		.amdhsa_reserve_flat_scratch 0
		.amdhsa_float_round_mode_32 0
		.amdhsa_float_round_mode_16_64 0
		.amdhsa_float_denorm_mode_32 3
		.amdhsa_float_denorm_mode_16_64 3
		.amdhsa_dx10_clamp 1
		.amdhsa_ieee_mode 1
		.amdhsa_fp16_overflow 0
		.amdhsa_tg_split 0
		.amdhsa_exception_fp_ieee_invalid_op 0
		.amdhsa_exception_fp_denorm_src 0
		.amdhsa_exception_fp_ieee_div_zero 0
		.amdhsa_exception_fp_ieee_overflow 0
		.amdhsa_exception_fp_ieee_underflow 0
		.amdhsa_exception_fp_ieee_inexact 0
		.amdhsa_exception_int_div_zero 0
	.end_amdhsa_kernel
	.section	.text._ZN2at6native12_GLOBAL__N_135GammaBetaBackwardCUDAKernelTemplateIN3c104HalfEfLj32ELj1ELj8ELb1ELb1ELb1EEEvllPKT_S7_PKT0_SA_PS5_SB_,"axG",@progbits,_ZN2at6native12_GLOBAL__N_135GammaBetaBackwardCUDAKernelTemplateIN3c104HalfEfLj32ELj1ELj8ELb1ELb1ELb1EEEvllPKT_S7_PKT0_SA_PS5_SB_,comdat
.Lfunc_end177:
	.size	_ZN2at6native12_GLOBAL__N_135GammaBetaBackwardCUDAKernelTemplateIN3c104HalfEfLj32ELj1ELj8ELb1ELb1ELb1EEEvllPKT_S7_PKT0_SA_PS5_SB_, .Lfunc_end177-_ZN2at6native12_GLOBAL__N_135GammaBetaBackwardCUDAKernelTemplateIN3c104HalfEfLj32ELj1ELj8ELb1ELb1ELb1EEEvllPKT_S7_PKT0_SA_PS5_SB_
                                        ; -- End function
	.section	.AMDGPU.csdata,"",@progbits
; Kernel info:
; codeLenInByte = 1148
; NumSgprs: 36
; NumVgprs: 45
; NumAgprs: 0
; TotalNumVgprs: 45
; ScratchSize: 0
; MemoryBound: 0
; FloatMode: 240
; IeeeMode: 1
; LDSByteSize: 0 bytes/workgroup (compile time only)
; SGPRBlocks: 4
; VGPRBlocks: 5
; NumSGPRsForWavesPerEU: 36
; NumVGPRsForWavesPerEU: 45
; AccumOffset: 48
; Occupancy: 8
; WaveLimiterHint : 0
; COMPUTE_PGM_RSRC2:SCRATCH_EN: 0
; COMPUTE_PGM_RSRC2:USER_SGPR: 6
; COMPUTE_PGM_RSRC2:TRAP_HANDLER: 0
; COMPUTE_PGM_RSRC2:TGID_X_EN: 1
; COMPUTE_PGM_RSRC2:TGID_Y_EN: 1
; COMPUTE_PGM_RSRC2:TGID_Z_EN: 0
; COMPUTE_PGM_RSRC2:TIDIG_COMP_CNT: 1
; COMPUTE_PGM_RSRC3_GFX90A:ACCUM_OFFSET: 11
; COMPUTE_PGM_RSRC3_GFX90A:TG_SPLIT: 0
	.section	.text._ZN2at6native12_GLOBAL__N_135GammaBetaBackwardCUDAKernelTemplateIN3c104HalfEfLj32ELj1ELj8ELb1ELb0ELb1EEEvllPKT_S7_PKT0_SA_PS5_SB_,"axG",@progbits,_ZN2at6native12_GLOBAL__N_135GammaBetaBackwardCUDAKernelTemplateIN3c104HalfEfLj32ELj1ELj8ELb1ELb0ELb1EEEvllPKT_S7_PKT0_SA_PS5_SB_,comdat
	.globl	_ZN2at6native12_GLOBAL__N_135GammaBetaBackwardCUDAKernelTemplateIN3c104HalfEfLj32ELj1ELj8ELb1ELb0ELb1EEEvllPKT_S7_PKT0_SA_PS5_SB_ ; -- Begin function _ZN2at6native12_GLOBAL__N_135GammaBetaBackwardCUDAKernelTemplateIN3c104HalfEfLj32ELj1ELj8ELb1ELb0ELb1EEEvllPKT_S7_PKT0_SA_PS5_SB_
	.p2align	8
	.type	_ZN2at6native12_GLOBAL__N_135GammaBetaBackwardCUDAKernelTemplateIN3c104HalfEfLj32ELj1ELj8ELb1ELb0ELb1EEEvllPKT_S7_PKT0_SA_PS5_SB_,@function
_ZN2at6native12_GLOBAL__N_135GammaBetaBackwardCUDAKernelTemplateIN3c104HalfEfLj32ELj1ELj8ELb1ELb0ELb1EEEvllPKT_S7_PKT0_SA_PS5_SB_: ; @_ZN2at6native12_GLOBAL__N_135GammaBetaBackwardCUDAKernelTemplateIN3c104HalfEfLj32ELj1ELj8ELb1ELb0ELb1EEEvllPKT_S7_PKT0_SA_PS5_SB_
; %bb.0:
	s_load_dwordx8 s[12:19], s[4:5], 0x0
	s_load_dwordx2 s[28:29], s[4:5], 0x28
	s_mov_b32 s8, s7
	s_lshl_b32 s7, s6, 5
	s_or_b32 s30, s7, 31
	s_mov_b32 s31, 0
	s_waitcnt lgkmcnt(0)
	v_pk_mov_b32 v[2:3], s[14:15], s[14:15] op_sel:[0,1]
	v_cmp_ge_i64_e32 vcc, s[30:31], v[2:3]
	s_lshl_b32 s30, s8, 3
	v_pk_mov_b32 v[2:3], s[12:13], s[12:13] op_sel:[0,1]
	v_cmp_lt_i64_e64 s[0:1], s[30:31], v[2:3]
	v_cndmask_b32_e64 v1, 0, 1, s[0:1]
	v_cmp_ne_u32_e64 s[0:1], 1, v1
	s_cbranch_vccz .LBB178_49
; %bb.1:
	s_and_b64 vcc, exec, s[0:1]
	v_mov_b32_e32 v4, 0
	s_cbranch_vccnz .LBB178_50
; %bb.2:
	v_and_b32_e32 v61, 0x3ff, v0
	v_bfe_u32 v64, v0, 10, 10
	v_add_u32_e32 v2, s7, v61
	v_mov_b32_e32 v3, 0
	v_lshlrev_b32_e32 v26, 3, v64
	v_cmp_gt_i64_e64 s[2:3], s[14:15], v[2:3]
	v_lshlrev_b64 v[28:29], 1, v[2:3]
	v_mov_b32_e32 v2, s31
	v_add_co_u32_e32 v6, vcc, s30, v26
	v_addc_co_u32_e32 v2, vcc, 0, v2, vcc
	v_add_co_u32_e32 v4, vcc, 7, v6
	v_addc_co_u32_e32 v5, vcc, 0, v2, vcc
	v_mul_lo_u32 v7, s15, v4
	v_mul_lo_u32 v8, s14, v5
	v_mad_u64_u32 v[4:5], s[10:11], s14, v4, 0
	s_load_dword s9, s[4:5], 0x44
	v_add3_u32 v5, v5, v8, v7
	v_lshlrev_b64 v[4:5], 1, v[4:5]
	v_mov_b32_e32 v7, s17
	v_add_co_u32_e32 v30, vcc, s16, v4
	v_addc_co_u32_e32 v27, vcc, v7, v5, vcc
	s_add_u32 s34, s4, 64
	v_mov_b32_e32 v8, s19
	v_add_co_u32_e32 v32, vcc, s18, v4
	s_addc_u32 s35, s5, 0
	s_waitcnt lgkmcnt(0)
	s_lshl_b32 s9, s9, 3
	v_addc_co_u32_e32 v31, vcc, v8, v5, vcc
	s_mul_i32 s10, s15, s9
	s_mul_hi_u32 s11, s14, s9
	v_add_co_u32_e32 v4, vcc, 6, v6
	s_add_i32 s11, s11, s10
	s_mul_i32 s10, s14, s9
	v_addc_co_u32_e32 v5, vcc, 0, v2, vcc
	s_lshl_b64 s[38:39], s[10:11], 1
	v_mul_lo_u32 v9, s15, v4
	v_mul_lo_u32 v10, s14, v5
	v_mad_u64_u32 v[4:5], s[10:11], s14, v4, 0
	v_add3_u32 v5, v5, v10, v9
	v_lshlrev_b64 v[4:5], 1, v[4:5]
	v_add_co_u32_e32 v34, vcc, s16, v4
	v_addc_co_u32_e32 v33, vcc, v7, v5, vcc
	v_add_co_u32_e32 v36, vcc, s18, v4
	v_addc_co_u32_e32 v35, vcc, v8, v5, vcc
	v_add_co_u32_e32 v4, vcc, 5, v6
	v_addc_co_u32_e32 v5, vcc, 0, v2, vcc
	v_mul_lo_u32 v9, s15, v4
	v_mul_lo_u32 v10, s14, v5
	v_mad_u64_u32 v[4:5], s[10:11], s14, v4, 0
	v_add3_u32 v5, v5, v10, v9
	v_lshlrev_b64 v[4:5], 1, v[4:5]
	v_add_co_u32_e32 v38, vcc, s16, v4
	v_addc_co_u32_e32 v37, vcc, v7, v5, vcc
	v_add_co_u32_e32 v40, vcc, s18, v4
	v_addc_co_u32_e32 v39, vcc, v8, v5, vcc
	v_add_co_u32_e32 v4, vcc, 4, v6
	v_addc_co_u32_e32 v5, vcc, 0, v2, vcc
	;; [unrolled: 11-line block ×4, first 2 shown]
	v_mul_lo_u32 v9, s15, v4
	v_mul_lo_u32 v10, s14, v5
	v_mad_u64_u32 v[4:5], s[10:11], s14, v4, 0
	v_add3_u32 v5, v5, v10, v9
	v_lshlrev_b64 v[4:5], 1, v[4:5]
	v_add_co_u32_e32 v50, vcc, s16, v4
	v_addc_co_u32_e32 v49, vcc, v7, v5, vcc
	v_add_co_u32_e32 v52, vcc, s18, v4
	v_addc_co_u32_e32 v51, vcc, v8, v5, vcc
	v_pk_mov_b32 v[4:5], s[14:15], s[14:15] op_sel:[0,1]
	v_mad_u64_u32 v[4:5], s[10:11], s14, v6, v[4:5]
	v_mul_lo_u32 v2, s14, v2
	v_mul_lo_u32 v9, s15, v6
	v_add3_u32 v5, v9, v5, v2
	v_lshlrev_b64 v[4:5], 1, v[4:5]
	v_add_co_u32_e32 v54, vcc, s16, v4
	v_addc_co_u32_e32 v53, vcc, v7, v5, vcc
	v_add_co_u32_e32 v56, vcc, s18, v4
	v_addc_co_u32_e32 v55, vcc, v8, v5, vcc
	v_mad_u64_u32 v[4:5], s[10:11], s14, v6, 0
	v_add3_u32 v5, v5, v2, v9
	v_lshlrev_b64 v[4:5], 1, v[4:5]
	v_add_co_u32_e32 v58, vcc, s16, v4
	v_mbcnt_lo_u32_b32 v2, -1, 0
	v_addc_co_u32_e32 v57, vcc, v7, v5, vcc
	v_mbcnt_hi_u32_b32 v2, -1, v2
	s_mov_b32 s20, 0
	v_add_co_u32_e32 v60, vcc, s18, v4
	v_lshlrev_b32_e32 v2, 2, v2
	v_mov_b32_e32 v1, v3
	s_mov_b32 s33, s20
	s_mov_b64 s[36:37], 7
	v_addc_co_u32_e32 v59, vcc, v8, v5, vcc
	v_and_b32_e32 v65, 0x100, v2
	s_mov_b64 s[40:41], s[30:31]
	v_mov_b32_e32 v66, 0
.LBB178_3:                              ; =>This Inner Loop Header: Depth=1
	s_add_u32 s10, s30, s36
	s_addc_u32 s11, 0, s37
	v_pk_mov_b32 v[4:5], s[12:13], s[12:13] op_sel:[0,1]
	v_cmp_ge_i64_e32 vcc, s[10:11], v[4:5]
	v_mov_b32_e32 v2, s31
	v_add_co_u32_e64 v62, s[10:11], s30, v26
	v_addc_co_u32_e64 v63, s[10:11], v2, v1, s[10:11]
	s_cbranch_vccz .LBB178_25
; %bb.4:                                ;   in Loop: Header=BB178_3 Depth=1
	s_load_dword s10, s[34:35], 0xc
	v_mov_b32_e32 v67, 0
	s_waitcnt lgkmcnt(0)
	s_and_b32 s10, s10, 0xffff
	v_mad_u32_u24 v2, v64, s10, v61
	v_and_b32_e32 v2, 63, v2
	v_cmp_gt_u32_e32 vcc, 8, v2
	s_and_saveexec_b64 s[10:11], vcc
	s_cbranch_execz .LBB178_8
; %bb.5:                                ;   in Loop: Header=BB178_3 Depth=1
	v_add_co_u32_e32 v4, vcc, v62, v2
	v_addc_co_u32_e32 v5, vcc, 0, v63, vcc
	v_cmp_gt_i64_e32 vcc, s[12:13], v[4:5]
	v_mov_b32_e32 v67, 0
	s_and_saveexec_b64 s[22:23], vcc
	s_cbranch_execz .LBB178_7
; %bb.6:                                ;   in Loop: Header=BB178_3 Depth=1
	v_lshlrev_b64 v[4:5], 2, v[4:5]
	v_mov_b32_e32 v2, s29
	v_add_co_u32_e32 v4, vcc, s28, v4
	v_addc_co_u32_e32 v5, vcc, v2, v5, vcc
	global_load_dword v67, v[4:5], off
.LBB178_7:                              ;   in Loop: Header=BB178_3 Depth=1
	s_or_b64 exec, exec, s[22:23]
.LBB178_8:                              ;   in Loop: Header=BB178_3 Depth=1
	s_or_b64 exec, exec, s[10:11]
	s_mov_b32 s21, s20
	s_mov_b32 s22, s20
	;; [unrolled: 1-line block ×7, first 2 shown]
	v_pk_mov_b32 v[10:11], s[20:21], s[20:21] op_sel:[0,1]
	v_pk_mov_b32 v[16:17], s[26:27], s[26:27] op_sel:[0,1]
	v_cmp_gt_i64_e32 vcc, s[12:13], v[62:63]
	v_pk_mov_b32 v[12:13], s[22:23], s[22:23] op_sel:[0,1]
	v_pk_mov_b32 v[14:15], s[24:25], s[24:25] op_sel:[0,1]
	;; [unrolled: 1-line block ×3, first 2 shown]
	s_and_b64 s[42:43], s[2:3], vcc
	v_pk_mov_b32 v[22:23], v[14:15], v[14:15] op_sel:[0,1]
	v_pk_mov_b32 v[20:21], v[12:13], v[12:13] op_sel:[0,1]
	;; [unrolled: 1-line block ×3, first 2 shown]
	s_and_saveexec_b64 s[10:11], s[42:43]
	s_cbranch_execz .LBB178_10
; %bb.9:                                ;   in Loop: Header=BB178_3 Depth=1
	v_add_co_u32_e32 v4, vcc, v58, v28
	v_addc_co_u32_e32 v5, vcc, v57, v29, vcc
	global_load_ushort v2, v[4:5], off
	v_add_co_u32_e32 v4, vcc, v60, v28
	v_addc_co_u32_e32 v5, vcc, v59, v29, vcc
	global_load_ushort v10, v[4:5], off
	v_mov_b32_e32 v8, v3
	v_mov_b32_e32 v9, v3
	;; [unrolled: 1-line block ×13, first 2 shown]
	s_waitcnt vmcnt(1)
	v_cvt_f32_f16_e32 v2, v2
	v_pk_mov_b32 v[24:25], v[8:9], v[8:9] op_sel:[0,1]
	v_pk_mov_b32 v[22:23], v[6:7], v[6:7] op_sel:[0,1]
	;; [unrolled: 1-line block ×4, first 2 shown]
	s_waitcnt vmcnt(0)
	v_cvt_f32_f16_e32 v10, v10
.LBB178_10:                             ;   in Loop: Header=BB178_3 Depth=1
	s_or_b64 exec, exec, s[10:11]
	v_add_co_u32_e32 v4, vcc, 1, v62
	v_addc_co_u32_e32 v5, vcc, 0, v63, vcc
	v_cmp_gt_i64_e32 vcc, s[12:13], v[4:5]
	s_and_b64 s[22:23], s[2:3], vcc
	s_and_saveexec_b64 s[10:11], s[22:23]
	s_cbranch_execz .LBB178_12
; %bb.11:                               ;   in Loop: Header=BB178_3 Depth=1
	v_add_co_u32_e32 v4, vcc, v54, v28
	v_addc_co_u32_e32 v5, vcc, v53, v29, vcc
	global_load_ushort v2, v[4:5], off
	v_add_co_u32_e32 v4, vcc, v56, v28
	v_addc_co_u32_e32 v5, vcc, v55, v29, vcc
	global_load_ushort v4, v[4:5], off
	s_waitcnt vmcnt(1)
	v_cvt_f32_f16_e32 v19, v2
	s_waitcnt vmcnt(0)
	v_cvt_f32_f16_e32 v11, v4
.LBB178_12:                             ;   in Loop: Header=BB178_3 Depth=1
	s_or_b64 exec, exec, s[10:11]
	v_add_co_u32_e32 v4, vcc, 2, v62
	v_addc_co_u32_e32 v5, vcc, 0, v63, vcc
	v_cmp_gt_i64_e32 vcc, s[12:13], v[4:5]
	s_and_b64 s[22:23], s[2:3], vcc
	s_and_saveexec_b64 s[10:11], s[22:23]
	s_cbranch_execz .LBB178_14
; %bb.13:                               ;   in Loop: Header=BB178_3 Depth=1
	v_add_co_u32_e32 v4, vcc, v50, v28
	v_addc_co_u32_e32 v5, vcc, v49, v29, vcc
	global_load_ushort v2, v[4:5], off
	v_add_co_u32_e32 v4, vcc, v52, v28
	v_addc_co_u32_e32 v5, vcc, v51, v29, vcc
	global_load_ushort v4, v[4:5], off
	s_waitcnt vmcnt(1)
	v_cvt_f32_f16_e32 v20, v2
	s_waitcnt vmcnt(0)
	v_cvt_f32_f16_e32 v12, v4
.LBB178_14:                             ;   in Loop: Header=BB178_3 Depth=1
	;; [unrolled: 19-line block ×7, first 2 shown]
	s_or_b64 exec, exec, s[10:11]
	s_waitcnt vmcnt(0)
	ds_bpermute_b32 v4, v65, v67 offset:4
	ds_bpermute_b32 v5, v65, v67 offset:8
	ds_bpermute_b32 v2, v65, v67
	v_mul_f32_e32 v8, v10, v18
	v_pk_mul_f32 v[10:11], v[10:11], v[18:19]
	v_pk_mul_f32 v[12:13], v[12:13], v[20:21]
	v_mov_b32_e32 v10, v11
	v_mov_b32_e32 v11, v12
	s_waitcnt lgkmcnt(1)
	v_pk_mul_f32 v[4:5], v[10:11], v[4:5]
	ds_bpermute_b32 v10, v65, v67 offset:12
	ds_bpermute_b32 v11, v65, v67 offset:16
	s_waitcnt lgkmcnt(2)
	v_fma_f32 v2, v8, v2, v66
	v_pk_mul_f32 v[8:9], v[14:15], v[22:23]
	v_add_f32_e32 v2, v2, v4
	v_add_f32_e32 v2, v2, v5
	v_mov_b32_e32 v4, v13
	v_mov_b32_e32 v5, v8
	s_waitcnt lgkmcnt(0)
	v_pk_mul_f32 v[4:5], v[4:5], v[10:11]
	ds_bpermute_b32 v10, v65, v67 offset:20
	ds_bpermute_b32 v11, v65, v67 offset:24
	v_pk_mul_f32 v[6:7], v[16:17], v[24:25]
	v_add_f32_e32 v2, v2, v4
	v_add_f32_e32 v7, v2, v5
	ds_bpermute_b32 v2, v65, v67 offset:28
	v_mov_b32_e32 v4, v9
	v_mov_b32_e32 v5, v6
	s_waitcnt lgkmcnt(1)
	v_pk_mul_f32 v[4:5], v[4:5], v[10:11]
	v_add_f32_e32 v4, v7, v4
	v_add_f32_e32 v4, v4, v5
	s_branch .LBB178_40
.LBB178_25:                             ;   in Loop: Header=BB178_3 Depth=1
                                        ; implicit-def: $vgpr4
                                        ; implicit-def: $vgpr10_vgpr11_vgpr12_vgpr13_vgpr14_vgpr15_vgpr16_vgpr17
                                        ; implicit-def: $vgpr18_vgpr19_vgpr20_vgpr21_vgpr22_vgpr23_vgpr24_vgpr25
                                        ; implicit-def: $vgpr2
	s_cbranch_execz .LBB178_40
; %bb.26:                               ;   in Loop: Header=BB178_3 Depth=1
	s_load_dword s10, s[34:35], 0x0
	v_mov_b32_e32 v67, 0
	s_waitcnt lgkmcnt(0)
	s_cmp_lt_u32 s6, s10
	s_cselect_b32 s10, 12, 18
	s_add_u32 s10, s34, s10
	s_addc_u32 s11, s35, 0
	global_load_ushort v2, v3, s[10:11]
	s_waitcnt vmcnt(0)
	v_mad_u32_u24 v2, v64, v2, v61
	v_and_b32_e32 v2, 63, v2
	v_cmp_gt_u32_e32 vcc, 8, v2
	s_and_saveexec_b64 s[10:11], vcc
	s_cbranch_execz .LBB178_30
; %bb.27:                               ;   in Loop: Header=BB178_3 Depth=1
	v_add_co_u32_e32 v4, vcc, v62, v2
	v_addc_co_u32_e32 v5, vcc, 0, v63, vcc
	v_cmp_gt_i64_e32 vcc, s[12:13], v[4:5]
	v_mov_b32_e32 v67, 0
	s_and_saveexec_b64 s[22:23], vcc
	s_cbranch_execz .LBB178_29
; %bb.28:                               ;   in Loop: Header=BB178_3 Depth=1
	v_lshlrev_b64 v[4:5], 2, v[4:5]
	v_mov_b32_e32 v2, s29
	v_add_co_u32_e32 v4, vcc, s28, v4
	v_addc_co_u32_e32 v5, vcc, v2, v5, vcc
	global_load_dword v67, v[4:5], off
.LBB178_29:                             ;   in Loop: Header=BB178_3 Depth=1
	s_or_b64 exec, exec, s[22:23]
.LBB178_30:                             ;   in Loop: Header=BB178_3 Depth=1
	s_or_b64 exec, exec, s[10:11]
	s_mov_b32 s21, s20
	s_mov_b32 s22, s20
	;; [unrolled: 1-line block ×7, first 2 shown]
	v_pk_mov_b32 v[10:11], s[20:21], s[20:21] op_sel:[0,1]
	v_pk_mov_b32 v[16:17], s[26:27], s[26:27] op_sel:[0,1]
	;; [unrolled: 1-line block ×8, first 2 shown]
	s_and_saveexec_b64 s[10:11], s[2:3]
	s_cbranch_execnz .LBB178_42
; %bb.31:                               ;   in Loop: Header=BB178_3 Depth=1
	s_or_b64 exec, exec, s[10:11]
	s_and_saveexec_b64 s[10:11], s[2:3]
	s_cbranch_execnz .LBB178_43
.LBB178_32:                             ;   in Loop: Header=BB178_3 Depth=1
	s_or_b64 exec, exec, s[10:11]
	s_and_saveexec_b64 s[10:11], s[2:3]
	s_cbranch_execnz .LBB178_44
.LBB178_33:                             ;   in Loop: Header=BB178_3 Depth=1
	s_or_b64 exec, exec, s[10:11]
	s_and_saveexec_b64 s[10:11], s[2:3]
	s_cbranch_execnz .LBB178_45
.LBB178_34:                             ;   in Loop: Header=BB178_3 Depth=1
	s_or_b64 exec, exec, s[10:11]
	s_and_saveexec_b64 s[10:11], s[2:3]
	s_cbranch_execnz .LBB178_46
.LBB178_35:                             ;   in Loop: Header=BB178_3 Depth=1
	s_or_b64 exec, exec, s[10:11]
	s_and_saveexec_b64 s[10:11], s[2:3]
	s_cbranch_execnz .LBB178_47
.LBB178_36:                             ;   in Loop: Header=BB178_3 Depth=1
	s_or_b64 exec, exec, s[10:11]
	s_and_saveexec_b64 s[10:11], s[2:3]
	s_cbranch_execnz .LBB178_48
.LBB178_37:                             ;   in Loop: Header=BB178_3 Depth=1
	s_or_b64 exec, exec, s[10:11]
	s_and_saveexec_b64 s[10:11], s[2:3]
	s_cbranch_execz .LBB178_39
.LBB178_38:                             ;   in Loop: Header=BB178_3 Depth=1
	v_add_co_u32_e32 v4, vcc, v30, v28
	v_addc_co_u32_e32 v5, vcc, v27, v29, vcc
	global_load_ushort v2, v[4:5], off
	v_add_co_u32_e32 v4, vcc, v32, v28
	v_addc_co_u32_e32 v5, vcc, v31, v29, vcc
	global_load_ushort v4, v[4:5], off
	s_waitcnt vmcnt(1)
	v_cvt_f32_f16_e32 v25, v2
	s_waitcnt vmcnt(0)
	v_cvt_f32_f16_e32 v17, v4
.LBB178_39:                             ;   in Loop: Header=BB178_3 Depth=1
	s_or_b64 exec, exec, s[10:11]
	s_waitcnt vmcnt(0)
	ds_bpermute_b32 v4, v65, v67 offset:4
	ds_bpermute_b32 v5, v65, v67 offset:8
	ds_bpermute_b32 v2, v65, v67
	v_mul_f32_e32 v8, v10, v18
	v_pk_mul_f32 v[10:11], v[10:11], v[18:19]
	v_pk_mul_f32 v[12:13], v[12:13], v[20:21]
	v_mov_b32_e32 v10, v11
	v_mov_b32_e32 v11, v12
	s_waitcnt lgkmcnt(1)
	v_pk_mul_f32 v[4:5], v[10:11], v[4:5]
	ds_bpermute_b32 v10, v65, v67 offset:12
	ds_bpermute_b32 v11, v65, v67 offset:16
	s_waitcnt lgkmcnt(2)
	v_fmac_f32_e32 v66, v8, v2
	v_pk_mul_f32 v[8:9], v[14:15], v[22:23]
	v_add_f32_e32 v2, v66, v4
	v_add_f32_e32 v2, v2, v5
	v_mov_b32_e32 v4, v13
	v_mov_b32_e32 v5, v8
	s_waitcnt lgkmcnt(0)
	v_pk_mul_f32 v[4:5], v[4:5], v[10:11]
	ds_bpermute_b32 v10, v65, v67 offset:20
	ds_bpermute_b32 v11, v65, v67 offset:24
	v_pk_mul_f32 v[6:7], v[16:17], v[24:25]
	v_add_f32_e32 v2, v2, v4
	v_add_f32_e32 v7, v2, v5
	v_mov_b32_e32 v4, v9
	v_mov_b32_e32 v5, v6
	s_waitcnt lgkmcnt(0)
	v_pk_mul_f32 v[4:5], v[4:5], v[10:11]
	v_add_f32_e32 v4, v7, v4
	ds_bpermute_b32 v2, v65, v67 offset:28
	v_add_f32_e32 v4, v4, v5
.LBB178_40:                             ;   in Loop: Header=BB178_3 Depth=1
	v_mul_f32_e32 v5, v25, v17
	s_waitcnt lgkmcnt(0)
	v_fmac_f32_e32 v4, v5, v2
	v_mov_b32_e32 v2, s39
	v_add_co_u32_e32 v30, vcc, s38, v30
	v_addc_co_u32_e32 v27, vcc, v27, v2, vcc
	v_add_co_u32_e32 v32, vcc, s38, v32
	v_addc_co_u32_e32 v31, vcc, v31, v2, vcc
	;; [unrolled: 2-line block ×14, first 2 shown]
	v_mov_b32_e32 v5, s33
	v_add_co_u32_e32 v26, vcc, s9, v26
	v_addc_co_u32_e32 v1, vcc, v1, v5, vcc
	v_add_co_u32_e32 v58, vcc, s38, v58
	v_addc_co_u32_e32 v57, vcc, v57, v2, vcc
	s_add_u32 s40, s40, s9
	v_add_co_u32_e32 v60, vcc, s38, v60
	s_addc_u32 s41, s41, 0
	v_addc_co_u32_e32 v59, vcc, v59, v2, vcc
	v_pk_mov_b32 v[6:7], s[12:13], s[12:13] op_sel:[0,1]
	s_add_u32 s36, s36, s9
	v_cmp_lt_i64_e32 vcc, s[40:41], v[6:7]
	s_addc_u32 s37, s37, 0
	s_cbranch_vccz .LBB178_50
; %bb.41:                               ;   in Loop: Header=BB178_3 Depth=1
	v_mov_b32_e32 v66, v4
	s_branch .LBB178_3
.LBB178_42:                             ;   in Loop: Header=BB178_3 Depth=1
	v_add_co_u32_e32 v4, vcc, v58, v28
	v_addc_co_u32_e32 v5, vcc, v57, v29, vcc
	global_load_ushort v2, v[4:5], off
	v_add_co_u32_e32 v4, vcc, v60, v28
	v_addc_co_u32_e32 v5, vcc, v59, v29, vcc
	global_load_ushort v10, v[4:5], off
	v_mov_b32_e32 v8, v3
	v_mov_b32_e32 v9, v3
	;; [unrolled: 1-line block ×13, first 2 shown]
	s_waitcnt vmcnt(1)
	v_cvt_f32_f16_e32 v2, v2
	v_pk_mov_b32 v[24:25], v[8:9], v[8:9] op_sel:[0,1]
	v_pk_mov_b32 v[22:23], v[6:7], v[6:7] op_sel:[0,1]
	;; [unrolled: 1-line block ×4, first 2 shown]
	s_waitcnt vmcnt(0)
	v_cvt_f32_f16_e32 v10, v10
	s_or_b64 exec, exec, s[10:11]
	s_and_saveexec_b64 s[10:11], s[2:3]
	s_cbranch_execz .LBB178_32
.LBB178_43:                             ;   in Loop: Header=BB178_3 Depth=1
	v_add_co_u32_e32 v4, vcc, v54, v28
	v_addc_co_u32_e32 v5, vcc, v53, v29, vcc
	global_load_ushort v2, v[4:5], off
	v_add_co_u32_e32 v4, vcc, v56, v28
	v_addc_co_u32_e32 v5, vcc, v55, v29, vcc
	global_load_ushort v4, v[4:5], off
	s_waitcnt vmcnt(1)
	v_cvt_f32_f16_e32 v19, v2
	s_waitcnt vmcnt(0)
	v_cvt_f32_f16_e32 v11, v4
	s_or_b64 exec, exec, s[10:11]
	s_and_saveexec_b64 s[10:11], s[2:3]
	s_cbranch_execz .LBB178_33
.LBB178_44:                             ;   in Loop: Header=BB178_3 Depth=1
	v_add_co_u32_e32 v4, vcc, v50, v28
	v_addc_co_u32_e32 v5, vcc, v49, v29, vcc
	global_load_ushort v2, v[4:5], off
	v_add_co_u32_e32 v4, vcc, v52, v28
	v_addc_co_u32_e32 v5, vcc, v51, v29, vcc
	global_load_ushort v4, v[4:5], off
	s_waitcnt vmcnt(1)
	v_cvt_f32_f16_e32 v20, v2
	s_waitcnt vmcnt(0)
	v_cvt_f32_f16_e32 v12, v4
	s_or_b64 exec, exec, s[10:11]
	s_and_saveexec_b64 s[10:11], s[2:3]
	s_cbranch_execz .LBB178_34
.LBB178_45:                             ;   in Loop: Header=BB178_3 Depth=1
	v_add_co_u32_e32 v4, vcc, v46, v28
	v_addc_co_u32_e32 v5, vcc, v45, v29, vcc
	global_load_ushort v2, v[4:5], off
	v_add_co_u32_e32 v4, vcc, v48, v28
	v_addc_co_u32_e32 v5, vcc, v47, v29, vcc
	global_load_ushort v4, v[4:5], off
	s_waitcnt vmcnt(1)
	v_cvt_f32_f16_e32 v21, v2
	s_waitcnt vmcnt(0)
	v_cvt_f32_f16_e32 v13, v4
	s_or_b64 exec, exec, s[10:11]
	s_and_saveexec_b64 s[10:11], s[2:3]
	s_cbranch_execz .LBB178_35
.LBB178_46:                             ;   in Loop: Header=BB178_3 Depth=1
	v_add_co_u32_e32 v4, vcc, v42, v28
	v_addc_co_u32_e32 v5, vcc, v41, v29, vcc
	global_load_ushort v2, v[4:5], off
	v_add_co_u32_e32 v4, vcc, v44, v28
	v_addc_co_u32_e32 v5, vcc, v43, v29, vcc
	global_load_ushort v4, v[4:5], off
	s_waitcnt vmcnt(1)
	v_cvt_f32_f16_e32 v22, v2
	s_waitcnt vmcnt(0)
	v_cvt_f32_f16_e32 v14, v4
	s_or_b64 exec, exec, s[10:11]
	s_and_saveexec_b64 s[10:11], s[2:3]
	s_cbranch_execz .LBB178_36
.LBB178_47:                             ;   in Loop: Header=BB178_3 Depth=1
	v_add_co_u32_e32 v4, vcc, v38, v28
	v_addc_co_u32_e32 v5, vcc, v37, v29, vcc
	global_load_ushort v2, v[4:5], off
	v_add_co_u32_e32 v4, vcc, v40, v28
	v_addc_co_u32_e32 v5, vcc, v39, v29, vcc
	global_load_ushort v4, v[4:5], off
	s_waitcnt vmcnt(1)
	v_cvt_f32_f16_e32 v23, v2
	s_waitcnt vmcnt(0)
	v_cvt_f32_f16_e32 v15, v4
	s_or_b64 exec, exec, s[10:11]
	s_and_saveexec_b64 s[10:11], s[2:3]
	s_cbranch_execz .LBB178_37
.LBB178_48:                             ;   in Loop: Header=BB178_3 Depth=1
	v_add_co_u32_e32 v4, vcc, v34, v28
	v_addc_co_u32_e32 v5, vcc, v33, v29, vcc
	global_load_ushort v2, v[4:5], off
	v_add_co_u32_e32 v4, vcc, v36, v28
	v_addc_co_u32_e32 v5, vcc, v35, v29, vcc
	global_load_ushort v4, v[4:5], off
	s_waitcnt vmcnt(1)
	v_cvt_f32_f16_e32 v24, v2
	s_waitcnt vmcnt(0)
	v_cvt_f32_f16_e32 v16, v4
	s_or_b64 exec, exec, s[10:11]
	s_and_saveexec_b64 s[10:11], s[2:3]
	s_cbranch_execnz .LBB178_38
	s_branch .LBB178_39
.LBB178_49:
                                        ; implicit-def: $vgpr4
	s_load_dwordx2 s[2:3], s[4:5], 0x30
	s_branch .LBB178_51
.LBB178_50:
	s_load_dwordx2 s[2:3], s[4:5], 0x30
	s_cbranch_execnz .LBB178_83
.LBB178_51:
	s_and_b64 vcc, exec, s[0:1]
	v_mov_b32_e32 v4, 0
	s_cbranch_vccnz .LBB178_83
; %bb.52:
	v_bfe_u32 v87, v0, 10, 10
	s_add_u32 s10, s4, 64
	s_addc_u32 s11, s5, 0
	v_lshlrev_b32_e32 v1, 4, v87
	s_lshl_b64 s[0:1], s[30:31], 1
	v_mov_b32_e32 v2, s1
	v_add_co_u32_e32 v1, vcc, s0, v1
	v_addc_co_u32_e32 v4, vcc, 0, v2, vcc
	v_add_co_u32_e32 v6, vcc, 2, v1
	v_addc_co_u32_e32 v5, vcc, 0, v4, vcc
	v_add_co_u32_e32 v9, vcc, 4, v1
	v_mul_lo_u32 v7, s14, v5
	v_addc_co_u32_e32 v5, vcc, 0, v4, vcc
	v_add_co_u32_e32 v12, vcc, 6, v1
	v_mul_lo_u32 v10, s14, v5
	;; [unrolled: 3-line block ×5, first 2 shown]
	v_addc_co_u32_e32 v5, vcc, 0, v4, vcc
	v_add_co_u32_e32 v24, vcc, 14, v1
	v_lshlrev_b32_e32 v26, 3, v87
	v_addc_co_u32_e32 v1, vcc, 0, v4, vcc
	v_mul_lo_u32 v25, s14, v1
	v_mov_b32_e32 v1, s31
	v_add_co_u32_e32 v43, vcc, s30, v26
	v_pk_mov_b32 v[2:3], s[16:17], s[16:17] op_sel:[0,1]
	v_addc_co_u32_e32 v59, vcc, 0, v1, vcc
	v_mad_u64_u32 v[28:29], s[0:1], s14, v6, v[2:3]
	v_mad_u64_u32 v[30:31], s[0:1], s14, v9, v[2:3]
	;; [unrolled: 1-line block ×7, first 2 shown]
	v_mul_lo_u32 v60, s15, v43
	v_mul_lo_u32 v61, s14, v59
	v_mad_u64_u32 v[2:3], s[0:1], s14, v43, 0
	v_add3_u32 v3, v3, v61, v60
	v_lshlrev_b64 v[2:3], 1, v[2:3]
	v_mul_lo_u32 v22, s14, v5
	v_mov_b32_e32 v81, s17
	v_add_co_u32_e32 v42, vcc, s16, v2
	v_pk_mov_b32 v[4:5], s[18:19], s[18:19] op_sel:[0,1]
	v_mul_lo_u32 v17, s15, v15
	v_addc_co_u32_e32 v1, vcc, v81, v3, vcc
	v_mad_u64_u32 v[50:51], s[0:1], s14, v15, v[4:5]
	v_add3_u32 v35, v17, v35, v16
	v_mul_lo_u32 v27, s15, v24
	v_add3_u32 v51, v17, v51, v16
	v_mad_u64_u32 v[56:57], s[0:1], s14, v24, v[4:5]
	v_mov_b32_e32 v16, s19
	v_add_co_u32_e32 v58, vcc, s18, v2
	v_add3_u32 v41, v27, v41, v25
	v_add3_u32 v57, v27, v57, v25
	v_addc_co_u32_e32 v27, vcc, v16, v3, vcc
	v_add_co_u32_e32 v2, vcc, 7, v43
	v_addc_co_u32_e32 v3, vcc, 0, v59, vcc
	v_mad_u64_u32 v[44:45], s[0:1], s14, v6, v[4:5]
	v_mad_u64_u32 v[46:47], s[0:1], s14, v9, v[4:5]
	;; [unrolled: 1-line block ×5, first 2 shown]
	v_mul_lo_u32 v4, s15, v2
	v_mul_lo_u32 v5, s14, v3
	v_mad_u64_u32 v[2:3], s[0:1], s14, v2, 0
	v_add3_u32 v3, v3, v5, v4
	v_add_co_u32_e32 v4, vcc, 6, v43
	v_mul_lo_u32 v8, s15, v6
	v_addc_co_u32_e32 v5, vcc, 0, v59, vcc
	v_add3_u32 v29, v8, v29, v7
	v_add3_u32 v45, v8, v45, v7
	v_mul_lo_u32 v6, s15, v4
	v_mul_lo_u32 v7, s14, v5
	v_mad_u64_u32 v[4:5], s[0:1], s14, v4, 0
	v_add3_u32 v5, v5, v7, v6
	v_add_co_u32_e32 v6, vcc, 5, v43
	v_addc_co_u32_e32 v7, vcc, 0, v59, vcc
	v_mul_lo_u32 v11, s15, v9
	v_mul_lo_u32 v8, s15, v6
	;; [unrolled: 1-line block ×3, first 2 shown]
	v_mad_u64_u32 v[6:7], s[0:1], s14, v6, 0
	v_add3_u32 v7, v7, v9, v8
	v_add_co_u32_e32 v8, vcc, 4, v43
	v_addc_co_u32_e32 v9, vcc, 0, v59, vcc
	v_add3_u32 v31, v11, v31, v10
	v_add3_u32 v47, v11, v47, v10
	v_mul_lo_u32 v10, s15, v8
	v_mul_lo_u32 v11, s14, v9
	v_mad_u64_u32 v[8:9], s[0:1], s14, v8, 0
	v_add3_u32 v9, v9, v11, v10
	v_add_co_u32_e32 v10, vcc, 3, v43
	v_mul_lo_u32 v14, s15, v12
	v_addc_co_u32_e32 v11, vcc, 0, v59, vcc
	v_add3_u32 v33, v14, v33, v13
	v_add3_u32 v49, v14, v49, v13
	v_mul_lo_u32 v12, s15, v10
	v_mul_lo_u32 v13, s14, v11
	v_mad_u64_u32 v[10:11], s[0:1], s14, v10, 0
	v_add3_u32 v11, v11, v13, v12
	v_add_co_u32_e32 v12, vcc, 2, v43
	v_addc_co_u32_e32 v13, vcc, 0, v59, vcc
	v_mul_lo_u32 v14, s15, v12
	v_mul_lo_u32 v15, s14, v13
	v_mad_u64_u32 v[12:13], s[0:1], s14, v12, 0
	v_add3_u32 v13, v13, v15, v14
	v_pk_mov_b32 v[14:15], s[14:15], s[14:15] op_sel:[0,1]
	v_lshlrev_b64 v[2:3], 1, v[2:3]
	v_mad_u64_u32 v[14:15], s[0:1], s14, v43, v[14:15]
	v_add3_u32 v15, v60, v15, v61
	v_add_co_u32_e32 v60, vcc, s16, v2
	v_addc_co_u32_e32 v43, vcc, v81, v3, vcc
	v_add_co_u32_e32 v62, vcc, s18, v2
	v_addc_co_u32_e32 v59, vcc, v16, v3, vcc
	v_lshlrev_b64 v[2:3], 1, v[4:5]
	v_add_co_u32_e32 v64, vcc, s16, v2
	v_addc_co_u32_e32 v61, vcc, v81, v3, vcc
	v_add_co_u32_e32 v66, vcc, s18, v2
	v_addc_co_u32_e32 v63, vcc, v16, v3, vcc
	v_lshlrev_b64 v[2:3], 1, v[6:7]
	;; [unrolled: 5-line block ×5, first 2 shown]
	v_add_co_u32_e32 v80, vcc, s16, v2
	v_addc_co_u32_e32 v77, vcc, v81, v3, vcc
	s_load_dword s0, s[4:5], 0x44
	v_add_co_u32_e32 v82, vcc, s18, v2
	v_addc_co_u32_e32 v79, vcc, v16, v3, vcc
	v_lshlrev_b64 v[2:3], 1, v[14:15]
	v_add_co_u32_e32 v84, vcc, s16, v2
	v_addc_co_u32_e32 v81, vcc, v81, v3, vcc
	v_and_b32_e32 v92, 0x3ff, v0
	v_add_co_u32_e32 v86, vcc, s18, v2
	v_add_u32_e32 v2, s7, v92
	s_waitcnt lgkmcnt(0)
	s_lshl_b32 s7, s0, 3
	v_mbcnt_lo_u32_b32 v4, -1, 0
	s_mul_i32 s0, s15, s7
	s_mul_hi_u32 s1, s14, s7
	v_mbcnt_hi_u32_b32 v4, -1, v4
	v_mul_lo_u32 v20, s15, v18
	v_mul_lo_u32 v23, s15, v21
	v_addc_co_u32_e32 v83, vcc, v16, v3, vcc
	s_mov_b32 s16, 0
	v_mov_b32_e32 v3, 0
	s_add_i32 s1, s1, s0
	s_mul_i32 s0, s14, s7
	v_lshlrev_b32_e32 v4, 2, v4
	v_add3_u32 v37, v20, v37, v19
	v_add3_u32 v39, v23, v39, v22
	;; [unrolled: 1-line block ×4, first 2 shown]
	s_mov_b32 s9, s16
	s_lshl_b64 s[24:25], s[0:1], 1
	s_mov_b64 s[26:27], 7
	v_and_b32_e32 v93, 0x100, v4
	s_mov_b64 s[34:35], s[30:31]
	v_mov_b32_e32 v94, 0
	v_mov_b32_e32 v85, v3
	v_lshlrev_b64 v[88:89], 1, v[2:3]
.LBB178_53:                             ; =>This Inner Loop Header: Depth=1
	s_add_u32 s0, s30, s26
	s_addc_u32 s1, 0, s27
	v_pk_mov_b32 v[4:5], s[12:13], s[12:13] op_sel:[0,1]
	v_cmp_ge_i64_e32 vcc, s[0:1], v[4:5]
	v_mov_b32_e32 v2, s31
	v_add_co_u32_e64 v90, s[0:1], s30, v26
	v_addc_co_u32_e64 v91, s[0:1], v2, v85, s[0:1]
	s_cbranch_vccz .LBB178_75
; %bb.54:                               ;   in Loop: Header=BB178_53 Depth=1
	s_load_dword s0, s[10:11], 0xc
	v_mov_b32_e32 v95, 0
	s_waitcnt lgkmcnt(0)
	s_and_b32 s0, s0, 0xffff
	v_mad_u32_u24 v2, v87, s0, v92
	v_and_b32_e32 v2, 63, v2
	v_cmp_gt_u32_e32 vcc, 8, v2
	s_and_saveexec_b64 s[0:1], vcc
	s_cbranch_execz .LBB178_58
; %bb.55:                               ;   in Loop: Header=BB178_53 Depth=1
	v_add_co_u32_e32 v4, vcc, v90, v2
	v_addc_co_u32_e32 v5, vcc, 0, v91, vcc
	v_cmp_gt_i64_e32 vcc, s[12:13], v[4:5]
	v_mov_b32_e32 v95, 0
	s_and_saveexec_b64 s[18:19], vcc
	s_cbranch_execz .LBB178_57
; %bb.56:                               ;   in Loop: Header=BB178_53 Depth=1
	v_lshlrev_b64 v[4:5], 2, v[4:5]
	v_mov_b32_e32 v2, s29
	v_add_co_u32_e32 v4, vcc, s28, v4
	v_addc_co_u32_e32 v5, vcc, v2, v5, vcc
	global_load_dword v95, v[4:5], off
.LBB178_57:                             ;   in Loop: Header=BB178_53 Depth=1
	s_or_b64 exec, exec, s[18:19]
.LBB178_58:                             ;   in Loop: Header=BB178_53 Depth=1
	s_or_b64 exec, exec, s[0:1]
	s_mov_b32 s17, s16
	s_mov_b32 s18, s16
	;; [unrolled: 1-line block ×7, first 2 shown]
	v_pk_mov_b32 v[10:11], s[16:17], s[16:17] op_sel:[0,1]
	v_pk_mov_b32 v[16:17], s[22:23], s[22:23] op_sel:[0,1]
	;; [unrolled: 1-line block ×5, first 2 shown]
	v_cmp_gt_i64_e32 vcc, s[12:13], v[90:91]
	v_pk_mov_b32 v[22:23], v[14:15], v[14:15] op_sel:[0,1]
	v_pk_mov_b32 v[20:21], v[12:13], v[12:13] op_sel:[0,1]
	;; [unrolled: 1-line block ×3, first 2 shown]
	s_and_saveexec_b64 s[0:1], vcc
	s_cbranch_execz .LBB178_60
; %bb.59:                               ;   in Loop: Header=BB178_53 Depth=1
	v_add_co_u32_e32 v4, vcc, v42, v88
	v_addc_co_u32_e32 v5, vcc, v1, v89, vcc
	global_load_ushort v2, v[4:5], off
	v_add_co_u32_e32 v4, vcc, v58, v88
	v_addc_co_u32_e32 v5, vcc, v27, v89, vcc
	global_load_ushort v10, v[4:5], off
	v_mov_b32_e32 v8, v3
	v_mov_b32_e32 v9, v3
	;; [unrolled: 1-line block ×13, first 2 shown]
	s_waitcnt vmcnt(1)
	v_cvt_f32_f16_e32 v2, v2
	v_pk_mov_b32 v[24:25], v[8:9], v[8:9] op_sel:[0,1]
	v_pk_mov_b32 v[22:23], v[6:7], v[6:7] op_sel:[0,1]
	;; [unrolled: 1-line block ×4, first 2 shown]
	s_waitcnt vmcnt(0)
	v_cvt_f32_f16_e32 v10, v10
.LBB178_60:                             ;   in Loop: Header=BB178_53 Depth=1
	s_or_b64 exec, exec, s[0:1]
	v_add_co_u32_e32 v4, vcc, 1, v90
	v_addc_co_u32_e32 v5, vcc, 0, v91, vcc
	v_cmp_gt_i64_e32 vcc, s[12:13], v[4:5]
	s_and_saveexec_b64 s[0:1], vcc
	s_cbranch_execz .LBB178_62
; %bb.61:                               ;   in Loop: Header=BB178_53 Depth=1
	v_add_co_u32_e32 v4, vcc, v84, v88
	v_addc_co_u32_e32 v5, vcc, v81, v89, vcc
	global_load_ushort v2, v[4:5], off
	v_add_co_u32_e32 v4, vcc, v86, v88
	v_addc_co_u32_e32 v5, vcc, v83, v89, vcc
	global_load_ushort v4, v[4:5], off
	s_waitcnt vmcnt(1)
	v_cvt_f32_f16_e32 v19, v2
	s_waitcnt vmcnt(0)
	v_cvt_f32_f16_e32 v11, v4
.LBB178_62:                             ;   in Loop: Header=BB178_53 Depth=1
	s_or_b64 exec, exec, s[0:1]
	v_add_co_u32_e32 v4, vcc, 2, v90
	v_addc_co_u32_e32 v5, vcc, 0, v91, vcc
	v_cmp_gt_i64_e32 vcc, s[12:13], v[4:5]
	s_and_saveexec_b64 s[0:1], vcc
	s_cbranch_execz .LBB178_64
; %bb.63:                               ;   in Loop: Header=BB178_53 Depth=1
	v_add_co_u32_e32 v4, vcc, v80, v88
	v_addc_co_u32_e32 v5, vcc, v77, v89, vcc
	global_load_ushort v2, v[4:5], off
	v_add_co_u32_e32 v4, vcc, v82, v88
	v_addc_co_u32_e32 v5, vcc, v79, v89, vcc
	global_load_ushort v4, v[4:5], off
	s_waitcnt vmcnt(1)
	v_cvt_f32_f16_e32 v20, v2
	s_waitcnt vmcnt(0)
	v_cvt_f32_f16_e32 v12, v4
.LBB178_64:                             ;   in Loop: Header=BB178_53 Depth=1
	s_or_b64 exec, exec, s[0:1]
	v_add_co_u32_e32 v4, vcc, 3, v90
	v_addc_co_u32_e32 v5, vcc, 0, v91, vcc
	v_cmp_gt_i64_e32 vcc, s[12:13], v[4:5]
	s_and_saveexec_b64 s[0:1], vcc
	s_cbranch_execz .LBB178_66
; %bb.65:                               ;   in Loop: Header=BB178_53 Depth=1
	v_add_co_u32_e32 v4, vcc, v76, v88
	v_addc_co_u32_e32 v5, vcc, v73, v89, vcc
	global_load_ushort v2, v[4:5], off
	v_add_co_u32_e32 v4, vcc, v78, v88
	v_addc_co_u32_e32 v5, vcc, v75, v89, vcc
	global_load_ushort v4, v[4:5], off
	s_waitcnt vmcnt(1)
	v_cvt_f32_f16_e32 v21, v2
	s_waitcnt vmcnt(0)
	v_cvt_f32_f16_e32 v13, v4
.LBB178_66:                             ;   in Loop: Header=BB178_53 Depth=1
	s_or_b64 exec, exec, s[0:1]
	v_add_co_u32_e32 v4, vcc, 4, v90
	v_addc_co_u32_e32 v5, vcc, 0, v91, vcc
	v_cmp_gt_i64_e32 vcc, s[12:13], v[4:5]
	s_and_saveexec_b64 s[0:1], vcc
	s_cbranch_execz .LBB178_68
; %bb.67:                               ;   in Loop: Header=BB178_53 Depth=1
	v_add_co_u32_e32 v4, vcc, v72, v88
	v_addc_co_u32_e32 v5, vcc, v69, v89, vcc
	global_load_ushort v2, v[4:5], off
	v_add_co_u32_e32 v4, vcc, v74, v88
	v_addc_co_u32_e32 v5, vcc, v71, v89, vcc
	global_load_ushort v4, v[4:5], off
	s_waitcnt vmcnt(1)
	v_cvt_f32_f16_e32 v22, v2
	s_waitcnt vmcnt(0)
	v_cvt_f32_f16_e32 v14, v4
.LBB178_68:                             ;   in Loop: Header=BB178_53 Depth=1
	s_or_b64 exec, exec, s[0:1]
	v_add_co_u32_e32 v4, vcc, 5, v90
	v_addc_co_u32_e32 v5, vcc, 0, v91, vcc
	v_cmp_gt_i64_e32 vcc, s[12:13], v[4:5]
	s_and_saveexec_b64 s[0:1], vcc
	s_cbranch_execz .LBB178_70
; %bb.69:                               ;   in Loop: Header=BB178_53 Depth=1
	v_add_co_u32_e32 v4, vcc, v68, v88
	v_addc_co_u32_e32 v5, vcc, v65, v89, vcc
	global_load_ushort v2, v[4:5], off
	v_add_co_u32_e32 v4, vcc, v70, v88
	v_addc_co_u32_e32 v5, vcc, v67, v89, vcc
	global_load_ushort v4, v[4:5], off
	s_waitcnt vmcnt(1)
	v_cvt_f32_f16_e32 v23, v2
	s_waitcnt vmcnt(0)
	v_cvt_f32_f16_e32 v15, v4
.LBB178_70:                             ;   in Loop: Header=BB178_53 Depth=1
	s_or_b64 exec, exec, s[0:1]
	v_add_co_u32_e32 v4, vcc, 6, v90
	v_addc_co_u32_e32 v5, vcc, 0, v91, vcc
	v_cmp_gt_i64_e32 vcc, s[12:13], v[4:5]
	s_and_saveexec_b64 s[0:1], vcc
	s_cbranch_execz .LBB178_72
; %bb.71:                               ;   in Loop: Header=BB178_53 Depth=1
	v_add_co_u32_e32 v4, vcc, v64, v88
	v_addc_co_u32_e32 v5, vcc, v61, v89, vcc
	global_load_ushort v2, v[4:5], off
	v_add_co_u32_e32 v4, vcc, v66, v88
	v_addc_co_u32_e32 v5, vcc, v63, v89, vcc
	global_load_ushort v4, v[4:5], off
	s_waitcnt vmcnt(1)
	v_cvt_f32_f16_e32 v24, v2
	s_waitcnt vmcnt(0)
	v_cvt_f32_f16_e32 v16, v4
.LBB178_72:                             ;   in Loop: Header=BB178_53 Depth=1
	s_or_b64 exec, exec, s[0:1]
	v_add_co_u32_e32 v4, vcc, 7, v90
	v_addc_co_u32_e32 v5, vcc, 0, v91, vcc
	v_cmp_gt_i64_e32 vcc, s[12:13], v[4:5]
	s_and_saveexec_b64 s[0:1], vcc
	s_cbranch_execz .LBB178_74
; %bb.73:                               ;   in Loop: Header=BB178_53 Depth=1
	v_add_co_u32_e32 v4, vcc, v60, v88
	v_addc_co_u32_e32 v5, vcc, v43, v89, vcc
	global_load_ushort v2, v[4:5], off
	v_add_co_u32_e32 v4, vcc, v62, v88
	v_addc_co_u32_e32 v5, vcc, v59, v89, vcc
	global_load_ushort v4, v[4:5], off
	s_waitcnt vmcnt(1)
	v_cvt_f32_f16_e32 v25, v2
	s_waitcnt vmcnt(0)
	v_cvt_f32_f16_e32 v17, v4
.LBB178_74:                             ;   in Loop: Header=BB178_53 Depth=1
	s_or_b64 exec, exec, s[0:1]
	s_waitcnt vmcnt(0)
	ds_bpermute_b32 v4, v93, v95
	ds_bpermute_b32 v5, v93, v95 offset:4
	v_pk_mul_f32 v[8:9], v[14:15], v[22:23]
	ds_bpermute_b32 v14, v93, v95 offset:8
	ds_bpermute_b32 v15, v93, v95 offset:12
	v_pk_mul_f32 v[10:11], v[10:11], v[18:19]
	s_waitcnt lgkmcnt(2)
	v_pk_mul_f32 v[4:5], v[10:11], v[4:5]
	ds_bpermute_b32 v10, v93, v95 offset:16
	ds_bpermute_b32 v11, v93, v95 offset:20
	v_pk_mul_f32 v[12:13], v[12:13], v[20:21]
	v_add_f32_e32 v2, v94, v4
	v_add_f32_e32 v2, v2, v5
	s_waitcnt lgkmcnt(2)
	v_pk_mul_f32 v[4:5], v[12:13], v[14:15]
	ds_bpermute_b32 v12, v93, v95 offset:24
	ds_bpermute_b32 v13, v93, v95 offset:28
	v_add_f32_e32 v2, v2, v4
	v_add_f32_e32 v2, v2, v5
	s_waitcnt lgkmcnt(2)
	v_pk_mul_f32 v[4:5], v[8:9], v[10:11]
	v_pk_mul_f32 v[6:7], v[16:17], v[24:25]
	v_add_f32_e32 v2, v2, v4
	v_add_f32_e32 v2, v2, v5
	s_waitcnt lgkmcnt(0)
	v_pk_mul_f32 v[4:5], v[6:7], v[12:13]
	v_add_f32_e32 v2, v2, v4
	v_add_f32_e32 v4, v2, v5
	s_branch .LBB178_81
.LBB178_75:                             ;   in Loop: Header=BB178_53 Depth=1
                                        ; implicit-def: $vgpr4
	s_cbranch_execz .LBB178_81
; %bb.76:                               ;   in Loop: Header=BB178_53 Depth=1
	s_load_dword s0, s[10:11], 0x0
	s_waitcnt lgkmcnt(0)
	s_cmp_lt_u32 s6, s0
	s_cselect_b32 s0, 12, 18
	s_add_u32 s0, s10, s0
	s_addc_u32 s1, s11, 0
	global_load_ushort v2, v3, s[0:1]
	s_waitcnt vmcnt(0)
	v_mad_u32_u24 v2, v87, v2, v92
	v_and_b32_e32 v4, 63, v2
	v_cmp_gt_u32_e32 vcc, 8, v4
	v_mov_b32_e32 v2, 0
	s_and_saveexec_b64 s[0:1], vcc
	s_cbranch_execz .LBB178_80
; %bb.77:                               ;   in Loop: Header=BB178_53 Depth=1
	v_add_co_u32_e32 v4, vcc, v90, v4
	v_addc_co_u32_e32 v5, vcc, 0, v91, vcc
	v_cmp_gt_i64_e32 vcc, s[12:13], v[4:5]
	v_mov_b32_e32 v2, 0
	s_and_saveexec_b64 s[18:19], vcc
	s_cbranch_execz .LBB178_79
; %bb.78:                               ;   in Loop: Header=BB178_53 Depth=1
	v_lshlrev_b64 v[4:5], 2, v[4:5]
	v_mov_b32_e32 v2, s29
	v_add_co_u32_e32 v4, vcc, s28, v4
	v_addc_co_u32_e32 v5, vcc, v2, v5, vcc
	global_load_dword v2, v[4:5], off
.LBB178_79:                             ;   in Loop: Header=BB178_53 Depth=1
	s_or_b64 exec, exec, s[18:19]
.LBB178_80:                             ;   in Loop: Header=BB178_53 Depth=1
	s_or_b64 exec, exec, s[0:1]
	v_add_co_u32_e32 v4, vcc, v42, v88
	v_addc_co_u32_e32 v5, vcc, v1, v89, vcc
	global_load_ushort v6, v[4:5], off
	v_add_co_u32_e32 v4, vcc, v58, v88
	v_addc_co_u32_e32 v5, vcc, v27, v89, vcc
	global_load_ushort v7, v[4:5], off
	;; [unrolled: 3-line block ×16, first 2 shown]
	s_waitcnt vmcnt(16)
	ds_bpermute_b32 v21, v93, v2 offset:4
	s_waitcnt vmcnt(15)
	v_cvt_f32_f16_e32 v5, v6
	s_waitcnt vmcnt(14)
	v_cvt_f32_f16_e32 v6, v7
	v_mul_f32_e32 v5, v5, v6
	s_waitcnt vmcnt(13)
	v_cvt_f32_f16_e32 v7, v8
	s_waitcnt vmcnt(12)
	v_cvt_f32_f16_e32 v8, v9
	v_mul_f32_e32 v6, v7, v8
	;; [unrolled: 5-line block ×3, first 2 shown]
	s_waitcnt vmcnt(9)
	v_cvt_f32_f16_e32 v11, v12
	s_waitcnt vmcnt(8)
	v_cvt_f32_f16_e32 v12, v13
	s_waitcnt vmcnt(7)
	v_cvt_f32_f16_e32 v13, v14
	s_waitcnt vmcnt(6)
	v_cvt_f32_f16_e32 v14, v15
	s_waitcnt vmcnt(5)
	v_cvt_f32_f16_e32 v15, v16
	s_waitcnt vmcnt(4)
	v_cvt_f32_f16_e32 v16, v17
	s_waitcnt vmcnt(3)
	v_cvt_f32_f16_e32 v17, v18
	s_waitcnt vmcnt(2)
	v_cvt_f32_f16_e32 v18, v19
	ds_bpermute_b32 v19, v93, v2
	s_waitcnt vmcnt(1)
	v_cvt_f32_f16_e32 v20, v20
	s_waitcnt lgkmcnt(0)
	v_fmac_f32_e32 v94, v5, v19
	ds_bpermute_b32 v5, v93, v2 offset:8
	v_fmac_f32_e32 v94, v6, v21
	ds_bpermute_b32 v6, v93, v2 offset:12
	s_waitcnt vmcnt(0)
	v_cvt_f32_f16_e32 v4, v4
	s_waitcnt lgkmcnt(1)
	v_fmac_f32_e32 v94, v7, v5
	ds_bpermute_b32 v5, v93, v2 offset:16
	v_mul_f32_e32 v7, v11, v12
	s_waitcnt lgkmcnt(1)
	v_fmac_f32_e32 v94, v7, v6
	v_mul_f32_e32 v6, v13, v14
	ds_bpermute_b32 v7, v93, v2 offset:20
	s_waitcnt lgkmcnt(1)
	v_fmac_f32_e32 v94, v6, v5
	ds_bpermute_b32 v5, v93, v2 offset:24
	ds_bpermute_b32 v2, v93, v2 offset:28
	v_mul_f32_e32 v6, v15, v16
	s_waitcnt lgkmcnt(2)
	v_fmac_f32_e32 v94, v6, v7
	v_mul_f32_e32 v6, v17, v18
	s_waitcnt lgkmcnt(1)
	v_fmac_f32_e32 v94, v6, v5
	;; [unrolled: 3-line block ×3, first 2 shown]
	v_mov_b32_e32 v4, v94
.LBB178_81:                             ;   in Loop: Header=BB178_53 Depth=1
	v_mov_b32_e32 v2, s9
	v_add_co_u32_e64 v26, s[0:1], s7, v26
	v_addc_co_u32_e64 v85, s[0:1], v85, v2, s[0:1]
	v_mov_b32_e32 v2, s25
	v_add_co_u32_e64 v28, s[0:1], s24, v28
	v_addc_co_u32_e64 v29, s[0:1], v29, v2, s[0:1]
	v_add_co_u32_e64 v30, s[0:1], s24, v30
	v_addc_co_u32_e64 v31, s[0:1], v31, v2, s[0:1]
	;; [unrolled: 2-line block ×28, first 2 shown]
	s_add_u32 s34, s34, s7
	v_add_co_u32_e64 v84, s[0:1], s24, v84
	s_addc_u32 s35, s35, 0
	v_pk_mov_b32 v[6:7], s[12:13], s[12:13] op_sel:[0,1]
	v_addc_co_u32_e64 v81, s[0:1], v81, v2, s[0:1]
	v_cmp_ge_i64_e32 vcc, s[34:35], v[6:7]
	v_add_co_u32_e64 v86, s[0:1], s24, v86
	s_add_u32 s26, s26, s7
	v_addc_co_u32_e64 v83, s[0:1], v83, v2, s[0:1]
	s_addc_u32 s27, s27, 0
	s_cbranch_vccnz .LBB178_83
; %bb.82:                               ;   in Loop: Header=BB178_53 Depth=1
	v_mov_b32_e32 v94, v4
	s_branch .LBB178_53
.LBB178_83:
	s_mov_b32 s7, 0
	s_lshl_b64 s[0:1], s[6:7], 5
	v_and_b32_e32 v1, 0x3ff, v0
	v_or_b32_e32 v2, s0, v1
	v_mov_b32_e32 v3, s1
	s_waitcnt lgkmcnt(0)
	s_cmp_lg_u64 s[2:3], 0
	v_cmp_gt_i64_e32 vcc, s[14:15], v[2:3]
	s_cselect_b64 s[0:1], -1, 0
	s_and_b64 s[0:1], vcc, s[0:1]
	s_and_saveexec_b64 s[6:7], s[0:1]
	s_cbranch_execz .LBB178_85
; %bb.84:
	s_load_dword s0, s[4:5], 0x4c
	v_bfe_u32 v0, v0, 10, 10
	v_mov_b32_e32 v1, 0
	v_mov_b32_e32 v5, s8
	v_cvt_f16_f32_e32 v4, v4
	s_waitcnt lgkmcnt(0)
	s_lshr_b32 s0, s0, 16
	v_mad_u64_u32 v[0:1], s[0:1], s0, v5, v[0:1]
	v_mul_lo_u32 v5, v1, s14
	v_mul_lo_u32 v6, v0, s15
	v_mad_u64_u32 v[0:1], s[0:1], v0, s14, 0
	v_add3_u32 v1, v1, v6, v5
	v_lshlrev_b64 v[0:1], 1, v[0:1]
	v_mov_b32_e32 v5, s3
	v_add_co_u32_e32 v6, vcc, s2, v0
	v_addc_co_u32_e32 v5, vcc, v5, v1, vcc
	v_lshlrev_b64 v[0:1], 1, v[2:3]
	v_add_co_u32_e32 v0, vcc, v6, v0
	v_addc_co_u32_e32 v1, vcc, v5, v1, vcc
	global_store_short v[0:1], v4, off
.LBB178_85:
	s_endpgm
	.section	.rodata,"a",@progbits
	.p2align	6, 0x0
	.amdhsa_kernel _ZN2at6native12_GLOBAL__N_135GammaBetaBackwardCUDAKernelTemplateIN3c104HalfEfLj32ELj1ELj8ELb1ELb0ELb1EEEvllPKT_S7_PKT0_SA_PS5_SB_
		.amdhsa_group_segment_fixed_size 0
		.amdhsa_private_segment_fixed_size 0
		.amdhsa_kernarg_size 320
		.amdhsa_user_sgpr_count 6
		.amdhsa_user_sgpr_private_segment_buffer 1
		.amdhsa_user_sgpr_dispatch_ptr 0
		.amdhsa_user_sgpr_queue_ptr 0
		.amdhsa_user_sgpr_kernarg_segment_ptr 1
		.amdhsa_user_sgpr_dispatch_id 0
		.amdhsa_user_sgpr_flat_scratch_init 0
		.amdhsa_user_sgpr_kernarg_preload_length 0
		.amdhsa_user_sgpr_kernarg_preload_offset 0
		.amdhsa_user_sgpr_private_segment_size 0
		.amdhsa_uses_dynamic_stack 0
		.amdhsa_system_sgpr_private_segment_wavefront_offset 0
		.amdhsa_system_sgpr_workgroup_id_x 1
		.amdhsa_system_sgpr_workgroup_id_y 1
		.amdhsa_system_sgpr_workgroup_id_z 0
		.amdhsa_system_sgpr_workgroup_info 0
		.amdhsa_system_vgpr_workitem_id 1
		.amdhsa_next_free_vgpr 96
		.amdhsa_next_free_sgpr 44
		.amdhsa_accum_offset 96
		.amdhsa_reserve_vcc 1
		.amdhsa_reserve_flat_scratch 0
		.amdhsa_float_round_mode_32 0
		.amdhsa_float_round_mode_16_64 0
		.amdhsa_float_denorm_mode_32 3
		.amdhsa_float_denorm_mode_16_64 3
		.amdhsa_dx10_clamp 1
		.amdhsa_ieee_mode 1
		.amdhsa_fp16_overflow 0
		.amdhsa_tg_split 0
		.amdhsa_exception_fp_ieee_invalid_op 0
		.amdhsa_exception_fp_denorm_src 0
		.amdhsa_exception_fp_ieee_div_zero 0
		.amdhsa_exception_fp_ieee_overflow 0
		.amdhsa_exception_fp_ieee_underflow 0
		.amdhsa_exception_fp_ieee_inexact 0
		.amdhsa_exception_int_div_zero 0
	.end_amdhsa_kernel
	.section	.text._ZN2at6native12_GLOBAL__N_135GammaBetaBackwardCUDAKernelTemplateIN3c104HalfEfLj32ELj1ELj8ELb1ELb0ELb1EEEvllPKT_S7_PKT0_SA_PS5_SB_,"axG",@progbits,_ZN2at6native12_GLOBAL__N_135GammaBetaBackwardCUDAKernelTemplateIN3c104HalfEfLj32ELj1ELj8ELb1ELb0ELb1EEEvllPKT_S7_PKT0_SA_PS5_SB_,comdat
.Lfunc_end178:
	.size	_ZN2at6native12_GLOBAL__N_135GammaBetaBackwardCUDAKernelTemplateIN3c104HalfEfLj32ELj1ELj8ELb1ELb0ELb1EEEvllPKT_S7_PKT0_SA_PS5_SB_, .Lfunc_end178-_ZN2at6native12_GLOBAL__N_135GammaBetaBackwardCUDAKernelTemplateIN3c104HalfEfLj32ELj1ELj8ELb1ELb0ELb1EEEvllPKT_S7_PKT0_SA_PS5_SB_
                                        ; -- End function
	.section	.AMDGPU.csdata,"",@progbits
; Kernel info:
; codeLenInByte = 6732
; NumSgprs: 48
; NumVgprs: 96
; NumAgprs: 0
; TotalNumVgprs: 96
; ScratchSize: 0
; MemoryBound: 0
; FloatMode: 240
; IeeeMode: 1
; LDSByteSize: 0 bytes/workgroup (compile time only)
; SGPRBlocks: 5
; VGPRBlocks: 11
; NumSGPRsForWavesPerEU: 48
; NumVGPRsForWavesPerEU: 96
; AccumOffset: 96
; Occupancy: 5
; WaveLimiterHint : 0
; COMPUTE_PGM_RSRC2:SCRATCH_EN: 0
; COMPUTE_PGM_RSRC2:USER_SGPR: 6
; COMPUTE_PGM_RSRC2:TRAP_HANDLER: 0
; COMPUTE_PGM_RSRC2:TGID_X_EN: 1
; COMPUTE_PGM_RSRC2:TGID_Y_EN: 1
; COMPUTE_PGM_RSRC2:TGID_Z_EN: 0
; COMPUTE_PGM_RSRC2:TIDIG_COMP_CNT: 1
; COMPUTE_PGM_RSRC3_GFX90A:ACCUM_OFFSET: 23
; COMPUTE_PGM_RSRC3_GFX90A:TG_SPLIT: 0
	.section	.text._ZN2at6native12_GLOBAL__N_135GammaBetaBackwardCUDAKernelTemplateIN3c104HalfEfLj32ELj8ELj64ELb0ELb1ELb1EEEvllPKT_S7_PKT0_SA_PS5_SB_,"axG",@progbits,_ZN2at6native12_GLOBAL__N_135GammaBetaBackwardCUDAKernelTemplateIN3c104HalfEfLj32ELj8ELj64ELb0ELb1ELb1EEEvllPKT_S7_PKT0_SA_PS5_SB_,comdat
	.globl	_ZN2at6native12_GLOBAL__N_135GammaBetaBackwardCUDAKernelTemplateIN3c104HalfEfLj32ELj8ELj64ELb0ELb1ELb1EEEvllPKT_S7_PKT0_SA_PS5_SB_ ; -- Begin function _ZN2at6native12_GLOBAL__N_135GammaBetaBackwardCUDAKernelTemplateIN3c104HalfEfLj32ELj8ELj64ELb0ELb1ELb1EEEvllPKT_S7_PKT0_SA_PS5_SB_
	.p2align	8
	.type	_ZN2at6native12_GLOBAL__N_135GammaBetaBackwardCUDAKernelTemplateIN3c104HalfEfLj32ELj8ELj64ELb0ELb1ELb1EEEvllPKT_S7_PKT0_SA_PS5_SB_,@function
_ZN2at6native12_GLOBAL__N_135GammaBetaBackwardCUDAKernelTemplateIN3c104HalfEfLj32ELj8ELj64ELb0ELb1ELb1EEEvllPKT_S7_PKT0_SA_PS5_SB_: ; @_ZN2at6native12_GLOBAL__N_135GammaBetaBackwardCUDAKernelTemplateIN3c104HalfEfLj32ELj8ELj64ELb0ELb1ELb1EEEvllPKT_S7_PKT0_SA_PS5_SB_
; %bb.0:
	s_load_dwordx4 s[8:11], s[4:5], 0x0
	s_lshl_b32 s16, s7, 6
	s_mov_b32 s17, 0
	v_bfe_u32 v11, v0, 10, 10
	s_waitcnt lgkmcnt(0)
	v_pk_mov_b32 v[2:3], s[8:9], s[8:9] op_sel:[0,1]
	v_cmp_lt_i64_e32 vcc, s[16:17], v[2:3]
	s_cbranch_vccnz .LBB179_2
; %bb.1:
	s_mov_b64 s[0:1], 0
	v_bfe_u32 v2, v0, 10, 10
	s_branch .LBB179_3
.LBB179_2:
	s_mov_b64 s[0:1], -1
                                        ; implicit-def: $vgpr2
.LBB179_3:
	s_load_dwordx2 s[2:3], s[4:5], 0x30
	v_and_b32_e32 v6, 0x3ff, v0
	s_andn2_b64 vcc, exec, s[0:1]
	v_mov_b32_e32 v1, s17
	v_mbcnt_lo_u32_b32 v10, -1, 0
	s_cbranch_vccnz .LBB179_11
; %bb.4:
	s_load_dword s0, s[4:5], 0x4c
	s_load_dword s7, s[4:5], 0x44
	s_load_dwordx4 s[12:15], s[4:5], 0x10
	s_load_dwordx2 s[18:19], s[4:5], 0x28
	v_mbcnt_hi_u32_b32 v4, -1, v10
	v_lshlrev_b32_e32 v2, 3, v11
	s_waitcnt lgkmcnt(0)
	s_and_b32 s0, s0, 0xffff
	v_lshlrev_b32_e32 v4, 2, v4
	v_mad_u32_u24 v0, v11, s0, v6
	v_and_b32_e32 v12, 0x100, v4
	v_mov_b32_e32 v4, s17
	v_add_co_u32_e32 v7, vcc, s16, v2
	v_and_b32_e32 v3, 63, v0
	v_addc_co_u32_e32 v8, vcc, 0, v4, vcc
	v_add_co_u32_e32 v2, vcc, v7, v3
	v_cmp_gt_u32_e64 s[0:1], 8, v3
	v_addc_co_u32_e32 v3, vcc, 0, v8, vcc
	v_lshlrev_b64 v[4:5], 2, v[2:3]
	v_mov_b32_e32 v9, s19
	v_add_co_u32_e32 v4, vcc, s18, v4
	s_lshl_b32 s4, s7, 6
	v_addc_co_u32_e32 v5, vcc, v9, v5, vcc
	v_mul_lo_u32 v20, s11, v7
	v_mul_lo_u32 v21, s10, v8
	v_mad_u64_u32 v[8:9], s[20:21], s10, v7, 0
	v_mov_b32_e32 v1, 0
	v_lshl_add_u32 v0, s6, 5, v6
	v_add3_u32 v9, v9, v21, v20
	s_mul_i32 s7, s11, s4
	s_mul_hi_u32 s20, s10, s4
	s_mov_b32 s5, 0
	v_lshlrev_b64 v[8:9], 1, v[8:9]
	v_lshlrev_b64 v[20:21], 1, v[0:1]
	s_add_i32 s21, s20, s7
	s_mul_i32 s20, s10, s4
	s_lshl_b64 s[18:19], s[4:5], 2
	v_add_co_u32_e32 v0, vcc, v8, v20
	s_lshl_b64 s[20:21], s[20:21], 1
	s_lshl_b64 s[10:11], s[10:11], 1
	v_or_b32_e32 v13, 4, v12
	v_or_b32_e32 v14, 8, v12
	;; [unrolled: 1-line block ×7, first 2 shown]
	v_addc_co_u32_e32 v7, vcc, v9, v21, vcc
	v_mov_b32_e32 v20, s13
	v_mov_b32_e32 v21, s15
	;; [unrolled: 1-line block ×6, first 2 shown]
	v_pk_mov_b32 v[8:9], s[8:9], s[8:9] op_sel:[0,1]
	s_branch .LBB179_7
.LBB179_5:                              ;   in Loop: Header=BB179_7 Depth=1
	s_or_b64 exec, exec, s[24:25]
.LBB179_6:                              ;   in Loop: Header=BB179_7 Depth=1
	s_or_b64 exec, exec, s[22:23]
	v_add_co_u32_e32 v28, vcc, s12, v0
	v_addc_co_u32_e32 v29, vcc, v20, v7, vcc
	v_add_co_u32_e32 v30, vcc, s14, v0
	v_addc_co_u32_e32 v31, vcc, v21, v7, vcc
	global_load_ushort v27, v[28:29], off
	v_add_co_u32_e32 v28, vcc, s10, v28
	v_addc_co_u32_e32 v29, vcc, v29, v22, vcc
	global_load_ushort v32, v[30:31], off
	v_add_co_u32_e32 v30, vcc, s10, v30
	v_addc_co_u32_e32 v31, vcc, v31, v22, vcc
	global_load_ushort v33, v[28:29], off
	v_add_co_u32_e32 v28, vcc, s10, v28
	v_addc_co_u32_e32 v29, vcc, v29, v22, vcc
	global_load_ushort v34, v[30:31], off
	v_add_co_u32_e32 v30, vcc, s10, v30
	v_addc_co_u32_e32 v31, vcc, v31, v22, vcc
	global_load_ushort v35, v[28:29], off
	v_add_co_u32_e32 v28, vcc, s10, v28
	v_addc_co_u32_e32 v29, vcc, v29, v22, vcc
	global_load_ushort v36, v[30:31], off
	v_add_co_u32_e32 v30, vcc, s10, v30
	v_addc_co_u32_e32 v31, vcc, v31, v22, vcc
	global_load_ushort v37, v[28:29], off
	v_add_co_u32_e32 v28, vcc, s10, v28
	v_addc_co_u32_e32 v29, vcc, v29, v22, vcc
	global_load_ushort v38, v[30:31], off
	v_add_co_u32_e32 v30, vcc, s10, v30
	v_addc_co_u32_e32 v31, vcc, v31, v22, vcc
	global_load_ushort v39, v[28:29], off
	v_add_co_u32_e32 v28, vcc, s10, v28
	v_addc_co_u32_e32 v29, vcc, v29, v22, vcc
	global_load_ushort v40, v[30:31], off
	v_add_co_u32_e32 v30, vcc, s10, v30
	v_addc_co_u32_e32 v31, vcc, v31, v22, vcc
	global_load_ushort v41, v[28:29], off
	global_load_ushort v42, v[30:31], off
	v_add_co_u32_e32 v28, vcc, s10, v28
	v_addc_co_u32_e32 v29, vcc, v29, v22, vcc
	v_add_co_u32_e32 v30, vcc, s10, v30
	v_addc_co_u32_e32 v31, vcc, v31, v22, vcc
	global_load_ushort v44, v[30:31], off
	global_load_ushort v43, v[28:29], off
	v_add_co_u32_e32 v28, vcc, s10, v28
	v_addc_co_u32_e32 v29, vcc, v29, v22, vcc
	global_load_ushort v45, v[28:29], off
	v_add_co_u32_e32 v28, vcc, s10, v30
	v_addc_co_u32_e32 v29, vcc, v31, v22, vcc
	;; [unrolled: 3-line block ×3, first 2 shown]
	v_add_co_u32_e32 v2, vcc, s4, v2
	v_addc_co_u32_e32 v3, vcc, v3, v24, vcc
	s_waitcnt vmcnt(15)
	v_cvt_f32_f16_e32 v27, v27
	s_add_u32 s16, s16, s4
	v_add_co_u32_e32 v0, vcc, s20, v0
	s_addc_u32 s17, s17, 0
	s_waitcnt vmcnt(14)
	v_cvt_f32_f16_e32 v29, v32
	v_addc_co_u32_e32 v7, vcc, v7, v25, vcc
	v_cmp_lt_i64_e32 vcc, s[16:17], v[8:9]
	v_mul_f32_e32 v27, v27, v29
	s_waitcnt vmcnt(13)
	v_cvt_f32_f16_e32 v30, v33
	s_and_b64 vcc, exec, vcc
	s_waitcnt vmcnt(12)
	v_cvt_f32_f16_e32 v31, v34
	v_mul_f32_e32 v29, v30, v31
	s_waitcnt vmcnt(11)
	v_cvt_f32_f16_e32 v32, v35
	s_waitcnt vmcnt(10)
	v_cvt_f32_f16_e32 v33, v36
	v_mul_f32_e32 v30, v32, v33
	s_waitcnt vmcnt(9)
	v_cvt_f32_f16_e32 v34, v37
	s_waitcnt vmcnt(8)
	v_cvt_f32_f16_e32 v35, v38
	;; [unrolled: 2-line block ×6, first 2 shown]
	ds_bpermute_b32 v42, v12, v26
	s_waitcnt lgkmcnt(0)
	v_fmac_f32_e32 v1, v27, v42
	ds_bpermute_b32 v27, v14, v26
	s_waitcnt vmcnt(3)
	v_cvt_f32_f16_e32 v41, v44
	ds_bpermute_b32 v44, v13, v26
	s_waitcnt vmcnt(2)
	v_cvt_f32_f16_e32 v40, v43
	s_waitcnt lgkmcnt(0)
	v_fmac_f32_e32 v1, v29, v44
	ds_bpermute_b32 v29, v15, v26
	v_fmac_f32_e32 v1, v30, v27
	ds_bpermute_b32 v27, v16, v26
	v_mul_f32_e32 v30, v34, v35
	s_waitcnt vmcnt(1)
	v_cvt_f32_f16_e32 v43, v45
	s_waitcnt lgkmcnt(1)
	v_fmac_f32_e32 v1, v30, v29
	v_mul_f32_e32 v29, v36, v37
	ds_bpermute_b32 v30, v17, v26
	s_waitcnt lgkmcnt(1)
	v_fmac_f32_e32 v1, v29, v27
	ds_bpermute_b32 v27, v18, v26
	s_waitcnt vmcnt(0)
	v_cvt_f32_f16_e32 v28, v28
	ds_bpermute_b32 v26, v19, v26
	v_mul_f32_e32 v29, v38, v39
	s_waitcnt lgkmcnt(2)
	v_fmac_f32_e32 v1, v29, v30
	v_mul_f32_e32 v29, v40, v41
	s_waitcnt lgkmcnt(1)
	v_fmac_f32_e32 v1, v29, v27
	;; [unrolled: 3-line block ×3, first 2 shown]
	s_cbranch_vccz .LBB179_10
.LBB179_7:                              ; =>This Inner Loop Header: Depth=1
	v_mov_b32_e32 v26, 0
	s_and_saveexec_b64 s[22:23], s[0:1]
	s_cbranch_execz .LBB179_6
; %bb.8:                                ;   in Loop: Header=BB179_7 Depth=1
	v_cmp_gt_i64_e32 vcc, s[8:9], v[2:3]
	v_mov_b32_e32 v26, 0
	s_and_saveexec_b64 s[24:25], vcc
	s_cbranch_execz .LBB179_5
; %bb.9:                                ;   in Loop: Header=BB179_7 Depth=1
	global_load_dword v26, v[4:5], off
	s_branch .LBB179_5
.LBB179_10:
	v_mov_b32_e32 v2, v11
.LBB179_11:
	v_mad_u32_u24 v0, v2, 33, v6
	v_lshl_add_u32 v3, v0, 2, 0
	v_sub_u32_e32 v0, v0, v2
	s_movk_i32 s0, 0x800
	s_mov_b32 s7, 0
	ds_write_b32 v3, v1
	v_mov_b32_e32 v1, 0
	v_cmp_gt_u32_e32 vcc, s0, v0
	ds_write_b32 v3, v1 offset:1056
	s_waitcnt lgkmcnt(0)
	s_barrier
	s_and_saveexec_b64 s[0:1], vcc
	s_cbranch_execz .LBB179_18
; %bb.12:
	v_mbcnt_hi_u32_b32 v4, -1, v10
	v_and_b32_e32 v2, 64, v4
	s_cmp_lg_u64 s[2:3], 0
	v_add_u32_e32 v5, 64, v2
	v_cmp_eq_u32_e64 s[0:1], 0, v6
	s_cselect_b64 s[8:9], -1, 0
	v_xor_b32_e32 v2, 4, v4
	s_and_b64 s[8:9], s[0:1], s[8:9]
	v_cmp_lt_i32_e64 s[0:1], v2, v5
	v_xor_b32_e32 v3, 2, v4
	v_cndmask_b32_e64 v2, v4, v2, s[0:1]
	v_cmp_lt_i32_e64 s[0:1], v3, v5
	v_xor_b32_e32 v6, 1, v4
	v_cndmask_b32_e64 v3, v4, v3, s[0:1]
	v_cmp_lt_i32_e64 s[0:1], v6, v5
	v_lshrrev_b32_e32 v1, 6, v0
	v_and_b32_e32 v0, 63, v0
	v_cndmask_b32_e64 v4, v4, v6, s[0:1]
	s_lshl_b64 s[0:1], s[6:7], 6
	v_cmp_gt_u32_e32 vcc, 8, v0
	v_mul_u32_u24_e32 v0, 0x84, v0
	v_lshlrev_b32_e32 v5, 2, v1
	s_add_u32 s0, s2, s0
	v_add3_u32 v5, v0, v5, 0
	v_lshlrev_b32_e32 v0, 1, v1
	s_addc_u32 s1, s3, s1
	v_add_u32_e32 v6, -4, v1
	v_mov_b32_e32 v1, s1
	v_add_co_u32_e64 v0, s[0:1], s0, v0
	s_mov_b64 s[4:5], 0
	v_lshlrev_b32_e32 v2, 2, v2
	v_lshlrev_b32_e32 v3, 2, v3
	;; [unrolled: 1-line block ×3, first 2 shown]
	v_addc_co_u32_e64 v1, s[0:1], 0, v1, s[0:1]
                                        ; implicit-def: $vgpr7
	s_branch .LBB179_14
.LBB179_13:                             ;   in Loop: Header=BB179_14 Depth=1
	s_or_b64 exec, exec, s[0:1]
	v_add_u32_e32 v6, 4, v6
	v_cmp_lt_u32_e64 s[0:1], 27, v6
	s_or_b64 s[4:5], s[0:1], s[4:5]
	v_add_co_u32_e64 v0, s[0:1], 8, v0
	v_add_u32_e32 v5, 16, v5
	v_addc_co_u32_e64 v1, s[0:1], 0, v1, s[0:1]
	s_andn2_b64 exec, exec, s[4:5]
	s_cbranch_execz .LBB179_18
.LBB179_14:                             ; =>This Inner Loop Header: Depth=1
	s_and_saveexec_b64 s[0:1], vcc
	s_cbranch_execz .LBB179_16
; %bb.15:                               ;   in Loop: Header=BB179_14 Depth=1
	ds_read_b32 v7, v5
.LBB179_16:                             ;   in Loop: Header=BB179_14 Depth=1
	s_or_b64 exec, exec, s[0:1]
	s_waitcnt lgkmcnt(0)
	ds_bpermute_b32 v8, v2, v7
	s_waitcnt lgkmcnt(0)
	v_add_f32_e32 v7, v7, v8
	ds_bpermute_b32 v8, v3, v7
	s_waitcnt lgkmcnt(0)
	v_add_f32_e32 v7, v7, v8
	;; [unrolled: 3-line block ×3, first 2 shown]
	s_and_saveexec_b64 s[0:1], s[8:9]
	s_cbranch_execz .LBB179_13
; %bb.17:                               ;   in Loop: Header=BB179_14 Depth=1
	v_cvt_f16_f32_e32 v8, v7
	global_store_short v[0:1], v8, off
	s_branch .LBB179_13
.LBB179_18:
	s_endpgm
	.section	.rodata,"a",@progbits
	.p2align	6, 0x0
	.amdhsa_kernel _ZN2at6native12_GLOBAL__N_135GammaBetaBackwardCUDAKernelTemplateIN3c104HalfEfLj32ELj8ELj64ELb0ELb1ELb1EEEvllPKT_S7_PKT0_SA_PS5_SB_
		.amdhsa_group_segment_fixed_size 0
		.amdhsa_private_segment_fixed_size 0
		.amdhsa_kernarg_size 320
		.amdhsa_user_sgpr_count 6
		.amdhsa_user_sgpr_private_segment_buffer 1
		.amdhsa_user_sgpr_dispatch_ptr 0
		.amdhsa_user_sgpr_queue_ptr 0
		.amdhsa_user_sgpr_kernarg_segment_ptr 1
		.amdhsa_user_sgpr_dispatch_id 0
		.amdhsa_user_sgpr_flat_scratch_init 0
		.amdhsa_user_sgpr_kernarg_preload_length 0
		.amdhsa_user_sgpr_kernarg_preload_offset 0
		.amdhsa_user_sgpr_private_segment_size 0
		.amdhsa_uses_dynamic_stack 0
		.amdhsa_system_sgpr_private_segment_wavefront_offset 0
		.amdhsa_system_sgpr_workgroup_id_x 1
		.amdhsa_system_sgpr_workgroup_id_y 1
		.amdhsa_system_sgpr_workgroup_id_z 0
		.amdhsa_system_sgpr_workgroup_info 0
		.amdhsa_system_vgpr_workitem_id 1
		.amdhsa_next_free_vgpr 46
		.amdhsa_next_free_sgpr 26
		.amdhsa_accum_offset 48
		.amdhsa_reserve_vcc 1
		.amdhsa_reserve_flat_scratch 0
		.amdhsa_float_round_mode_32 0
		.amdhsa_float_round_mode_16_64 0
		.amdhsa_float_denorm_mode_32 3
		.amdhsa_float_denorm_mode_16_64 3
		.amdhsa_dx10_clamp 1
		.amdhsa_ieee_mode 1
		.amdhsa_fp16_overflow 0
		.amdhsa_tg_split 0
		.amdhsa_exception_fp_ieee_invalid_op 0
		.amdhsa_exception_fp_denorm_src 0
		.amdhsa_exception_fp_ieee_div_zero 0
		.amdhsa_exception_fp_ieee_overflow 0
		.amdhsa_exception_fp_ieee_underflow 0
		.amdhsa_exception_fp_ieee_inexact 0
		.amdhsa_exception_int_div_zero 0
	.end_amdhsa_kernel
	.section	.text._ZN2at6native12_GLOBAL__N_135GammaBetaBackwardCUDAKernelTemplateIN3c104HalfEfLj32ELj8ELj64ELb0ELb1ELb1EEEvllPKT_S7_PKT0_SA_PS5_SB_,"axG",@progbits,_ZN2at6native12_GLOBAL__N_135GammaBetaBackwardCUDAKernelTemplateIN3c104HalfEfLj32ELj8ELj64ELb0ELb1ELb1EEEvllPKT_S7_PKT0_SA_PS5_SB_,comdat
.Lfunc_end179:
	.size	_ZN2at6native12_GLOBAL__N_135GammaBetaBackwardCUDAKernelTemplateIN3c104HalfEfLj32ELj8ELj64ELb0ELb1ELb1EEEvllPKT_S7_PKT0_SA_PS5_SB_, .Lfunc_end179-_ZN2at6native12_GLOBAL__N_135GammaBetaBackwardCUDAKernelTemplateIN3c104HalfEfLj32ELj8ELj64ELb0ELb1ELb1EEEvllPKT_S7_PKT0_SA_PS5_SB_
                                        ; -- End function
	.section	.AMDGPU.csdata,"",@progbits
; Kernel info:
; codeLenInByte = 1436
; NumSgprs: 30
; NumVgprs: 46
; NumAgprs: 0
; TotalNumVgprs: 46
; ScratchSize: 0
; MemoryBound: 0
; FloatMode: 240
; IeeeMode: 1
; LDSByteSize: 0 bytes/workgroup (compile time only)
; SGPRBlocks: 3
; VGPRBlocks: 5
; NumSGPRsForWavesPerEU: 30
; NumVGPRsForWavesPerEU: 46
; AccumOffset: 48
; Occupancy: 8
; WaveLimiterHint : 0
; COMPUTE_PGM_RSRC2:SCRATCH_EN: 0
; COMPUTE_PGM_RSRC2:USER_SGPR: 6
; COMPUTE_PGM_RSRC2:TRAP_HANDLER: 0
; COMPUTE_PGM_RSRC2:TGID_X_EN: 1
; COMPUTE_PGM_RSRC2:TGID_Y_EN: 1
; COMPUTE_PGM_RSRC2:TGID_Z_EN: 0
; COMPUTE_PGM_RSRC2:TIDIG_COMP_CNT: 1
; COMPUTE_PGM_RSRC3_GFX90A:ACCUM_OFFSET: 11
; COMPUTE_PGM_RSRC3_GFX90A:TG_SPLIT: 0
	.section	.text._ZN2at6native12_GLOBAL__N_135GammaBetaBackwardCUDAKernelTemplateIN3c104HalfEfLj32ELj8ELj64ELb0ELb0ELb1EEEvllPKT_S7_PKT0_SA_PS5_SB_,"axG",@progbits,_ZN2at6native12_GLOBAL__N_135GammaBetaBackwardCUDAKernelTemplateIN3c104HalfEfLj32ELj8ELj64ELb0ELb0ELb1EEEvllPKT_S7_PKT0_SA_PS5_SB_,comdat
	.globl	_ZN2at6native12_GLOBAL__N_135GammaBetaBackwardCUDAKernelTemplateIN3c104HalfEfLj32ELj8ELj64ELb0ELb0ELb1EEEvllPKT_S7_PKT0_SA_PS5_SB_ ; -- Begin function _ZN2at6native12_GLOBAL__N_135GammaBetaBackwardCUDAKernelTemplateIN3c104HalfEfLj32ELj8ELj64ELb0ELb0ELb1EEEvllPKT_S7_PKT0_SA_PS5_SB_
	.p2align	8
	.type	_ZN2at6native12_GLOBAL__N_135GammaBetaBackwardCUDAKernelTemplateIN3c104HalfEfLj32ELj8ELj64ELb0ELb0ELb1EEEvllPKT_S7_PKT0_SA_PS5_SB_,@function
_ZN2at6native12_GLOBAL__N_135GammaBetaBackwardCUDAKernelTemplateIN3c104HalfEfLj32ELj8ELj64ELb0ELb0ELb1EEEvllPKT_S7_PKT0_SA_PS5_SB_: ; @_ZN2at6native12_GLOBAL__N_135GammaBetaBackwardCUDAKernelTemplateIN3c104HalfEfLj32ELj8ELj64ELb0ELb0ELb1EEEvllPKT_S7_PKT0_SA_PS5_SB_
; %bb.0:
	s_load_dwordx8 s[12:19], s[4:5], 0x0
	s_load_dwordx2 s[10:11], s[4:5], 0x28
	s_lshl_b32 s33, s6, 5
	s_or_b32 s28, s33, 31
	s_mov_b32 s29, 0
	s_waitcnt lgkmcnt(0)
	v_pk_mov_b32 v[2:3], s[14:15], s[14:15] op_sel:[0,1]
	v_cmp_ge_i64_e32 vcc, s[28:29], v[2:3]
	s_lshl_b32 s28, s7, 6
	v_pk_mov_b32 v[2:3], s[12:13], s[12:13] op_sel:[0,1]
	v_cmp_lt_i64_e64 s[0:1], s[28:29], v[2:3]
	v_cndmask_b32_e64 v1, 0, 1, s[0:1]
	v_cmp_ne_u32_e64 s[0:1], 1, v1
	s_cbranch_vccz .LBB180_49
; %bb.1:
	s_and_b64 vcc, exec, s[0:1]
	v_mov_b32_e32 v2, 0
	s_cbranch_vccnz .LBB180_50
; %bb.2:
	v_and_b32_e32 v59, 0x3ff, v0
	v_bfe_u32 v61, v0, 10, 10
	v_add_u32_e32 v2, s33, v59
	v_mov_b32_e32 v3, 0
	v_lshlrev_b32_e32 v26, 3, v61
	v_cmp_gt_i64_e64 s[2:3], s[14:15], v[2:3]
	v_lshlrev_b64 v[28:29], 1, v[2:3]
	v_mov_b32_e32 v1, s29
	v_add_co_u32_e32 v2, vcc, s28, v26
	v_addc_co_u32_e32 v6, vcc, 0, v1, vcc
	v_add_co_u32_e32 v1, vcc, 7, v2
	v_addc_co_u32_e32 v4, vcc, 0, v6, vcc
	v_mul_lo_u32 v7, s15, v1
	v_mul_lo_u32 v8, s14, v4
	v_mad_u64_u32 v[4:5], s[8:9], s14, v1, 0
	s_load_dword s7, s[4:5], 0x44
	v_add3_u32 v5, v5, v8, v7
	v_lshlrev_b64 v[4:5], 1, v[4:5]
	v_mov_b32_e32 v7, s17
	v_add_co_u32_e32 v30, vcc, s16, v4
	v_addc_co_u32_e32 v1, vcc, v7, v5, vcc
	s_add_u32 s30, s4, 64
	v_mov_b32_e32 v8, s19
	v_add_co_u32_e32 v32, vcc, s18, v4
	s_addc_u32 s31, s5, 0
	s_waitcnt lgkmcnt(0)
	s_lshl_b32 s7, s7, 6
	v_addc_co_u32_e32 v27, vcc, v8, v5, vcc
	s_mul_i32 s8, s15, s7
	s_mul_hi_u32 s9, s14, s7
	v_add_co_u32_e32 v4, vcc, 6, v2
	s_add_i32 s9, s9, s8
	s_mul_i32 s8, s14, s7
	v_addc_co_u32_e32 v5, vcc, 0, v6, vcc
	s_lshl_b64 s[34:35], s[8:9], 1
	v_mul_lo_u32 v9, s15, v4
	v_mul_lo_u32 v10, s14, v5
	v_mad_u64_u32 v[4:5], s[8:9], s14, v4, 0
	v_add3_u32 v5, v5, v10, v9
	v_lshlrev_b64 v[4:5], 1, v[4:5]
	v_add_co_u32_e32 v34, vcc, s16, v4
	v_addc_co_u32_e32 v31, vcc, v7, v5, vcc
	v_add_co_u32_e32 v36, vcc, s18, v4
	v_addc_co_u32_e32 v33, vcc, v8, v5, vcc
	v_add_co_u32_e32 v4, vcc, 5, v2
	v_addc_co_u32_e32 v5, vcc, 0, v6, vcc
	v_mul_lo_u32 v9, s15, v4
	v_mul_lo_u32 v10, s14, v5
	v_mad_u64_u32 v[4:5], s[8:9], s14, v4, 0
	v_add3_u32 v5, v5, v10, v9
	v_lshlrev_b64 v[4:5], 1, v[4:5]
	v_add_co_u32_e32 v38, vcc, s16, v4
	v_addc_co_u32_e32 v35, vcc, v7, v5, vcc
	v_add_co_u32_e32 v40, vcc, s18, v4
	v_addc_co_u32_e32 v37, vcc, v8, v5, vcc
	v_add_co_u32_e32 v4, vcc, 4, v2
	v_addc_co_u32_e32 v5, vcc, 0, v6, vcc
	;; [unrolled: 11-line block ×4, first 2 shown]
	v_mul_lo_u32 v9, s15, v4
	v_mul_lo_u32 v10, s14, v5
	v_mad_u64_u32 v[4:5], s[8:9], s14, v4, 0
	v_add3_u32 v5, v5, v10, v9
	v_lshlrev_b64 v[4:5], 1, v[4:5]
	v_add_co_u32_e32 v50, vcc, s16, v4
	v_addc_co_u32_e32 v47, vcc, v7, v5, vcc
	v_add_co_u32_e32 v52, vcc, s18, v4
	v_addc_co_u32_e32 v49, vcc, v8, v5, vcc
	v_pk_mov_b32 v[4:5], s[14:15], s[14:15] op_sel:[0,1]
	v_mad_u64_u32 v[4:5], s[8:9], s14, v2, v[4:5]
	v_mul_lo_u32 v6, s14, v6
	v_mul_lo_u32 v9, s15, v2
	v_add3_u32 v5, v9, v5, v6
	v_lshlrev_b64 v[4:5], 1, v[4:5]
	v_add_co_u32_e32 v54, vcc, s16, v4
	v_addc_co_u32_e32 v51, vcc, v7, v5, vcc
	v_add_co_u32_e32 v56, vcc, s18, v4
	v_addc_co_u32_e32 v53, vcc, v8, v5, vcc
	v_mad_u64_u32 v[4:5], s[8:9], s14, v2, 0
	v_add3_u32 v5, v5, v6, v9
	v_lshlrev_b64 v[4:5], 1, v[4:5]
	v_add_co_u32_e32 v58, vcc, s16, v4
	v_mbcnt_lo_u32_b32 v2, -1, 0
	v_addc_co_u32_e32 v55, vcc, v7, v5, vcc
	v_mbcnt_hi_u32_b32 v2, -1, v2
	s_add_u32 s36, s28, 63
	v_add_co_u32_e32 v60, vcc, s18, v4
	v_lshlrev_b32_e32 v2, 2, v2
	s_mov_b32 s20, 0
	s_addc_u32 s37, 0, 0
	v_addc_co_u32_e32 v57, vcc, v8, v5, vcc
	v_and_b32_e32 v62, 0x100, v2
	s_mov_b64 s[38:39], s[28:29]
	v_mov_b32_e32 v63, 0
.LBB180_3:                              ; =>This Inner Loop Header: Depth=1
	v_pk_mov_b32 v[4:5], s[12:13], s[12:13] op_sel:[0,1]
	v_cmp_ge_i64_e32 vcc, s[36:37], v[4:5]
	v_mov_b32_e32 v2, s37
	v_add_co_u32_e64 v64, s[8:9], s36, v26
	v_addc_co_u32_e64 v65, s[8:9], 0, v2, s[8:9]
	s_cbranch_vccz .LBB180_25
; %bb.4:                                ;   in Loop: Header=BB180_3 Depth=1
	s_load_dword s8, s[30:31], 0xc
	v_mov_b32_e32 v66, 0
	s_waitcnt lgkmcnt(0)
	s_and_b32 s8, s8, 0xffff
	v_mad_u32_u24 v2, v61, s8, v59
	v_and_b32_e32 v2, 63, v2
	v_cmp_gt_u32_e32 vcc, 8, v2
	s_and_saveexec_b64 s[8:9], vcc
	s_cbranch_execz .LBB180_8
; %bb.5:                                ;   in Loop: Header=BB180_3 Depth=1
	v_add_co_u32_e32 v2, vcc, v64, v2
	v_addc_co_u32_e32 v5, vcc, 0, v65, vcc
	v_add_co_u32_e32 v4, vcc, 0xffffffc1, v2
	v_addc_co_u32_e32 v5, vcc, -1, v5, vcc
	v_cmp_gt_i64_e32 vcc, s[12:13], v[4:5]
	v_mov_b32_e32 v66, 0
	s_and_saveexec_b64 s[22:23], vcc
	s_cbranch_execz .LBB180_7
; %bb.6:                                ;   in Loop: Header=BB180_3 Depth=1
	v_lshlrev_b64 v[4:5], 2, v[4:5]
	v_mov_b32_e32 v2, s11
	v_add_co_u32_e32 v4, vcc, s10, v4
	v_addc_co_u32_e32 v5, vcc, v2, v5, vcc
	global_load_dword v66, v[4:5], off
.LBB180_7:                              ;   in Loop: Header=BB180_3 Depth=1
	s_or_b64 exec, exec, s[22:23]
.LBB180_8:                              ;   in Loop: Header=BB180_3 Depth=1
	s_or_b64 exec, exec, s[8:9]
	s_mov_b32 s21, s20
	v_add_co_u32_e32 v4, vcc, 0xffffffc1, v64
	s_mov_b32 s22, s20
	s_mov_b32 s23, s20
	s_mov_b32 s24, s20
	s_mov_b32 s25, s20
	s_mov_b32 s26, s20
	s_mov_b32 s27, s20
	v_pk_mov_b32 v[10:11], s[20:21], s[20:21] op_sel:[0,1]
	v_addc_co_u32_e32 v5, vcc, -1, v65, vcc
	v_pk_mov_b32 v[16:17], s[26:27], s[26:27] op_sel:[0,1]
	v_cmp_gt_i64_e32 vcc, s[12:13], v[4:5]
	v_pk_mov_b32 v[12:13], s[22:23], s[22:23] op_sel:[0,1]
	v_pk_mov_b32 v[14:15], s[24:25], s[24:25] op_sel:[0,1]
	;; [unrolled: 1-line block ×3, first 2 shown]
	s_and_b64 s[40:41], s[2:3], vcc
	v_pk_mov_b32 v[22:23], v[14:15], v[14:15] op_sel:[0,1]
	v_pk_mov_b32 v[20:21], v[12:13], v[12:13] op_sel:[0,1]
	v_pk_mov_b32 v[18:19], v[10:11], v[10:11] op_sel:[0,1]
	s_and_saveexec_b64 s[8:9], s[40:41]
	s_cbranch_execz .LBB180_10
; %bb.9:                                ;   in Loop: Header=BB180_3 Depth=1
	v_add_co_u32_e32 v4, vcc, v58, v28
	v_addc_co_u32_e32 v5, vcc, v55, v29, vcc
	global_load_ushort v2, v[4:5], off
	v_add_co_u32_e32 v4, vcc, v60, v28
	v_addc_co_u32_e32 v5, vcc, v57, v29, vcc
	global_load_ushort v10, v[4:5], off
	v_mov_b32_e32 v8, v3
	v_mov_b32_e32 v9, v3
	;; [unrolled: 1-line block ×13, first 2 shown]
	s_waitcnt vmcnt(1)
	v_cvt_f32_f16_e32 v2, v2
	v_pk_mov_b32 v[24:25], v[8:9], v[8:9] op_sel:[0,1]
	v_pk_mov_b32 v[22:23], v[6:7], v[6:7] op_sel:[0,1]
	;; [unrolled: 1-line block ×4, first 2 shown]
	s_waitcnt vmcnt(0)
	v_cvt_f32_f16_e32 v10, v10
.LBB180_10:                             ;   in Loop: Header=BB180_3 Depth=1
	s_or_b64 exec, exec, s[8:9]
	v_add_co_u32_e32 v4, vcc, 0xffffffc2, v64
	v_addc_co_u32_e32 v5, vcc, -1, v65, vcc
	v_cmp_gt_i64_e32 vcc, s[12:13], v[4:5]
	s_and_b64 s[22:23], s[2:3], vcc
	s_and_saveexec_b64 s[8:9], s[22:23]
	s_cbranch_execz .LBB180_12
; %bb.11:                               ;   in Loop: Header=BB180_3 Depth=1
	v_add_co_u32_e32 v4, vcc, v54, v28
	v_addc_co_u32_e32 v5, vcc, v51, v29, vcc
	global_load_ushort v2, v[4:5], off
	v_add_co_u32_e32 v4, vcc, v56, v28
	v_addc_co_u32_e32 v5, vcc, v53, v29, vcc
	global_load_ushort v4, v[4:5], off
	s_waitcnt vmcnt(1)
	v_cvt_f32_f16_e32 v19, v2
	s_waitcnt vmcnt(0)
	v_cvt_f32_f16_e32 v11, v4
.LBB180_12:                             ;   in Loop: Header=BB180_3 Depth=1
	s_or_b64 exec, exec, s[8:9]
	v_add_co_u32_e32 v4, vcc, 0xffffffc3, v64
	v_addc_co_u32_e32 v5, vcc, -1, v65, vcc
	v_cmp_gt_i64_e32 vcc, s[12:13], v[4:5]
	s_and_b64 s[22:23], s[2:3], vcc
	s_and_saveexec_b64 s[8:9], s[22:23]
	s_cbranch_execz .LBB180_14
; %bb.13:                               ;   in Loop: Header=BB180_3 Depth=1
	v_add_co_u32_e32 v4, vcc, v50, v28
	v_addc_co_u32_e32 v5, vcc, v47, v29, vcc
	global_load_ushort v2, v[4:5], off
	v_add_co_u32_e32 v4, vcc, v52, v28
	v_addc_co_u32_e32 v5, vcc, v49, v29, vcc
	global_load_ushort v4, v[4:5], off
	s_waitcnt vmcnt(1)
	v_cvt_f32_f16_e32 v20, v2
	s_waitcnt vmcnt(0)
	v_cvt_f32_f16_e32 v12, v4
.LBB180_14:                             ;   in Loop: Header=BB180_3 Depth=1
	;; [unrolled: 19-line block ×7, first 2 shown]
	s_or_b64 exec, exec, s[8:9]
	s_waitcnt vmcnt(0)
	ds_bpermute_b32 v4, v62, v66 offset:4
	ds_bpermute_b32 v5, v62, v66 offset:8
	ds_bpermute_b32 v2, v62, v66
	v_mul_f32_e32 v8, v10, v18
	v_pk_mul_f32 v[10:11], v[10:11], v[18:19]
	v_pk_mul_f32 v[12:13], v[12:13], v[20:21]
	v_mov_b32_e32 v10, v11
	v_mov_b32_e32 v11, v12
	s_waitcnt lgkmcnt(1)
	v_pk_mul_f32 v[4:5], v[10:11], v[4:5]
	ds_bpermute_b32 v10, v62, v66 offset:12
	ds_bpermute_b32 v11, v62, v66 offset:16
	s_waitcnt lgkmcnt(2)
	v_fma_f32 v2, v8, v2, v63
	v_pk_mul_f32 v[8:9], v[14:15], v[22:23]
	v_add_f32_e32 v2, v2, v4
	v_add_f32_e32 v2, v2, v5
	v_mov_b32_e32 v4, v13
	v_mov_b32_e32 v5, v8
	s_waitcnt lgkmcnt(0)
	v_pk_mul_f32 v[4:5], v[4:5], v[10:11]
	ds_bpermute_b32 v10, v62, v66 offset:20
	ds_bpermute_b32 v11, v62, v66 offset:24
	v_pk_mul_f32 v[6:7], v[16:17], v[24:25]
	v_add_f32_e32 v2, v2, v4
	ds_bpermute_b32 v4, v62, v66 offset:28
	v_mov_b32_e32 v8, v9
	v_mov_b32_e32 v9, v6
	v_add_f32_e32 v2, v2, v5
	s_waitcnt lgkmcnt(1)
	v_pk_mul_f32 v[6:7], v[8:9], v[10:11]
	v_add_f32_e32 v2, v2, v6
	v_add_f32_e32 v2, v2, v7
	s_branch .LBB180_40
.LBB180_25:                             ;   in Loop: Header=BB180_3 Depth=1
                                        ; implicit-def: $vgpr2
                                        ; implicit-def: $vgpr10_vgpr11_vgpr12_vgpr13_vgpr14_vgpr15_vgpr16_vgpr17
                                        ; implicit-def: $vgpr18_vgpr19_vgpr20_vgpr21_vgpr22_vgpr23_vgpr24_vgpr25
                                        ; implicit-def: $vgpr4
	s_cbranch_execz .LBB180_40
; %bb.26:                               ;   in Loop: Header=BB180_3 Depth=1
	s_load_dword s8, s[30:31], 0x0
	v_mov_b32_e32 v66, 0
	s_waitcnt lgkmcnt(0)
	s_cmp_lt_u32 s6, s8
	s_cselect_b32 s8, 12, 18
	s_add_u32 s8, s30, s8
	s_addc_u32 s9, s31, 0
	global_load_ushort v2, v3, s[8:9]
	s_waitcnt vmcnt(0)
	v_mad_u32_u24 v2, v61, v2, v59
	v_and_b32_e32 v2, 63, v2
	v_cmp_gt_u32_e32 vcc, 8, v2
	s_and_saveexec_b64 s[8:9], vcc
	s_cbranch_execz .LBB180_30
; %bb.27:                               ;   in Loop: Header=BB180_3 Depth=1
	v_add_co_u32_e32 v2, vcc, v64, v2
	v_addc_co_u32_e32 v5, vcc, 0, v65, vcc
	v_add_co_u32_e32 v4, vcc, 0xffffffc1, v2
	v_addc_co_u32_e32 v5, vcc, -1, v5, vcc
	v_cmp_gt_i64_e32 vcc, s[12:13], v[4:5]
	v_mov_b32_e32 v66, 0
	s_and_saveexec_b64 s[22:23], vcc
	s_cbranch_execz .LBB180_29
; %bb.28:                               ;   in Loop: Header=BB180_3 Depth=1
	v_lshlrev_b64 v[4:5], 2, v[4:5]
	v_mov_b32_e32 v2, s11
	v_add_co_u32_e32 v4, vcc, s10, v4
	v_addc_co_u32_e32 v5, vcc, v2, v5, vcc
	global_load_dword v66, v[4:5], off
.LBB180_29:                             ;   in Loop: Header=BB180_3 Depth=1
	s_or_b64 exec, exec, s[22:23]
.LBB180_30:                             ;   in Loop: Header=BB180_3 Depth=1
	s_or_b64 exec, exec, s[8:9]
	s_mov_b32 s21, s20
	s_mov_b32 s22, s20
	;; [unrolled: 1-line block ×7, first 2 shown]
	v_pk_mov_b32 v[10:11], s[20:21], s[20:21] op_sel:[0,1]
	v_pk_mov_b32 v[16:17], s[26:27], s[26:27] op_sel:[0,1]
	;; [unrolled: 1-line block ×8, first 2 shown]
	s_and_saveexec_b64 s[8:9], s[2:3]
	s_cbranch_execnz .LBB180_42
; %bb.31:                               ;   in Loop: Header=BB180_3 Depth=1
	s_or_b64 exec, exec, s[8:9]
	s_and_saveexec_b64 s[8:9], s[2:3]
	s_cbranch_execnz .LBB180_43
.LBB180_32:                             ;   in Loop: Header=BB180_3 Depth=1
	s_or_b64 exec, exec, s[8:9]
	s_and_saveexec_b64 s[8:9], s[2:3]
	s_cbranch_execnz .LBB180_44
.LBB180_33:                             ;   in Loop: Header=BB180_3 Depth=1
	s_or_b64 exec, exec, s[8:9]
	s_and_saveexec_b64 s[8:9], s[2:3]
	s_cbranch_execnz .LBB180_45
.LBB180_34:                             ;   in Loop: Header=BB180_3 Depth=1
	s_or_b64 exec, exec, s[8:9]
	s_and_saveexec_b64 s[8:9], s[2:3]
	s_cbranch_execnz .LBB180_46
.LBB180_35:                             ;   in Loop: Header=BB180_3 Depth=1
	s_or_b64 exec, exec, s[8:9]
	s_and_saveexec_b64 s[8:9], s[2:3]
	s_cbranch_execnz .LBB180_47
.LBB180_36:                             ;   in Loop: Header=BB180_3 Depth=1
	s_or_b64 exec, exec, s[8:9]
	s_and_saveexec_b64 s[8:9], s[2:3]
	s_cbranch_execnz .LBB180_48
.LBB180_37:                             ;   in Loop: Header=BB180_3 Depth=1
	s_or_b64 exec, exec, s[8:9]
	s_and_saveexec_b64 s[8:9], s[2:3]
	s_cbranch_execz .LBB180_39
.LBB180_38:                             ;   in Loop: Header=BB180_3 Depth=1
	v_add_co_u32_e32 v4, vcc, v30, v28
	v_addc_co_u32_e32 v5, vcc, v1, v29, vcc
	global_load_ushort v2, v[4:5], off
	v_add_co_u32_e32 v4, vcc, v32, v28
	v_addc_co_u32_e32 v5, vcc, v27, v29, vcc
	global_load_ushort v4, v[4:5], off
	s_waitcnt vmcnt(1)
	v_cvt_f32_f16_e32 v25, v2
	s_waitcnt vmcnt(0)
	v_cvt_f32_f16_e32 v17, v4
.LBB180_39:                             ;   in Loop: Header=BB180_3 Depth=1
	s_or_b64 exec, exec, s[8:9]
	s_waitcnt vmcnt(0)
	ds_bpermute_b32 v4, v62, v66 offset:4
	ds_bpermute_b32 v5, v62, v66 offset:8
	ds_bpermute_b32 v2, v62, v66
	v_mul_f32_e32 v8, v10, v18
	v_pk_mul_f32 v[10:11], v[10:11], v[18:19]
	v_pk_mul_f32 v[12:13], v[12:13], v[20:21]
	v_mov_b32_e32 v10, v11
	v_mov_b32_e32 v11, v12
	s_waitcnt lgkmcnt(1)
	v_pk_mul_f32 v[4:5], v[10:11], v[4:5]
	ds_bpermute_b32 v10, v62, v66 offset:12
	ds_bpermute_b32 v11, v62, v66 offset:16
	s_waitcnt lgkmcnt(2)
	v_fmac_f32_e32 v63, v8, v2
	v_pk_mul_f32 v[8:9], v[14:15], v[22:23]
	v_add_f32_e32 v2, v63, v4
	v_add_f32_e32 v2, v2, v5
	v_mov_b32_e32 v4, v13
	v_mov_b32_e32 v5, v8
	s_waitcnt lgkmcnt(0)
	v_pk_mul_f32 v[4:5], v[4:5], v[10:11]
	ds_bpermute_b32 v10, v62, v66 offset:20
	ds_bpermute_b32 v11, v62, v66 offset:24
	v_pk_mul_f32 v[6:7], v[16:17], v[24:25]
	v_add_f32_e32 v2, v2, v4
	v_mov_b32_e32 v8, v9
	v_mov_b32_e32 v9, v6
	v_add_f32_e32 v2, v2, v5
	s_waitcnt lgkmcnt(0)
	v_pk_mul_f32 v[6:7], v[8:9], v[10:11]
	v_add_f32_e32 v2, v2, v6
	ds_bpermute_b32 v4, v62, v66 offset:28
	v_add_f32_e32 v2, v2, v7
.LBB180_40:                             ;   in Loop: Header=BB180_3 Depth=1
	v_mul_f32_e32 v5, v25, v17
	s_waitcnt lgkmcnt(0)
	v_fmac_f32_e32 v2, v5, v4
	v_mov_b32_e32 v4, s35
	v_add_co_u32_e32 v30, vcc, s34, v30
	v_addc_co_u32_e32 v1, vcc, v1, v4, vcc
	v_add_co_u32_e32 v32, vcc, s34, v32
	v_addc_co_u32_e32 v27, vcc, v27, v4, vcc
	v_add_co_u32_e32 v34, vcc, s34, v34
	v_addc_co_u32_e32 v31, vcc, v31, v4, vcc
	v_add_co_u32_e32 v36, vcc, s34, v36
	v_addc_co_u32_e32 v33, vcc, v33, v4, vcc
	v_add_co_u32_e32 v38, vcc, s34, v38
	v_addc_co_u32_e32 v35, vcc, v35, v4, vcc
	v_add_co_u32_e32 v40, vcc, s34, v40
	v_addc_co_u32_e32 v37, vcc, v37, v4, vcc
	v_add_co_u32_e32 v42, vcc, s34, v42
	v_addc_co_u32_e32 v39, vcc, v39, v4, vcc
	v_add_co_u32_e32 v44, vcc, s34, v44
	v_addc_co_u32_e32 v41, vcc, v41, v4, vcc
	v_add_co_u32_e32 v46, vcc, s34, v46
	v_addc_co_u32_e32 v43, vcc, v43, v4, vcc
	v_add_co_u32_e32 v48, vcc, s34, v48
	v_addc_co_u32_e32 v45, vcc, v45, v4, vcc
	v_add_co_u32_e32 v50, vcc, s34, v50
	v_addc_co_u32_e32 v47, vcc, v47, v4, vcc
	v_add_co_u32_e32 v52, vcc, s34, v52
	v_addc_co_u32_e32 v49, vcc, v49, v4, vcc
	v_add_co_u32_e32 v54, vcc, s34, v54
	v_addc_co_u32_e32 v51, vcc, v51, v4, vcc
	v_add_co_u32_e32 v56, vcc, s34, v56
	v_addc_co_u32_e32 v53, vcc, v53, v4, vcc
	v_add_co_u32_e32 v58, vcc, s34, v58
	v_addc_co_u32_e32 v55, vcc, v55, v4, vcc
	s_add_u32 s38, s38, s7
	v_add_co_u32_e32 v60, vcc, s34, v60
	s_addc_u32 s39, s39, 0
	v_addc_co_u32_e32 v57, vcc, v57, v4, vcc
	v_pk_mov_b32 v[4:5], s[12:13], s[12:13] op_sel:[0,1]
	s_add_u32 s36, s36, s7
	v_cmp_lt_i64_e32 vcc, s[38:39], v[4:5]
	s_addc_u32 s37, s37, 0
	s_cbranch_vccz .LBB180_50
; %bb.41:                               ;   in Loop: Header=BB180_3 Depth=1
	v_mov_b32_e32 v63, v2
	s_branch .LBB180_3
.LBB180_42:                             ;   in Loop: Header=BB180_3 Depth=1
	v_add_co_u32_e32 v4, vcc, v58, v28
	v_addc_co_u32_e32 v5, vcc, v55, v29, vcc
	global_load_ushort v2, v[4:5], off
	v_add_co_u32_e32 v4, vcc, v60, v28
	v_addc_co_u32_e32 v5, vcc, v57, v29, vcc
	global_load_ushort v10, v[4:5], off
	v_mov_b32_e32 v8, v3
	v_mov_b32_e32 v9, v3
	v_mov_b32_e32 v4, v3
	v_mov_b32_e32 v5, v3
	v_mov_b32_e32 v6, v3
	v_mov_b32_e32 v7, v3
	v_mov_b32_e32 v11, v3
	v_mov_b32_e32 v12, v3
	v_mov_b32_e32 v13, v3
	v_mov_b32_e32 v14, v3
	v_mov_b32_e32 v15, v3
	v_mov_b32_e32 v16, v3
	v_mov_b32_e32 v17, v3
	s_waitcnt vmcnt(1)
	v_cvt_f32_f16_e32 v2, v2
	v_pk_mov_b32 v[24:25], v[8:9], v[8:9] op_sel:[0,1]
	v_pk_mov_b32 v[22:23], v[6:7], v[6:7] op_sel:[0,1]
	;; [unrolled: 1-line block ×4, first 2 shown]
	s_waitcnt vmcnt(0)
	v_cvt_f32_f16_e32 v10, v10
	s_or_b64 exec, exec, s[8:9]
	s_and_saveexec_b64 s[8:9], s[2:3]
	s_cbranch_execz .LBB180_32
.LBB180_43:                             ;   in Loop: Header=BB180_3 Depth=1
	v_add_co_u32_e32 v4, vcc, v54, v28
	v_addc_co_u32_e32 v5, vcc, v51, v29, vcc
	global_load_ushort v2, v[4:5], off
	v_add_co_u32_e32 v4, vcc, v56, v28
	v_addc_co_u32_e32 v5, vcc, v53, v29, vcc
	global_load_ushort v4, v[4:5], off
	s_waitcnt vmcnt(1)
	v_cvt_f32_f16_e32 v19, v2
	s_waitcnt vmcnt(0)
	v_cvt_f32_f16_e32 v11, v4
	s_or_b64 exec, exec, s[8:9]
	s_and_saveexec_b64 s[8:9], s[2:3]
	s_cbranch_execz .LBB180_33
.LBB180_44:                             ;   in Loop: Header=BB180_3 Depth=1
	v_add_co_u32_e32 v4, vcc, v50, v28
	v_addc_co_u32_e32 v5, vcc, v47, v29, vcc
	global_load_ushort v2, v[4:5], off
	v_add_co_u32_e32 v4, vcc, v52, v28
	v_addc_co_u32_e32 v5, vcc, v49, v29, vcc
	global_load_ushort v4, v[4:5], off
	s_waitcnt vmcnt(1)
	v_cvt_f32_f16_e32 v20, v2
	s_waitcnt vmcnt(0)
	v_cvt_f32_f16_e32 v12, v4
	s_or_b64 exec, exec, s[8:9]
	s_and_saveexec_b64 s[8:9], s[2:3]
	s_cbranch_execz .LBB180_34
.LBB180_45:                             ;   in Loop: Header=BB180_3 Depth=1
	v_add_co_u32_e32 v4, vcc, v46, v28
	v_addc_co_u32_e32 v5, vcc, v43, v29, vcc
	global_load_ushort v2, v[4:5], off
	v_add_co_u32_e32 v4, vcc, v48, v28
	v_addc_co_u32_e32 v5, vcc, v45, v29, vcc
	global_load_ushort v4, v[4:5], off
	s_waitcnt vmcnt(1)
	v_cvt_f32_f16_e32 v21, v2
	s_waitcnt vmcnt(0)
	v_cvt_f32_f16_e32 v13, v4
	s_or_b64 exec, exec, s[8:9]
	s_and_saveexec_b64 s[8:9], s[2:3]
	s_cbranch_execz .LBB180_35
.LBB180_46:                             ;   in Loop: Header=BB180_3 Depth=1
	v_add_co_u32_e32 v4, vcc, v42, v28
	v_addc_co_u32_e32 v5, vcc, v39, v29, vcc
	global_load_ushort v2, v[4:5], off
	v_add_co_u32_e32 v4, vcc, v44, v28
	v_addc_co_u32_e32 v5, vcc, v41, v29, vcc
	global_load_ushort v4, v[4:5], off
	s_waitcnt vmcnt(1)
	v_cvt_f32_f16_e32 v22, v2
	s_waitcnt vmcnt(0)
	v_cvt_f32_f16_e32 v14, v4
	s_or_b64 exec, exec, s[8:9]
	s_and_saveexec_b64 s[8:9], s[2:3]
	s_cbranch_execz .LBB180_36
.LBB180_47:                             ;   in Loop: Header=BB180_3 Depth=1
	v_add_co_u32_e32 v4, vcc, v38, v28
	v_addc_co_u32_e32 v5, vcc, v35, v29, vcc
	global_load_ushort v2, v[4:5], off
	v_add_co_u32_e32 v4, vcc, v40, v28
	v_addc_co_u32_e32 v5, vcc, v37, v29, vcc
	global_load_ushort v4, v[4:5], off
	s_waitcnt vmcnt(1)
	v_cvt_f32_f16_e32 v23, v2
	s_waitcnt vmcnt(0)
	v_cvt_f32_f16_e32 v15, v4
	s_or_b64 exec, exec, s[8:9]
	s_and_saveexec_b64 s[8:9], s[2:3]
	s_cbranch_execz .LBB180_37
.LBB180_48:                             ;   in Loop: Header=BB180_3 Depth=1
	v_add_co_u32_e32 v4, vcc, v34, v28
	v_addc_co_u32_e32 v5, vcc, v31, v29, vcc
	global_load_ushort v2, v[4:5], off
	v_add_co_u32_e32 v4, vcc, v36, v28
	v_addc_co_u32_e32 v5, vcc, v33, v29, vcc
	global_load_ushort v4, v[4:5], off
	s_waitcnt vmcnt(1)
	v_cvt_f32_f16_e32 v24, v2
	s_waitcnt vmcnt(0)
	v_cvt_f32_f16_e32 v16, v4
	s_or_b64 exec, exec, s[8:9]
	s_and_saveexec_b64 s[8:9], s[2:3]
	s_cbranch_execnz .LBB180_38
	s_branch .LBB180_39
.LBB180_49:
                                        ; implicit-def: $vgpr2
	s_branch .LBB180_51
.LBB180_50:
	s_cbranch_execnz .LBB180_83
.LBB180_51:
	s_and_b64 vcc, exec, s[0:1]
	v_mov_b32_e32 v2, 0
	s_cbranch_vccnz .LBB180_83
; %bb.52:
	s_load_dword s0, s[4:5], 0x44
	s_add_u32 s2, s4, 64
	s_addc_u32 s3, s5, 0
	v_bfe_u32 v85, v0, 10, 10
	v_lshlrev_b32_e32 v1, 4, v85
	s_waitcnt lgkmcnt(0)
	s_lshl_b32 s7, s0, 6
	s_add_u32 s8, s28, 63
	s_addc_u32 s9, 0, 0
	s_lshl_b64 s[0:1], s[28:29], 1
	v_mov_b32_e32 v2, s1
	v_add_co_u32_e32 v1, vcc, s0, v1
	v_addc_co_u32_e32 v4, vcc, 0, v2, vcc
	v_add_co_u32_e32 v6, vcc, 2, v1
	v_addc_co_u32_e32 v5, vcc, 0, v4, vcc
	v_add_co_u32_e32 v9, vcc, 4, v1
	v_mul_lo_u32 v7, s14, v5
	v_addc_co_u32_e32 v5, vcc, 0, v4, vcc
	v_add_co_u32_e32 v12, vcc, 6, v1
	v_mul_lo_u32 v10, s14, v5
	;; [unrolled: 3-line block ×5, first 2 shown]
	v_addc_co_u32_e32 v5, vcc, 0, v4, vcc
	v_add_co_u32_e32 v24, vcc, 14, v1
	v_lshlrev_b32_e32 v26, 3, v85
	v_addc_co_u32_e32 v1, vcc, 0, v4, vcc
	v_mul_lo_u32 v25, s14, v1
	v_mov_b32_e32 v1, s29
	v_add_co_u32_e32 v43, vcc, s28, v26
	v_pk_mov_b32 v[2:3], s[16:17], s[16:17] op_sel:[0,1]
	v_addc_co_u32_e32 v59, vcc, 0, v1, vcc
	v_mad_u64_u32 v[28:29], s[0:1], s14, v6, v[2:3]
	v_mad_u64_u32 v[30:31], s[0:1], s14, v9, v[2:3]
	v_mad_u64_u32 v[32:33], s[0:1], s14, v12, v[2:3]
	v_mad_u64_u32 v[34:35], s[0:1], s14, v15, v[2:3]
	v_mad_u64_u32 v[36:37], s[0:1], s14, v18, v[2:3]
	v_mad_u64_u32 v[38:39], s[0:1], s14, v21, v[2:3]
	v_mad_u64_u32 v[40:41], s[0:1], s14, v24, v[2:3]
	v_mul_lo_u32 v60, s15, v43
	v_mul_lo_u32 v61, s14, v59
	v_mad_u64_u32 v[2:3], s[0:1], s14, v43, 0
	v_add3_u32 v3, v3, v61, v60
	v_lshlrev_b64 v[2:3], 1, v[2:3]
	v_mul_lo_u32 v22, s14, v5
	v_mov_b32_e32 v81, s17
	v_add_co_u32_e32 v42, vcc, s16, v2
	v_pk_mov_b32 v[4:5], s[18:19], s[18:19] op_sel:[0,1]
	v_mul_lo_u32 v17, s15, v15
	v_addc_co_u32_e32 v1, vcc, v81, v3, vcc
	v_mad_u64_u32 v[50:51], s[0:1], s14, v15, v[4:5]
	v_add3_u32 v35, v17, v35, v16
	v_mul_lo_u32 v27, s15, v24
	v_add3_u32 v51, v17, v51, v16
	v_mad_u64_u32 v[56:57], s[0:1], s14, v24, v[4:5]
	v_mov_b32_e32 v16, s19
	v_add_co_u32_e32 v58, vcc, s18, v2
	v_add3_u32 v41, v27, v41, v25
	v_add3_u32 v57, v27, v57, v25
	v_addc_co_u32_e32 v27, vcc, v16, v3, vcc
	v_add_co_u32_e32 v2, vcc, 7, v43
	v_addc_co_u32_e32 v3, vcc, 0, v59, vcc
	v_mad_u64_u32 v[44:45], s[0:1], s14, v6, v[4:5]
	v_mad_u64_u32 v[46:47], s[0:1], s14, v9, v[4:5]
	;; [unrolled: 1-line block ×5, first 2 shown]
	v_mul_lo_u32 v4, s15, v2
	v_mul_lo_u32 v5, s14, v3
	v_mad_u64_u32 v[2:3], s[0:1], s14, v2, 0
	v_add3_u32 v3, v3, v5, v4
	v_add_co_u32_e32 v4, vcc, 6, v43
	v_mul_lo_u32 v8, s15, v6
	v_addc_co_u32_e32 v5, vcc, 0, v59, vcc
	v_add3_u32 v29, v8, v29, v7
	v_add3_u32 v45, v8, v45, v7
	v_mul_lo_u32 v6, s15, v4
	v_mul_lo_u32 v7, s14, v5
	v_mad_u64_u32 v[4:5], s[0:1], s14, v4, 0
	v_add3_u32 v5, v5, v7, v6
	v_add_co_u32_e32 v6, vcc, 5, v43
	v_addc_co_u32_e32 v7, vcc, 0, v59, vcc
	v_mul_lo_u32 v11, s15, v9
	v_mul_lo_u32 v8, s15, v6
	;; [unrolled: 1-line block ×3, first 2 shown]
	v_mad_u64_u32 v[6:7], s[0:1], s14, v6, 0
	v_add3_u32 v7, v7, v9, v8
	v_add_co_u32_e32 v8, vcc, 4, v43
	v_addc_co_u32_e32 v9, vcc, 0, v59, vcc
	v_add3_u32 v31, v11, v31, v10
	v_add3_u32 v47, v11, v47, v10
	v_mul_lo_u32 v10, s15, v8
	v_mul_lo_u32 v11, s14, v9
	v_mad_u64_u32 v[8:9], s[0:1], s14, v8, 0
	v_add3_u32 v9, v9, v11, v10
	v_add_co_u32_e32 v10, vcc, 3, v43
	v_mul_lo_u32 v14, s15, v12
	v_addc_co_u32_e32 v11, vcc, 0, v59, vcc
	v_add3_u32 v33, v14, v33, v13
	v_add3_u32 v49, v14, v49, v13
	v_mul_lo_u32 v12, s15, v10
	v_mul_lo_u32 v13, s14, v11
	v_mad_u64_u32 v[10:11], s[0:1], s14, v10, 0
	v_add3_u32 v11, v11, v13, v12
	v_add_co_u32_e32 v12, vcc, 2, v43
	v_addc_co_u32_e32 v13, vcc, 0, v59, vcc
	v_mul_lo_u32 v14, s15, v12
	v_mul_lo_u32 v15, s14, v13
	v_mad_u64_u32 v[12:13], s[0:1], s14, v12, 0
	v_add3_u32 v13, v13, v15, v14
	v_pk_mov_b32 v[14:15], s[14:15], s[14:15] op_sel:[0,1]
	v_lshlrev_b64 v[2:3], 1, v[2:3]
	v_mad_u64_u32 v[14:15], s[0:1], s14, v43, v[14:15]
	v_add3_u32 v15, v60, v15, v61
	v_add_co_u32_e32 v60, vcc, s16, v2
	v_addc_co_u32_e32 v43, vcc, v81, v3, vcc
	v_add_co_u32_e32 v62, vcc, s18, v2
	v_addc_co_u32_e32 v59, vcc, v16, v3, vcc
	v_lshlrev_b64 v[2:3], 1, v[4:5]
	v_add_co_u32_e32 v64, vcc, s16, v2
	v_addc_co_u32_e32 v61, vcc, v81, v3, vcc
	v_add_co_u32_e32 v66, vcc, s18, v2
	v_addc_co_u32_e32 v63, vcc, v16, v3, vcc
	v_lshlrev_b64 v[2:3], 1, v[6:7]
	;; [unrolled: 5-line block ×6, first 2 shown]
	v_add_co_u32_e32 v84, vcc, s16, v2
	v_addc_co_u32_e32 v81, vcc, v81, v3, vcc
	v_mbcnt_lo_u32_b32 v4, -1, 0
	v_add_co_u32_e32 v86, vcc, s18, v2
	v_and_b32_e32 v87, 0x3ff, v0
	s_mul_i32 s0, s15, s7
	s_mul_hi_u32 s1, s14, s7
	v_mbcnt_hi_u32_b32 v4, -1, v4
	v_mul_lo_u32 v20, s15, v18
	v_mul_lo_u32 v23, s15, v21
	v_addc_co_u32_e32 v83, vcc, v16, v3, vcc
	v_add_u32_e32 v2, s33, v87
	v_mov_b32_e32 v3, 0
	s_add_i32 s1, s1, s0
	s_mul_i32 s0, s14, s7
	v_lshlrev_b32_e32 v4, 2, v4
	v_add3_u32 v37, v20, v37, v19
	v_add3_u32 v39, v23, v39, v22
	;; [unrolled: 1-line block ×4, first 2 shown]
	s_mov_b32 s16, 0
	s_lshl_b64 s[24:25], s[0:1], 1
	v_and_b32_e32 v90, 0x100, v4
	v_mov_b32_e32 v91, 0
	v_lshlrev_b64 v[88:89], 1, v[2:3]
.LBB180_53:                             ; =>This Inner Loop Header: Depth=1
	v_pk_mov_b32 v[4:5], s[12:13], s[12:13] op_sel:[0,1]
	v_cmp_ge_i64_e32 vcc, s[8:9], v[4:5]
	v_mov_b32_e32 v2, s9
	v_add_co_u32_e64 v92, s[0:1], s8, v26
	v_addc_co_u32_e64 v93, s[0:1], 0, v2, s[0:1]
	s_cbranch_vccz .LBB180_75
; %bb.54:                               ;   in Loop: Header=BB180_53 Depth=1
	s_load_dword s0, s[2:3], 0xc
	v_mov_b32_e32 v94, 0
	s_waitcnt lgkmcnt(0)
	s_and_b32 s0, s0, 0xffff
	v_mad_u32_u24 v2, v85, s0, v87
	v_and_b32_e32 v2, 63, v2
	v_cmp_gt_u32_e32 vcc, 8, v2
	s_and_saveexec_b64 s[0:1], vcc
	s_cbranch_execz .LBB180_58
; %bb.55:                               ;   in Loop: Header=BB180_53 Depth=1
	v_add_co_u32_e32 v2, vcc, v92, v2
	v_addc_co_u32_e32 v5, vcc, 0, v93, vcc
	v_add_co_u32_e32 v4, vcc, 0xffffffc1, v2
	v_addc_co_u32_e32 v5, vcc, -1, v5, vcc
	v_cmp_gt_i64_e32 vcc, s[12:13], v[4:5]
	v_mov_b32_e32 v94, 0
	s_and_saveexec_b64 s[18:19], vcc
	s_cbranch_execz .LBB180_57
; %bb.56:                               ;   in Loop: Header=BB180_53 Depth=1
	v_lshlrev_b64 v[4:5], 2, v[4:5]
	v_mov_b32_e32 v2, s11
	v_add_co_u32_e32 v4, vcc, s10, v4
	v_addc_co_u32_e32 v5, vcc, v2, v5, vcc
	global_load_dword v94, v[4:5], off
.LBB180_57:                             ;   in Loop: Header=BB180_53 Depth=1
	s_or_b64 exec, exec, s[18:19]
.LBB180_58:                             ;   in Loop: Header=BB180_53 Depth=1
	s_or_b64 exec, exec, s[0:1]
	s_mov_b32 s17, s16
	s_mov_b32 s18, s16
	;; [unrolled: 1-line block ×7, first 2 shown]
	v_pk_mov_b32 v[10:11], s[16:17], s[16:17] op_sel:[0,1]
	v_add_co_u32_e32 v4, vcc, 0xffffffc1, v92
	v_pk_mov_b32 v[16:17], s[22:23], s[22:23] op_sel:[0,1]
	v_addc_co_u32_e32 v5, vcc, -1, v93, vcc
	v_pk_mov_b32 v[12:13], s[18:19], s[18:19] op_sel:[0,1]
	v_pk_mov_b32 v[14:15], s[20:21], s[20:21] op_sel:[0,1]
	;; [unrolled: 1-line block ×3, first 2 shown]
	v_cmp_gt_i64_e32 vcc, s[12:13], v[4:5]
	v_pk_mov_b32 v[22:23], v[14:15], v[14:15] op_sel:[0,1]
	v_pk_mov_b32 v[20:21], v[12:13], v[12:13] op_sel:[0,1]
	;; [unrolled: 1-line block ×3, first 2 shown]
	s_and_saveexec_b64 s[0:1], vcc
	s_cbranch_execz .LBB180_60
; %bb.59:                               ;   in Loop: Header=BB180_53 Depth=1
	v_add_co_u32_e32 v4, vcc, v42, v88
	v_addc_co_u32_e32 v5, vcc, v1, v89, vcc
	global_load_ushort v2, v[4:5], off
	v_add_co_u32_e32 v4, vcc, v58, v88
	v_addc_co_u32_e32 v5, vcc, v27, v89, vcc
	global_load_ushort v10, v[4:5], off
	v_mov_b32_e32 v8, v3
	v_mov_b32_e32 v9, v3
	;; [unrolled: 1-line block ×13, first 2 shown]
	s_waitcnt vmcnt(1)
	v_cvt_f32_f16_e32 v2, v2
	v_pk_mov_b32 v[24:25], v[8:9], v[8:9] op_sel:[0,1]
	v_pk_mov_b32 v[22:23], v[6:7], v[6:7] op_sel:[0,1]
	;; [unrolled: 1-line block ×4, first 2 shown]
	s_waitcnt vmcnt(0)
	v_cvt_f32_f16_e32 v10, v10
.LBB180_60:                             ;   in Loop: Header=BB180_53 Depth=1
	s_or_b64 exec, exec, s[0:1]
	v_add_co_u32_e32 v4, vcc, 0xffffffc2, v92
	v_addc_co_u32_e32 v5, vcc, -1, v93, vcc
	v_cmp_gt_i64_e32 vcc, s[12:13], v[4:5]
	s_and_saveexec_b64 s[0:1], vcc
	s_cbranch_execz .LBB180_62
; %bb.61:                               ;   in Loop: Header=BB180_53 Depth=1
	v_add_co_u32_e32 v4, vcc, v84, v88
	v_addc_co_u32_e32 v5, vcc, v81, v89, vcc
	global_load_ushort v2, v[4:5], off
	v_add_co_u32_e32 v4, vcc, v86, v88
	v_addc_co_u32_e32 v5, vcc, v83, v89, vcc
	global_load_ushort v4, v[4:5], off
	s_waitcnt vmcnt(1)
	v_cvt_f32_f16_e32 v19, v2
	s_waitcnt vmcnt(0)
	v_cvt_f32_f16_e32 v11, v4
.LBB180_62:                             ;   in Loop: Header=BB180_53 Depth=1
	s_or_b64 exec, exec, s[0:1]
	v_add_co_u32_e32 v4, vcc, 0xffffffc3, v92
	v_addc_co_u32_e32 v5, vcc, -1, v93, vcc
	v_cmp_gt_i64_e32 vcc, s[12:13], v[4:5]
	s_and_saveexec_b64 s[0:1], vcc
	s_cbranch_execz .LBB180_64
; %bb.63:                               ;   in Loop: Header=BB180_53 Depth=1
	v_add_co_u32_e32 v4, vcc, v80, v88
	v_addc_co_u32_e32 v5, vcc, v77, v89, vcc
	global_load_ushort v2, v[4:5], off
	v_add_co_u32_e32 v4, vcc, v82, v88
	v_addc_co_u32_e32 v5, vcc, v79, v89, vcc
	global_load_ushort v4, v[4:5], off
	s_waitcnt vmcnt(1)
	v_cvt_f32_f16_e32 v20, v2
	s_waitcnt vmcnt(0)
	v_cvt_f32_f16_e32 v12, v4
.LBB180_64:                             ;   in Loop: Header=BB180_53 Depth=1
	;; [unrolled: 18-line block ×7, first 2 shown]
	s_or_b64 exec, exec, s[0:1]
	s_waitcnt vmcnt(0)
	ds_bpermute_b32 v4, v90, v94
	ds_bpermute_b32 v5, v90, v94 offset:4
	v_pk_mul_f32 v[8:9], v[14:15], v[22:23]
	ds_bpermute_b32 v14, v90, v94 offset:8
	ds_bpermute_b32 v15, v90, v94 offset:12
	v_pk_mul_f32 v[10:11], v[10:11], v[18:19]
	s_waitcnt lgkmcnt(2)
	v_pk_mul_f32 v[4:5], v[10:11], v[4:5]
	ds_bpermute_b32 v10, v90, v94 offset:16
	ds_bpermute_b32 v11, v90, v94 offset:20
	v_pk_mul_f32 v[12:13], v[12:13], v[20:21]
	v_add_f32_e32 v2, v91, v4
	v_add_f32_e32 v2, v2, v5
	s_waitcnt lgkmcnt(2)
	v_pk_mul_f32 v[4:5], v[12:13], v[14:15]
	ds_bpermute_b32 v12, v90, v94 offset:24
	ds_bpermute_b32 v13, v90, v94 offset:28
	v_add_f32_e32 v2, v2, v4
	v_add_f32_e32 v2, v2, v5
	s_waitcnt lgkmcnt(2)
	v_pk_mul_f32 v[4:5], v[8:9], v[10:11]
	v_pk_mul_f32 v[6:7], v[16:17], v[24:25]
	v_add_f32_e32 v2, v2, v4
	v_add_f32_e32 v2, v2, v5
	s_waitcnt lgkmcnt(0)
	v_pk_mul_f32 v[4:5], v[6:7], v[12:13]
	v_add_f32_e32 v2, v2, v4
	v_add_f32_e32 v2, v2, v5
	s_branch .LBB180_81
.LBB180_75:                             ;   in Loop: Header=BB180_53 Depth=1
                                        ; implicit-def: $vgpr2
	s_cbranch_execz .LBB180_81
; %bb.76:                               ;   in Loop: Header=BB180_53 Depth=1
	s_load_dword s0, s[2:3], 0x0
	s_waitcnt lgkmcnt(0)
	s_cmp_lt_u32 s6, s0
	s_cselect_b32 s0, 12, 18
	s_add_u32 s0, s2, s0
	s_addc_u32 s1, s3, 0
	global_load_ushort v2, v3, s[0:1]
	s_waitcnt vmcnt(0)
	v_mad_u32_u24 v2, v85, v2, v87
	v_and_b32_e32 v4, 63, v2
	v_cmp_gt_u32_e32 vcc, 8, v4
	v_mov_b32_e32 v2, 0
	s_and_saveexec_b64 s[0:1], vcc
	s_cbranch_execz .LBB180_80
; %bb.77:                               ;   in Loop: Header=BB180_53 Depth=1
	v_add_co_u32_e32 v2, vcc, v92, v4
	v_addc_co_u32_e32 v5, vcc, 0, v93, vcc
	v_add_co_u32_e32 v4, vcc, 0xffffffc1, v2
	v_addc_co_u32_e32 v5, vcc, -1, v5, vcc
	v_cmp_gt_i64_e32 vcc, s[12:13], v[4:5]
	v_mov_b32_e32 v2, 0
	s_and_saveexec_b64 s[18:19], vcc
	s_cbranch_execz .LBB180_79
; %bb.78:                               ;   in Loop: Header=BB180_53 Depth=1
	v_lshlrev_b64 v[4:5], 2, v[4:5]
	v_mov_b32_e32 v2, s11
	v_add_co_u32_e32 v4, vcc, s10, v4
	v_addc_co_u32_e32 v5, vcc, v2, v5, vcc
	global_load_dword v2, v[4:5], off
.LBB180_79:                             ;   in Loop: Header=BB180_53 Depth=1
	s_or_b64 exec, exec, s[18:19]
.LBB180_80:                             ;   in Loop: Header=BB180_53 Depth=1
	s_or_b64 exec, exec, s[0:1]
	v_add_co_u32_e32 v4, vcc, v42, v88
	v_addc_co_u32_e32 v5, vcc, v1, v89, vcc
	global_load_ushort v6, v[4:5], off
	v_add_co_u32_e32 v4, vcc, v58, v88
	v_addc_co_u32_e32 v5, vcc, v27, v89, vcc
	global_load_ushort v7, v[4:5], off
	;; [unrolled: 3-line block ×16, first 2 shown]
	s_waitcnt vmcnt(16)
	ds_bpermute_b32 v21, v90, v2 offset:4
	s_waitcnt vmcnt(15)
	v_cvt_f32_f16_e32 v5, v6
	s_waitcnt vmcnt(14)
	v_cvt_f32_f16_e32 v6, v7
	v_mul_f32_e32 v5, v5, v6
	s_waitcnt vmcnt(13)
	v_cvt_f32_f16_e32 v7, v8
	s_waitcnt vmcnt(12)
	v_cvt_f32_f16_e32 v8, v9
	v_mul_f32_e32 v6, v7, v8
	;; [unrolled: 5-line block ×3, first 2 shown]
	s_waitcnt vmcnt(9)
	v_cvt_f32_f16_e32 v11, v12
	s_waitcnt vmcnt(8)
	v_cvt_f32_f16_e32 v12, v13
	;; [unrolled: 2-line block ×8, first 2 shown]
	ds_bpermute_b32 v19, v90, v2
	s_waitcnt vmcnt(1)
	v_cvt_f32_f16_e32 v20, v20
	s_waitcnt lgkmcnt(0)
	v_fmac_f32_e32 v91, v5, v19
	ds_bpermute_b32 v5, v90, v2 offset:8
	v_fmac_f32_e32 v91, v6, v21
	ds_bpermute_b32 v6, v90, v2 offset:12
	s_waitcnt vmcnt(0)
	v_cvt_f32_f16_e32 v4, v4
	s_waitcnt lgkmcnt(1)
	v_fmac_f32_e32 v91, v7, v5
	ds_bpermute_b32 v5, v90, v2 offset:16
	v_mul_f32_e32 v7, v11, v12
	s_waitcnt lgkmcnt(1)
	v_fmac_f32_e32 v91, v7, v6
	v_mul_f32_e32 v6, v13, v14
	ds_bpermute_b32 v7, v90, v2 offset:20
	s_waitcnt lgkmcnt(1)
	v_fmac_f32_e32 v91, v6, v5
	ds_bpermute_b32 v5, v90, v2 offset:24
	ds_bpermute_b32 v2, v90, v2 offset:28
	v_mul_f32_e32 v6, v15, v16
	s_waitcnt lgkmcnt(2)
	v_fmac_f32_e32 v91, v6, v7
	v_mul_f32_e32 v6, v17, v18
	s_waitcnt lgkmcnt(1)
	v_fmac_f32_e32 v91, v6, v5
	;; [unrolled: 3-line block ×3, first 2 shown]
	v_mov_b32_e32 v2, v91
.LBB180_81:                             ;   in Loop: Header=BB180_53 Depth=1
	s_add_u32 s28, s28, s7
	s_addc_u32 s29, s29, 0
	v_pk_mov_b32 v[4:5], s[12:13], s[12:13] op_sel:[0,1]
	v_cmp_ge_i64_e32 vcc, s[28:29], v[4:5]
	v_mov_b32_e32 v4, s25
	v_add_co_u32_e64 v28, s[0:1], s24, v28
	v_addc_co_u32_e64 v29, s[0:1], v29, v4, s[0:1]
	v_add_co_u32_e64 v30, s[0:1], s24, v30
	v_addc_co_u32_e64 v31, s[0:1], v31, v4, s[0:1]
	;; [unrolled: 2-line block ×29, first 2 shown]
	v_add_co_u32_e64 v86, s[0:1], s24, v86
	s_add_u32 s8, s8, s7
	v_addc_co_u32_e64 v83, s[0:1], v83, v4, s[0:1]
	s_addc_u32 s9, s9, 0
	s_cbranch_vccnz .LBB180_83
; %bb.82:                               ;   in Loop: Header=BB180_53 Depth=1
	v_mov_b32_e32 v91, v2
	s_branch .LBB180_53
.LBB180_83:
	v_and_b32_e32 v3, 0x3ff, v0
	v_bfe_u32 v0, v0, 10, 10
	v_mad_u32_u24 v4, v0, 33, v3
	v_lshl_add_u32 v5, v4, 2, 0
	ds_write_b32 v5, v2
	v_sub_u32_e32 v2, v4, v0
	s_movk_i32 s0, 0x800
	s_mov_b32 s7, 0
	v_mov_b32_e32 v1, 0
	v_cmp_gt_u32_e32 vcc, s0, v2
	ds_write_b32 v5, v1 offset:1056
	s_waitcnt lgkmcnt(0)
	s_barrier
	s_and_saveexec_b64 s[0:1], vcc
	s_cbranch_execz .LBB180_90
; %bb.84:
	v_mbcnt_lo_u32_b32 v4, -1, 0
	v_mbcnt_hi_u32_b32 v6, -1, v4
	v_and_b32_e32 v4, 64, v6
	v_add_u32_e32 v7, 64, v4
	v_cmp_ne_u32_e64 s[0:1], 0, v3
	v_xor_b32_e32 v3, 4, v6
	v_cmp_lt_i32_e64 s[2:3], v3, v7
	s_load_dwordx2 s[12:13], s[4:5], 0x30
	v_cndmask_b32_e64 v3, v6, v3, s[2:3]
	v_lshlrev_b32_e32 v4, 2, v3
	v_xor_b32_e32 v3, 2, v6
	v_cmp_lt_i32_e64 s[2:3], v3, v7
	v_cndmask_b32_e64 v3, v6, v3, s[2:3]
	s_lshl_b64 s[4:5], s[6:7], 5
	v_lshlrev_b32_e32 v5, 2, v3
	v_xor_b32_e32 v3, 1, v6
	s_waitcnt lgkmcnt(0)
	s_cmp_eq_u64 s[12:13], 0
	v_cmp_lt_i32_e64 s[2:3], v3, v7
	v_lshrrev_b32_e32 v0, 6, v2
	v_and_b32_e32 v2, 63, v2
	s_cselect_b64 s[10:11], -1, 0
	v_cndmask_b32_e64 v3, v6, v3, s[2:3]
	s_lshl_b64 s[2:3], s[6:7], 6
	v_cmp_gt_u32_e32 vcc, 8, v2
	v_mul_u32_u24_e32 v2, 0x84, v2
	v_lshlrev_b32_e32 v6, 2, v3
	v_lshlrev_b32_e32 v3, 2, v0
	s_add_u32 s2, s12, s2
	v_add3_u32 v7, v2, v3, 0
	v_lshlrev_b32_e32 v2, 1, v0
	s_addc_u32 s3, s13, s3
	v_mov_b32_e32 v3, s3
	v_add_co_u32_e64 v2, s[2:3], s2, v2
	s_mov_b64 s[8:9], 0
	v_addc_co_u32_e64 v3, s[2:3], 0, v3, s[2:3]
	v_mov_b32_e32 v8, s5
                                        ; implicit-def: $vgpr9
	s_branch .LBB180_86
.LBB180_85:                             ;   in Loop: Header=BB180_86 Depth=1
	s_or_b64 exec, exec, s[2:3]
	v_add_co_u32_e64 v0, s[2:3], 4, v0
	v_addc_co_u32_e64 v1, s[2:3], 0, v1, s[2:3]
	v_add_u32_e32 v10, -4, v0
	v_cmp_lt_u32_e64 s[2:3], 27, v10
	s_or_b64 s[8:9], s[2:3], s[8:9]
	v_add_co_u32_e64 v2, s[2:3], 8, v2
	v_add_u32_e32 v7, 16, v7
	v_addc_co_u32_e64 v3, s[2:3], 0, v3, s[2:3]
	s_andn2_b64 exec, exec, s[8:9]
	s_cbranch_execz .LBB180_90
.LBB180_86:                             ; =>This Inner Loop Header: Depth=1
	s_and_saveexec_b64 s[2:3], vcc
	s_cbranch_execz .LBB180_88
; %bb.87:                               ;   in Loop: Header=BB180_86 Depth=1
	ds_read_b32 v9, v7
.LBB180_88:                             ;   in Loop: Header=BB180_86 Depth=1
	s_or_b64 exec, exec, s[2:3]
	s_waitcnt lgkmcnt(0)
	ds_bpermute_b32 v10, v4, v9
	s_waitcnt lgkmcnt(0)
	v_add_f32_e32 v9, v9, v10
	ds_bpermute_b32 v10, v5, v9
	s_waitcnt lgkmcnt(0)
	v_add_f32_e32 v9, v9, v10
	ds_bpermute_b32 v12, v6, v9
	v_add_co_u32_e64 v10, s[2:3], s4, v0
	v_addc_co_u32_e64 v11, s[2:3], v8, v1, s[2:3]
	v_cmp_le_i64_e64 s[2:3], s[14:15], v[10:11]
	s_or_b64 s[2:3], s[0:1], s[2:3]
	s_or_b64 s[2:3], s[10:11], s[2:3]
	s_waitcnt lgkmcnt(0)
	v_add_f32_e32 v9, v9, v12
	s_xor_b64 s[6:7], s[2:3], -1
	s_and_saveexec_b64 s[2:3], s[6:7]
	s_cbranch_execz .LBB180_85
; %bb.89:                               ;   in Loop: Header=BB180_86 Depth=1
	v_cvt_f16_f32_e32 v10, v9
	global_store_short v[2:3], v10, off
	s_branch .LBB180_85
.LBB180_90:
	s_endpgm
	.section	.rodata,"a",@progbits
	.p2align	6, 0x0
	.amdhsa_kernel _ZN2at6native12_GLOBAL__N_135GammaBetaBackwardCUDAKernelTemplateIN3c104HalfEfLj32ELj8ELj64ELb0ELb0ELb1EEEvllPKT_S7_PKT0_SA_PS5_SB_
		.amdhsa_group_segment_fixed_size 0
		.amdhsa_private_segment_fixed_size 0
		.amdhsa_kernarg_size 320
		.amdhsa_user_sgpr_count 6
		.amdhsa_user_sgpr_private_segment_buffer 1
		.amdhsa_user_sgpr_dispatch_ptr 0
		.amdhsa_user_sgpr_queue_ptr 0
		.amdhsa_user_sgpr_kernarg_segment_ptr 1
		.amdhsa_user_sgpr_dispatch_id 0
		.amdhsa_user_sgpr_flat_scratch_init 0
		.amdhsa_user_sgpr_kernarg_preload_length 0
		.amdhsa_user_sgpr_kernarg_preload_offset 0
		.amdhsa_user_sgpr_private_segment_size 0
		.amdhsa_uses_dynamic_stack 0
		.amdhsa_system_sgpr_private_segment_wavefront_offset 0
		.amdhsa_system_sgpr_workgroup_id_x 1
		.amdhsa_system_sgpr_workgroup_id_y 1
		.amdhsa_system_sgpr_workgroup_id_z 0
		.amdhsa_system_sgpr_workgroup_info 0
		.amdhsa_system_vgpr_workitem_id 1
		.amdhsa_next_free_vgpr 95
		.amdhsa_next_free_sgpr 42
		.amdhsa_accum_offset 96
		.amdhsa_reserve_vcc 1
		.amdhsa_reserve_flat_scratch 0
		.amdhsa_float_round_mode_32 0
		.amdhsa_float_round_mode_16_64 0
		.amdhsa_float_denorm_mode_32 3
		.amdhsa_float_denorm_mode_16_64 3
		.amdhsa_dx10_clamp 1
		.amdhsa_ieee_mode 1
		.amdhsa_fp16_overflow 0
		.amdhsa_tg_split 0
		.amdhsa_exception_fp_ieee_invalid_op 0
		.amdhsa_exception_fp_denorm_src 0
		.amdhsa_exception_fp_ieee_div_zero 0
		.amdhsa_exception_fp_ieee_overflow 0
		.amdhsa_exception_fp_ieee_underflow 0
		.amdhsa_exception_fp_ieee_inexact 0
		.amdhsa_exception_int_div_zero 0
	.end_amdhsa_kernel
	.section	.text._ZN2at6native12_GLOBAL__N_135GammaBetaBackwardCUDAKernelTemplateIN3c104HalfEfLj32ELj8ELj64ELb0ELb0ELb1EEEvllPKT_S7_PKT0_SA_PS5_SB_,"axG",@progbits,_ZN2at6native12_GLOBAL__N_135GammaBetaBackwardCUDAKernelTemplateIN3c104HalfEfLj32ELj8ELj64ELb0ELb0ELb1EEEvllPKT_S7_PKT0_SA_PS5_SB_,comdat
.Lfunc_end180:
	.size	_ZN2at6native12_GLOBAL__N_135GammaBetaBackwardCUDAKernelTemplateIN3c104HalfEfLj32ELj8ELj64ELb0ELb0ELb1EEEvllPKT_S7_PKT0_SA_PS5_SB_, .Lfunc_end180-_ZN2at6native12_GLOBAL__N_135GammaBetaBackwardCUDAKernelTemplateIN3c104HalfEfLj32ELj8ELj64ELb0ELb0ELb1EEEvllPKT_S7_PKT0_SA_PS5_SB_
                                        ; -- End function
	.section	.AMDGPU.csdata,"",@progbits
; Kernel info:
; codeLenInByte = 7096
; NumSgprs: 46
; NumVgprs: 95
; NumAgprs: 0
; TotalNumVgprs: 95
; ScratchSize: 0
; MemoryBound: 0
; FloatMode: 240
; IeeeMode: 1
; LDSByteSize: 0 bytes/workgroup (compile time only)
; SGPRBlocks: 5
; VGPRBlocks: 11
; NumSGPRsForWavesPerEU: 46
; NumVGPRsForWavesPerEU: 95
; AccumOffset: 96
; Occupancy: 5
; WaveLimiterHint : 0
; COMPUTE_PGM_RSRC2:SCRATCH_EN: 0
; COMPUTE_PGM_RSRC2:USER_SGPR: 6
; COMPUTE_PGM_RSRC2:TRAP_HANDLER: 0
; COMPUTE_PGM_RSRC2:TGID_X_EN: 1
; COMPUTE_PGM_RSRC2:TGID_Y_EN: 1
; COMPUTE_PGM_RSRC2:TGID_Z_EN: 0
; COMPUTE_PGM_RSRC2:TIDIG_COMP_CNT: 1
; COMPUTE_PGM_RSRC3_GFX90A:ACCUM_OFFSET: 23
; COMPUTE_PGM_RSRC3_GFX90A:TG_SPLIT: 0
	.section	.text._ZN2at6native12_GLOBAL__N_135GammaBetaBackwardCUDAKernelTemplateIN3c104HalfEfLj32ELj16ELj128ELb0ELb1ELb1EEEvllPKT_S7_PKT0_SA_PS5_SB_,"axG",@progbits,_ZN2at6native12_GLOBAL__N_135GammaBetaBackwardCUDAKernelTemplateIN3c104HalfEfLj32ELj16ELj128ELb0ELb1ELb1EEEvllPKT_S7_PKT0_SA_PS5_SB_,comdat
	.globl	_ZN2at6native12_GLOBAL__N_135GammaBetaBackwardCUDAKernelTemplateIN3c104HalfEfLj32ELj16ELj128ELb0ELb1ELb1EEEvllPKT_S7_PKT0_SA_PS5_SB_ ; -- Begin function _ZN2at6native12_GLOBAL__N_135GammaBetaBackwardCUDAKernelTemplateIN3c104HalfEfLj32ELj16ELj128ELb0ELb1ELb1EEEvllPKT_S7_PKT0_SA_PS5_SB_
	.p2align	8
	.type	_ZN2at6native12_GLOBAL__N_135GammaBetaBackwardCUDAKernelTemplateIN3c104HalfEfLj32ELj16ELj128ELb0ELb1ELb1EEEvllPKT_S7_PKT0_SA_PS5_SB_,@function
_ZN2at6native12_GLOBAL__N_135GammaBetaBackwardCUDAKernelTemplateIN3c104HalfEfLj32ELj16ELj128ELb0ELb1ELb1EEEvllPKT_S7_PKT0_SA_PS5_SB_: ; @_ZN2at6native12_GLOBAL__N_135GammaBetaBackwardCUDAKernelTemplateIN3c104HalfEfLj32ELj16ELj128ELb0ELb1ELb1EEEvllPKT_S7_PKT0_SA_PS5_SB_
; %bb.0:
	s_load_dwordx4 s[8:11], s[4:5], 0x0
	s_lshl_b32 s16, s7, 7
	s_mov_b32 s17, 0
	v_bfe_u32 v11, v0, 10, 10
	s_waitcnt lgkmcnt(0)
	v_pk_mov_b32 v[2:3], s[8:9], s[8:9] op_sel:[0,1]
	v_cmp_lt_i64_e32 vcc, s[16:17], v[2:3]
	s_cbranch_vccnz .LBB181_2
; %bb.1:
	s_mov_b64 s[0:1], 0
	v_bfe_u32 v2, v0, 10, 10
	s_branch .LBB181_3
.LBB181_2:
	s_mov_b64 s[0:1], -1
                                        ; implicit-def: $vgpr2
.LBB181_3:
	s_load_dwordx2 s[2:3], s[4:5], 0x30
	v_and_b32_e32 v6, 0x3ff, v0
	s_andn2_b64 vcc, exec, s[0:1]
	v_mov_b32_e32 v1, s17
	v_mbcnt_lo_u32_b32 v10, -1, 0
	s_cbranch_vccnz .LBB181_11
; %bb.4:
	s_load_dword s0, s[4:5], 0x4c
	s_load_dword s7, s[4:5], 0x44
	s_load_dwordx4 s[12:15], s[4:5], 0x10
	s_load_dwordx2 s[18:19], s[4:5], 0x28
	v_mbcnt_hi_u32_b32 v4, -1, v10
	v_lshlrev_b32_e32 v2, 3, v11
	s_waitcnt lgkmcnt(0)
	s_and_b32 s0, s0, 0xffff
	v_lshlrev_b32_e32 v4, 2, v4
	v_mad_u32_u24 v0, v11, s0, v6
	v_and_b32_e32 v12, 0x100, v4
	v_mov_b32_e32 v4, s17
	v_add_co_u32_e32 v7, vcc, s16, v2
	v_and_b32_e32 v3, 63, v0
	v_addc_co_u32_e32 v8, vcc, 0, v4, vcc
	v_add_co_u32_e32 v2, vcc, v7, v3
	v_cmp_gt_u32_e64 s[0:1], 8, v3
	v_addc_co_u32_e32 v3, vcc, 0, v8, vcc
	v_lshlrev_b64 v[4:5], 2, v[2:3]
	v_mov_b32_e32 v9, s19
	v_add_co_u32_e32 v4, vcc, s18, v4
	s_lshl_b32 s4, s7, 7
	v_addc_co_u32_e32 v5, vcc, v9, v5, vcc
	v_mul_lo_u32 v20, s11, v7
	v_mul_lo_u32 v21, s10, v8
	v_mad_u64_u32 v[8:9], s[20:21], s10, v7, 0
	v_mov_b32_e32 v1, 0
	v_lshl_add_u32 v0, s6, 5, v6
	v_add3_u32 v9, v9, v21, v20
	s_mul_i32 s7, s11, s4
	s_mul_hi_u32 s20, s10, s4
	s_mov_b32 s5, 0
	v_lshlrev_b64 v[8:9], 1, v[8:9]
	v_lshlrev_b64 v[20:21], 1, v[0:1]
	s_add_i32 s21, s20, s7
	s_mul_i32 s20, s10, s4
	s_lshl_b64 s[18:19], s[4:5], 2
	v_add_co_u32_e32 v0, vcc, v8, v20
	s_lshl_b64 s[20:21], s[20:21], 1
	s_lshl_b64 s[10:11], s[10:11], 1
	v_or_b32_e32 v13, 4, v12
	v_or_b32_e32 v14, 8, v12
	;; [unrolled: 1-line block ×7, first 2 shown]
	v_addc_co_u32_e32 v7, vcc, v9, v21, vcc
	v_mov_b32_e32 v20, s13
	v_mov_b32_e32 v21, s15
	;; [unrolled: 1-line block ×6, first 2 shown]
	v_pk_mov_b32 v[8:9], s[8:9], s[8:9] op_sel:[0,1]
	s_branch .LBB181_7
.LBB181_5:                              ;   in Loop: Header=BB181_7 Depth=1
	s_or_b64 exec, exec, s[24:25]
.LBB181_6:                              ;   in Loop: Header=BB181_7 Depth=1
	s_or_b64 exec, exec, s[22:23]
	v_add_co_u32_e32 v28, vcc, s12, v0
	v_addc_co_u32_e32 v29, vcc, v20, v7, vcc
	v_add_co_u32_e32 v30, vcc, s14, v0
	v_addc_co_u32_e32 v31, vcc, v21, v7, vcc
	global_load_ushort v27, v[28:29], off
	v_add_co_u32_e32 v28, vcc, s10, v28
	v_addc_co_u32_e32 v29, vcc, v29, v22, vcc
	global_load_ushort v32, v[30:31], off
	v_add_co_u32_e32 v30, vcc, s10, v30
	v_addc_co_u32_e32 v31, vcc, v31, v22, vcc
	global_load_ushort v33, v[28:29], off
	v_add_co_u32_e32 v28, vcc, s10, v28
	v_addc_co_u32_e32 v29, vcc, v29, v22, vcc
	global_load_ushort v34, v[30:31], off
	v_add_co_u32_e32 v30, vcc, s10, v30
	v_addc_co_u32_e32 v31, vcc, v31, v22, vcc
	global_load_ushort v35, v[28:29], off
	v_add_co_u32_e32 v28, vcc, s10, v28
	v_addc_co_u32_e32 v29, vcc, v29, v22, vcc
	global_load_ushort v36, v[30:31], off
	v_add_co_u32_e32 v30, vcc, s10, v30
	v_addc_co_u32_e32 v31, vcc, v31, v22, vcc
	global_load_ushort v37, v[28:29], off
	v_add_co_u32_e32 v28, vcc, s10, v28
	v_addc_co_u32_e32 v29, vcc, v29, v22, vcc
	global_load_ushort v38, v[30:31], off
	v_add_co_u32_e32 v30, vcc, s10, v30
	v_addc_co_u32_e32 v31, vcc, v31, v22, vcc
	global_load_ushort v39, v[28:29], off
	v_add_co_u32_e32 v28, vcc, s10, v28
	v_addc_co_u32_e32 v29, vcc, v29, v22, vcc
	global_load_ushort v40, v[30:31], off
	v_add_co_u32_e32 v30, vcc, s10, v30
	v_addc_co_u32_e32 v31, vcc, v31, v22, vcc
	global_load_ushort v41, v[28:29], off
	global_load_ushort v42, v[30:31], off
	v_add_co_u32_e32 v28, vcc, s10, v28
	v_addc_co_u32_e32 v29, vcc, v29, v22, vcc
	v_add_co_u32_e32 v30, vcc, s10, v30
	v_addc_co_u32_e32 v31, vcc, v31, v22, vcc
	global_load_ushort v44, v[30:31], off
	global_load_ushort v43, v[28:29], off
	v_add_co_u32_e32 v28, vcc, s10, v28
	v_addc_co_u32_e32 v29, vcc, v29, v22, vcc
	global_load_ushort v45, v[28:29], off
	v_add_co_u32_e32 v28, vcc, s10, v30
	v_addc_co_u32_e32 v29, vcc, v31, v22, vcc
	;; [unrolled: 3-line block ×3, first 2 shown]
	v_add_co_u32_e32 v2, vcc, s4, v2
	v_addc_co_u32_e32 v3, vcc, v3, v24, vcc
	s_waitcnt vmcnt(15)
	v_cvt_f32_f16_e32 v27, v27
	s_add_u32 s16, s16, s4
	v_add_co_u32_e32 v0, vcc, s20, v0
	s_addc_u32 s17, s17, 0
	s_waitcnt vmcnt(14)
	v_cvt_f32_f16_e32 v29, v32
	v_addc_co_u32_e32 v7, vcc, v7, v25, vcc
	v_cmp_lt_i64_e32 vcc, s[16:17], v[8:9]
	v_mul_f32_e32 v27, v27, v29
	s_waitcnt vmcnt(13)
	v_cvt_f32_f16_e32 v30, v33
	s_and_b64 vcc, exec, vcc
	s_waitcnt vmcnt(12)
	v_cvt_f32_f16_e32 v31, v34
	v_mul_f32_e32 v29, v30, v31
	s_waitcnt vmcnt(11)
	v_cvt_f32_f16_e32 v32, v35
	s_waitcnt vmcnt(10)
	v_cvt_f32_f16_e32 v33, v36
	v_mul_f32_e32 v30, v32, v33
	s_waitcnt vmcnt(9)
	v_cvt_f32_f16_e32 v34, v37
	s_waitcnt vmcnt(8)
	v_cvt_f32_f16_e32 v35, v38
	;; [unrolled: 2-line block ×6, first 2 shown]
	ds_bpermute_b32 v42, v12, v26
	s_waitcnt lgkmcnt(0)
	v_fmac_f32_e32 v1, v27, v42
	ds_bpermute_b32 v27, v14, v26
	s_waitcnt vmcnt(3)
	v_cvt_f32_f16_e32 v41, v44
	ds_bpermute_b32 v44, v13, v26
	s_waitcnt vmcnt(2)
	v_cvt_f32_f16_e32 v40, v43
	s_waitcnt lgkmcnt(0)
	v_fmac_f32_e32 v1, v29, v44
	ds_bpermute_b32 v29, v15, v26
	v_fmac_f32_e32 v1, v30, v27
	ds_bpermute_b32 v27, v16, v26
	v_mul_f32_e32 v30, v34, v35
	s_waitcnt vmcnt(1)
	v_cvt_f32_f16_e32 v43, v45
	s_waitcnt lgkmcnt(1)
	v_fmac_f32_e32 v1, v30, v29
	v_mul_f32_e32 v29, v36, v37
	ds_bpermute_b32 v30, v17, v26
	s_waitcnt lgkmcnt(1)
	v_fmac_f32_e32 v1, v29, v27
	ds_bpermute_b32 v27, v18, v26
	s_waitcnt vmcnt(0)
	v_cvt_f32_f16_e32 v28, v28
	ds_bpermute_b32 v26, v19, v26
	v_mul_f32_e32 v29, v38, v39
	s_waitcnt lgkmcnt(2)
	v_fmac_f32_e32 v1, v29, v30
	v_mul_f32_e32 v29, v40, v41
	s_waitcnt lgkmcnt(1)
	v_fmac_f32_e32 v1, v29, v27
	;; [unrolled: 3-line block ×3, first 2 shown]
	s_cbranch_vccz .LBB181_10
.LBB181_7:                              ; =>This Inner Loop Header: Depth=1
	v_mov_b32_e32 v26, 0
	s_and_saveexec_b64 s[22:23], s[0:1]
	s_cbranch_execz .LBB181_6
; %bb.8:                                ;   in Loop: Header=BB181_7 Depth=1
	v_cmp_gt_i64_e32 vcc, s[8:9], v[2:3]
	v_mov_b32_e32 v26, 0
	s_and_saveexec_b64 s[24:25], vcc
	s_cbranch_execz .LBB181_5
; %bb.9:                                ;   in Loop: Header=BB181_7 Depth=1
	global_load_dword v26, v[4:5], off
	s_branch .LBB181_5
.LBB181_10:
	v_mov_b32_e32 v2, v11
.LBB181_11:
	v_mad_u32_u24 v0, v2, 33, v6
	v_lshl_add_u32 v3, v0, 2, 0
	v_sub_u32_e32 v0, v0, v2
	s_movk_i32 s0, 0x800
	s_mov_b32 s7, 0
	ds_write_b32 v3, v1
	v_mov_b32_e32 v1, 0
	v_cmp_gt_u32_e32 vcc, s0, v0
	ds_write_b32 v3, v1 offset:2112
	s_waitcnt lgkmcnt(0)
	s_barrier
	s_and_saveexec_b64 s[0:1], vcc
	s_cbranch_execz .LBB181_18
; %bb.12:
	v_mbcnt_hi_u32_b32 v5, -1, v10
	v_and_b32_e32 v2, 64, v5
	s_cmp_lg_u64 s[2:3], 0
	v_add_u32_e32 v7, 64, v2
	v_cmp_eq_u32_e64 s[0:1], 0, v6
	s_cselect_b64 s[8:9], -1, 0
	v_xor_b32_e32 v2, 8, v5
	s_and_b64 s[8:9], s[0:1], s[8:9]
	v_cmp_lt_i32_e64 s[0:1], v2, v7
	v_xor_b32_e32 v3, 4, v5
	v_cndmask_b32_e64 v2, v5, v2, s[0:1]
	v_cmp_lt_i32_e64 s[0:1], v3, v7
	v_xor_b32_e32 v4, 2, v5
	v_cndmask_b32_e64 v3, v5, v3, s[0:1]
	;; [unrolled: 3-line block ×3, first 2 shown]
	v_cmp_lt_i32_e64 s[0:1], v6, v7
	v_lshrrev_b32_e32 v1, 6, v0
	v_and_b32_e32 v0, 63, v0
	v_cndmask_b32_e64 v5, v5, v6, s[0:1]
	s_lshl_b64 s[0:1], s[6:7], 6
	v_cmp_gt_u32_e32 vcc, 16, v0
	v_mul_u32_u24_e32 v0, 0x84, v0
	v_lshlrev_b32_e32 v6, 2, v1
	s_add_u32 s0, s2, s0
	v_add3_u32 v6, v0, v6, 0
	v_lshlrev_b32_e32 v0, 1, v1
	s_addc_u32 s1, s3, s1
	v_add_u32_e32 v7, -8, v1
	v_mov_b32_e32 v1, s1
	v_add_co_u32_e64 v0, s[0:1], s0, v0
	s_mov_b64 s[4:5], 0
	v_lshlrev_b32_e32 v2, 2, v2
	v_lshlrev_b32_e32 v3, 2, v3
	;; [unrolled: 1-line block ×4, first 2 shown]
	v_addc_co_u32_e64 v1, s[0:1], 0, v1, s[0:1]
                                        ; implicit-def: $vgpr8
	s_branch .LBB181_14
.LBB181_13:                             ;   in Loop: Header=BB181_14 Depth=1
	s_or_b64 exec, exec, s[0:1]
	v_add_u32_e32 v7, 8, v7
	v_cmp_lt_u32_e64 s[0:1], 23, v7
	s_or_b64 s[4:5], s[0:1], s[4:5]
	v_add_co_u32_e64 v0, s[0:1], 16, v0
	v_add_u32_e32 v6, 32, v6
	v_addc_co_u32_e64 v1, s[0:1], 0, v1, s[0:1]
	s_andn2_b64 exec, exec, s[4:5]
	s_cbranch_execz .LBB181_18
.LBB181_14:                             ; =>This Inner Loop Header: Depth=1
	s_and_saveexec_b64 s[0:1], vcc
	s_cbranch_execz .LBB181_16
; %bb.15:                               ;   in Loop: Header=BB181_14 Depth=1
	ds_read_b32 v8, v6
.LBB181_16:                             ;   in Loop: Header=BB181_14 Depth=1
	s_or_b64 exec, exec, s[0:1]
	s_waitcnt lgkmcnt(0)
	ds_bpermute_b32 v9, v2, v8
	s_waitcnt lgkmcnt(0)
	v_add_f32_e32 v8, v8, v9
	ds_bpermute_b32 v9, v3, v8
	s_waitcnt lgkmcnt(0)
	v_add_f32_e32 v8, v8, v9
	;; [unrolled: 3-line block ×4, first 2 shown]
	s_and_saveexec_b64 s[0:1], s[8:9]
	s_cbranch_execz .LBB181_13
; %bb.17:                               ;   in Loop: Header=BB181_14 Depth=1
	v_cvt_f16_f32_e32 v9, v8
	global_store_short v[0:1], v9, off
	s_branch .LBB181_13
.LBB181_18:
	s_endpgm
	.section	.rodata,"a",@progbits
	.p2align	6, 0x0
	.amdhsa_kernel _ZN2at6native12_GLOBAL__N_135GammaBetaBackwardCUDAKernelTemplateIN3c104HalfEfLj32ELj16ELj128ELb0ELb1ELb1EEEvllPKT_S7_PKT0_SA_PS5_SB_
		.amdhsa_group_segment_fixed_size 0
		.amdhsa_private_segment_fixed_size 0
		.amdhsa_kernarg_size 320
		.amdhsa_user_sgpr_count 6
		.amdhsa_user_sgpr_private_segment_buffer 1
		.amdhsa_user_sgpr_dispatch_ptr 0
		.amdhsa_user_sgpr_queue_ptr 0
		.amdhsa_user_sgpr_kernarg_segment_ptr 1
		.amdhsa_user_sgpr_dispatch_id 0
		.amdhsa_user_sgpr_flat_scratch_init 0
		.amdhsa_user_sgpr_kernarg_preload_length 0
		.amdhsa_user_sgpr_kernarg_preload_offset 0
		.amdhsa_user_sgpr_private_segment_size 0
		.amdhsa_uses_dynamic_stack 0
		.amdhsa_system_sgpr_private_segment_wavefront_offset 0
		.amdhsa_system_sgpr_workgroup_id_x 1
		.amdhsa_system_sgpr_workgroup_id_y 1
		.amdhsa_system_sgpr_workgroup_id_z 0
		.amdhsa_system_sgpr_workgroup_info 0
		.amdhsa_system_vgpr_workitem_id 1
		.amdhsa_next_free_vgpr 46
		.amdhsa_next_free_sgpr 26
		.amdhsa_accum_offset 48
		.amdhsa_reserve_vcc 1
		.amdhsa_reserve_flat_scratch 0
		.amdhsa_float_round_mode_32 0
		.amdhsa_float_round_mode_16_64 0
		.amdhsa_float_denorm_mode_32 3
		.amdhsa_float_denorm_mode_16_64 3
		.amdhsa_dx10_clamp 1
		.amdhsa_ieee_mode 1
		.amdhsa_fp16_overflow 0
		.amdhsa_tg_split 0
		.amdhsa_exception_fp_ieee_invalid_op 0
		.amdhsa_exception_fp_denorm_src 0
		.amdhsa_exception_fp_ieee_div_zero 0
		.amdhsa_exception_fp_ieee_overflow 0
		.amdhsa_exception_fp_ieee_underflow 0
		.amdhsa_exception_fp_ieee_inexact 0
		.amdhsa_exception_int_div_zero 0
	.end_amdhsa_kernel
	.section	.text._ZN2at6native12_GLOBAL__N_135GammaBetaBackwardCUDAKernelTemplateIN3c104HalfEfLj32ELj16ELj128ELb0ELb1ELb1EEEvllPKT_S7_PKT0_SA_PS5_SB_,"axG",@progbits,_ZN2at6native12_GLOBAL__N_135GammaBetaBackwardCUDAKernelTemplateIN3c104HalfEfLj32ELj16ELj128ELb0ELb1ELb1EEEvllPKT_S7_PKT0_SA_PS5_SB_,comdat
.Lfunc_end181:
	.size	_ZN2at6native12_GLOBAL__N_135GammaBetaBackwardCUDAKernelTemplateIN3c104HalfEfLj32ELj16ELj128ELb0ELb1ELb1EEEvllPKT_S7_PKT0_SA_PS5_SB_, .Lfunc_end181-_ZN2at6native12_GLOBAL__N_135GammaBetaBackwardCUDAKernelTemplateIN3c104HalfEfLj32ELj16ELj128ELb0ELb1ELb1EEEvllPKT_S7_PKT0_SA_PS5_SB_
                                        ; -- End function
	.section	.AMDGPU.csdata,"",@progbits
; Kernel info:
; codeLenInByte = 1476
; NumSgprs: 30
; NumVgprs: 46
; NumAgprs: 0
; TotalNumVgprs: 46
; ScratchSize: 0
; MemoryBound: 0
; FloatMode: 240
; IeeeMode: 1
; LDSByteSize: 0 bytes/workgroup (compile time only)
; SGPRBlocks: 3
; VGPRBlocks: 5
; NumSGPRsForWavesPerEU: 30
; NumVGPRsForWavesPerEU: 46
; AccumOffset: 48
; Occupancy: 8
; WaveLimiterHint : 0
; COMPUTE_PGM_RSRC2:SCRATCH_EN: 0
; COMPUTE_PGM_RSRC2:USER_SGPR: 6
; COMPUTE_PGM_RSRC2:TRAP_HANDLER: 0
; COMPUTE_PGM_RSRC2:TGID_X_EN: 1
; COMPUTE_PGM_RSRC2:TGID_Y_EN: 1
; COMPUTE_PGM_RSRC2:TGID_Z_EN: 0
; COMPUTE_PGM_RSRC2:TIDIG_COMP_CNT: 1
; COMPUTE_PGM_RSRC3_GFX90A:ACCUM_OFFSET: 11
; COMPUTE_PGM_RSRC3_GFX90A:TG_SPLIT: 0
	.section	.text._ZN2at6native12_GLOBAL__N_135GammaBetaBackwardCUDAKernelTemplateIN3c104HalfEfLj32ELj16ELj128ELb0ELb0ELb1EEEvllPKT_S7_PKT0_SA_PS5_SB_,"axG",@progbits,_ZN2at6native12_GLOBAL__N_135GammaBetaBackwardCUDAKernelTemplateIN3c104HalfEfLj32ELj16ELj128ELb0ELb0ELb1EEEvllPKT_S7_PKT0_SA_PS5_SB_,comdat
	.globl	_ZN2at6native12_GLOBAL__N_135GammaBetaBackwardCUDAKernelTemplateIN3c104HalfEfLj32ELj16ELj128ELb0ELb0ELb1EEEvllPKT_S7_PKT0_SA_PS5_SB_ ; -- Begin function _ZN2at6native12_GLOBAL__N_135GammaBetaBackwardCUDAKernelTemplateIN3c104HalfEfLj32ELj16ELj128ELb0ELb0ELb1EEEvllPKT_S7_PKT0_SA_PS5_SB_
	.p2align	8
	.type	_ZN2at6native12_GLOBAL__N_135GammaBetaBackwardCUDAKernelTemplateIN3c104HalfEfLj32ELj16ELj128ELb0ELb0ELb1EEEvllPKT_S7_PKT0_SA_PS5_SB_,@function
_ZN2at6native12_GLOBAL__N_135GammaBetaBackwardCUDAKernelTemplateIN3c104HalfEfLj32ELj16ELj128ELb0ELb0ELb1EEEvllPKT_S7_PKT0_SA_PS5_SB_: ; @_ZN2at6native12_GLOBAL__N_135GammaBetaBackwardCUDAKernelTemplateIN3c104HalfEfLj32ELj16ELj128ELb0ELb0ELb1EEEvllPKT_S7_PKT0_SA_PS5_SB_
; %bb.0:
	s_load_dwordx8 s[12:19], s[4:5], 0x0
	s_load_dwordx2 s[10:11], s[4:5], 0x28
	s_lshl_b32 s33, s6, 5
	s_or_b32 s28, s33, 31
	s_mov_b32 s29, 0
	s_waitcnt lgkmcnt(0)
	v_pk_mov_b32 v[2:3], s[14:15], s[14:15] op_sel:[0,1]
	v_cmp_ge_i64_e32 vcc, s[28:29], v[2:3]
	s_lshl_b32 s28, s7, 7
	v_pk_mov_b32 v[2:3], s[12:13], s[12:13] op_sel:[0,1]
	v_cmp_lt_i64_e64 s[0:1], s[28:29], v[2:3]
	v_cndmask_b32_e64 v1, 0, 1, s[0:1]
	v_cmp_ne_u32_e64 s[0:1], 1, v1
	s_cbranch_vccz .LBB182_49
; %bb.1:
	s_and_b64 vcc, exec, s[0:1]
	v_mov_b32_e32 v2, 0
	s_cbranch_vccnz .LBB182_50
; %bb.2:
	v_and_b32_e32 v59, 0x3ff, v0
	v_bfe_u32 v61, v0, 10, 10
	v_add_u32_e32 v2, s33, v59
	v_mov_b32_e32 v3, 0
	v_lshlrev_b32_e32 v26, 3, v61
	v_cmp_gt_i64_e64 s[2:3], s[14:15], v[2:3]
	v_lshlrev_b64 v[28:29], 1, v[2:3]
	v_mov_b32_e32 v1, s29
	v_add_co_u32_e32 v2, vcc, s28, v26
	v_addc_co_u32_e32 v6, vcc, 0, v1, vcc
	v_add_co_u32_e32 v1, vcc, 7, v2
	v_addc_co_u32_e32 v4, vcc, 0, v6, vcc
	v_mul_lo_u32 v7, s15, v1
	v_mul_lo_u32 v8, s14, v4
	v_mad_u64_u32 v[4:5], s[8:9], s14, v1, 0
	s_load_dword s7, s[4:5], 0x44
	v_add3_u32 v5, v5, v8, v7
	v_lshlrev_b64 v[4:5], 1, v[4:5]
	v_mov_b32_e32 v7, s17
	v_add_co_u32_e32 v30, vcc, s16, v4
	v_addc_co_u32_e32 v1, vcc, v7, v5, vcc
	s_add_u32 s30, s4, 64
	v_mov_b32_e32 v8, s19
	v_add_co_u32_e32 v32, vcc, s18, v4
	s_addc_u32 s31, s5, 0
	s_waitcnt lgkmcnt(0)
	s_lshl_b32 s7, s7, 7
	v_addc_co_u32_e32 v27, vcc, v8, v5, vcc
	s_mul_i32 s8, s15, s7
	s_mul_hi_u32 s9, s14, s7
	v_add_co_u32_e32 v4, vcc, 6, v2
	s_add_i32 s9, s9, s8
	s_mul_i32 s8, s14, s7
	v_addc_co_u32_e32 v5, vcc, 0, v6, vcc
	s_lshl_b64 s[34:35], s[8:9], 1
	v_mul_lo_u32 v9, s15, v4
	v_mul_lo_u32 v10, s14, v5
	v_mad_u64_u32 v[4:5], s[8:9], s14, v4, 0
	v_add3_u32 v5, v5, v10, v9
	v_lshlrev_b64 v[4:5], 1, v[4:5]
	v_add_co_u32_e32 v34, vcc, s16, v4
	v_addc_co_u32_e32 v31, vcc, v7, v5, vcc
	v_add_co_u32_e32 v36, vcc, s18, v4
	v_addc_co_u32_e32 v33, vcc, v8, v5, vcc
	v_add_co_u32_e32 v4, vcc, 5, v2
	v_addc_co_u32_e32 v5, vcc, 0, v6, vcc
	v_mul_lo_u32 v9, s15, v4
	v_mul_lo_u32 v10, s14, v5
	v_mad_u64_u32 v[4:5], s[8:9], s14, v4, 0
	v_add3_u32 v5, v5, v10, v9
	v_lshlrev_b64 v[4:5], 1, v[4:5]
	v_add_co_u32_e32 v38, vcc, s16, v4
	v_addc_co_u32_e32 v35, vcc, v7, v5, vcc
	v_add_co_u32_e32 v40, vcc, s18, v4
	v_addc_co_u32_e32 v37, vcc, v8, v5, vcc
	v_add_co_u32_e32 v4, vcc, 4, v2
	v_addc_co_u32_e32 v5, vcc, 0, v6, vcc
	;; [unrolled: 11-line block ×4, first 2 shown]
	v_mul_lo_u32 v9, s15, v4
	v_mul_lo_u32 v10, s14, v5
	v_mad_u64_u32 v[4:5], s[8:9], s14, v4, 0
	v_add3_u32 v5, v5, v10, v9
	v_lshlrev_b64 v[4:5], 1, v[4:5]
	v_add_co_u32_e32 v50, vcc, s16, v4
	v_addc_co_u32_e32 v47, vcc, v7, v5, vcc
	v_add_co_u32_e32 v52, vcc, s18, v4
	v_addc_co_u32_e32 v49, vcc, v8, v5, vcc
	v_pk_mov_b32 v[4:5], s[14:15], s[14:15] op_sel:[0,1]
	v_mad_u64_u32 v[4:5], s[8:9], s14, v2, v[4:5]
	v_mul_lo_u32 v6, s14, v6
	v_mul_lo_u32 v9, s15, v2
	v_add3_u32 v5, v9, v5, v6
	v_lshlrev_b64 v[4:5], 1, v[4:5]
	v_add_co_u32_e32 v54, vcc, s16, v4
	v_addc_co_u32_e32 v51, vcc, v7, v5, vcc
	v_add_co_u32_e32 v56, vcc, s18, v4
	v_addc_co_u32_e32 v53, vcc, v8, v5, vcc
	v_mad_u64_u32 v[4:5], s[8:9], s14, v2, 0
	v_add3_u32 v5, v5, v6, v9
	v_lshlrev_b64 v[4:5], 1, v[4:5]
	v_add_co_u32_e32 v58, vcc, s16, v4
	v_mbcnt_lo_u32_b32 v2, -1, 0
	v_addc_co_u32_e32 v55, vcc, v7, v5, vcc
	v_mbcnt_hi_u32_b32 v2, -1, v2
	s_add_u32 s36, s28, 0x7f
	v_add_co_u32_e32 v60, vcc, s18, v4
	v_lshlrev_b32_e32 v2, 2, v2
	s_mov_b32 s20, 0
	s_addc_u32 s37, 0, 0
	v_addc_co_u32_e32 v57, vcc, v8, v5, vcc
	v_and_b32_e32 v62, 0x100, v2
	s_mov_b64 s[38:39], s[28:29]
	v_mov_b32_e32 v63, 0
.LBB182_3:                              ; =>This Inner Loop Header: Depth=1
	v_pk_mov_b32 v[4:5], s[12:13], s[12:13] op_sel:[0,1]
	v_cmp_ge_i64_e32 vcc, s[36:37], v[4:5]
	v_mov_b32_e32 v2, s37
	v_add_co_u32_e64 v64, s[8:9], s36, v26
	v_addc_co_u32_e64 v65, s[8:9], 0, v2, s[8:9]
	s_cbranch_vccz .LBB182_25
; %bb.4:                                ;   in Loop: Header=BB182_3 Depth=1
	s_load_dword s8, s[30:31], 0xc
	v_mov_b32_e32 v66, 0
	s_waitcnt lgkmcnt(0)
	s_and_b32 s8, s8, 0xffff
	v_mad_u32_u24 v2, v61, s8, v59
	v_and_b32_e32 v2, 63, v2
	v_cmp_gt_u32_e32 vcc, 8, v2
	s_and_saveexec_b64 s[8:9], vcc
	s_cbranch_execz .LBB182_8
; %bb.5:                                ;   in Loop: Header=BB182_3 Depth=1
	v_add_co_u32_e32 v2, vcc, v64, v2
	v_addc_co_u32_e32 v5, vcc, 0, v65, vcc
	v_add_co_u32_e32 v4, vcc, 0xffffff81, v2
	v_addc_co_u32_e32 v5, vcc, -1, v5, vcc
	v_cmp_gt_i64_e32 vcc, s[12:13], v[4:5]
	v_mov_b32_e32 v66, 0
	s_and_saveexec_b64 s[22:23], vcc
	s_cbranch_execz .LBB182_7
; %bb.6:                                ;   in Loop: Header=BB182_3 Depth=1
	v_lshlrev_b64 v[4:5], 2, v[4:5]
	v_mov_b32_e32 v2, s11
	v_add_co_u32_e32 v4, vcc, s10, v4
	v_addc_co_u32_e32 v5, vcc, v2, v5, vcc
	global_load_dword v66, v[4:5], off
.LBB182_7:                              ;   in Loop: Header=BB182_3 Depth=1
	s_or_b64 exec, exec, s[22:23]
.LBB182_8:                              ;   in Loop: Header=BB182_3 Depth=1
	s_or_b64 exec, exec, s[8:9]
	s_mov_b32 s21, s20
	v_add_co_u32_e32 v4, vcc, 0xffffff81, v64
	s_mov_b32 s22, s20
	s_mov_b32 s23, s20
	;; [unrolled: 1-line block ×6, first 2 shown]
	v_pk_mov_b32 v[10:11], s[20:21], s[20:21] op_sel:[0,1]
	v_addc_co_u32_e32 v5, vcc, -1, v65, vcc
	v_pk_mov_b32 v[16:17], s[26:27], s[26:27] op_sel:[0,1]
	v_cmp_gt_i64_e32 vcc, s[12:13], v[4:5]
	v_pk_mov_b32 v[12:13], s[22:23], s[22:23] op_sel:[0,1]
	v_pk_mov_b32 v[14:15], s[24:25], s[24:25] op_sel:[0,1]
	;; [unrolled: 1-line block ×3, first 2 shown]
	s_and_b64 s[40:41], s[2:3], vcc
	v_pk_mov_b32 v[22:23], v[14:15], v[14:15] op_sel:[0,1]
	v_pk_mov_b32 v[20:21], v[12:13], v[12:13] op_sel:[0,1]
	;; [unrolled: 1-line block ×3, first 2 shown]
	s_and_saveexec_b64 s[8:9], s[40:41]
	s_cbranch_execz .LBB182_10
; %bb.9:                                ;   in Loop: Header=BB182_3 Depth=1
	v_add_co_u32_e32 v4, vcc, v58, v28
	v_addc_co_u32_e32 v5, vcc, v55, v29, vcc
	global_load_ushort v2, v[4:5], off
	v_add_co_u32_e32 v4, vcc, v60, v28
	v_addc_co_u32_e32 v5, vcc, v57, v29, vcc
	global_load_ushort v10, v[4:5], off
	v_mov_b32_e32 v8, v3
	v_mov_b32_e32 v9, v3
	;; [unrolled: 1-line block ×13, first 2 shown]
	s_waitcnt vmcnt(1)
	v_cvt_f32_f16_e32 v2, v2
	v_pk_mov_b32 v[24:25], v[8:9], v[8:9] op_sel:[0,1]
	v_pk_mov_b32 v[22:23], v[6:7], v[6:7] op_sel:[0,1]
	;; [unrolled: 1-line block ×4, first 2 shown]
	s_waitcnt vmcnt(0)
	v_cvt_f32_f16_e32 v10, v10
.LBB182_10:                             ;   in Loop: Header=BB182_3 Depth=1
	s_or_b64 exec, exec, s[8:9]
	v_add_co_u32_e32 v4, vcc, 0xffffff82, v64
	v_addc_co_u32_e32 v5, vcc, -1, v65, vcc
	v_cmp_gt_i64_e32 vcc, s[12:13], v[4:5]
	s_and_b64 s[22:23], s[2:3], vcc
	s_and_saveexec_b64 s[8:9], s[22:23]
	s_cbranch_execz .LBB182_12
; %bb.11:                               ;   in Loop: Header=BB182_3 Depth=1
	v_add_co_u32_e32 v4, vcc, v54, v28
	v_addc_co_u32_e32 v5, vcc, v51, v29, vcc
	global_load_ushort v2, v[4:5], off
	v_add_co_u32_e32 v4, vcc, v56, v28
	v_addc_co_u32_e32 v5, vcc, v53, v29, vcc
	global_load_ushort v4, v[4:5], off
	s_waitcnt vmcnt(1)
	v_cvt_f32_f16_e32 v19, v2
	s_waitcnt vmcnt(0)
	v_cvt_f32_f16_e32 v11, v4
.LBB182_12:                             ;   in Loop: Header=BB182_3 Depth=1
	s_or_b64 exec, exec, s[8:9]
	v_add_co_u32_e32 v4, vcc, 0xffffff83, v64
	v_addc_co_u32_e32 v5, vcc, -1, v65, vcc
	v_cmp_gt_i64_e32 vcc, s[12:13], v[4:5]
	s_and_b64 s[22:23], s[2:3], vcc
	s_and_saveexec_b64 s[8:9], s[22:23]
	s_cbranch_execz .LBB182_14
; %bb.13:                               ;   in Loop: Header=BB182_3 Depth=1
	v_add_co_u32_e32 v4, vcc, v50, v28
	v_addc_co_u32_e32 v5, vcc, v47, v29, vcc
	global_load_ushort v2, v[4:5], off
	v_add_co_u32_e32 v4, vcc, v52, v28
	v_addc_co_u32_e32 v5, vcc, v49, v29, vcc
	global_load_ushort v4, v[4:5], off
	s_waitcnt vmcnt(1)
	v_cvt_f32_f16_e32 v20, v2
	s_waitcnt vmcnt(0)
	v_cvt_f32_f16_e32 v12, v4
.LBB182_14:                             ;   in Loop: Header=BB182_3 Depth=1
	;; [unrolled: 19-line block ×7, first 2 shown]
	s_or_b64 exec, exec, s[8:9]
	s_waitcnt vmcnt(0)
	ds_bpermute_b32 v4, v62, v66 offset:4
	ds_bpermute_b32 v5, v62, v66 offset:8
	ds_bpermute_b32 v2, v62, v66
	v_mul_f32_e32 v8, v10, v18
	v_pk_mul_f32 v[10:11], v[10:11], v[18:19]
	v_pk_mul_f32 v[12:13], v[12:13], v[20:21]
	v_mov_b32_e32 v10, v11
	v_mov_b32_e32 v11, v12
	s_waitcnt lgkmcnt(1)
	v_pk_mul_f32 v[4:5], v[10:11], v[4:5]
	ds_bpermute_b32 v10, v62, v66 offset:12
	ds_bpermute_b32 v11, v62, v66 offset:16
	s_waitcnt lgkmcnt(2)
	v_fma_f32 v2, v8, v2, v63
	v_pk_mul_f32 v[8:9], v[14:15], v[22:23]
	v_add_f32_e32 v2, v2, v4
	v_add_f32_e32 v2, v2, v5
	v_mov_b32_e32 v4, v13
	v_mov_b32_e32 v5, v8
	s_waitcnt lgkmcnt(0)
	v_pk_mul_f32 v[4:5], v[4:5], v[10:11]
	ds_bpermute_b32 v10, v62, v66 offset:20
	ds_bpermute_b32 v11, v62, v66 offset:24
	v_pk_mul_f32 v[6:7], v[16:17], v[24:25]
	v_add_f32_e32 v2, v2, v4
	ds_bpermute_b32 v4, v62, v66 offset:28
	v_mov_b32_e32 v8, v9
	v_mov_b32_e32 v9, v6
	v_add_f32_e32 v2, v2, v5
	s_waitcnt lgkmcnt(1)
	v_pk_mul_f32 v[6:7], v[8:9], v[10:11]
	v_add_f32_e32 v2, v2, v6
	v_add_f32_e32 v2, v2, v7
	s_branch .LBB182_40
.LBB182_25:                             ;   in Loop: Header=BB182_3 Depth=1
                                        ; implicit-def: $vgpr2
                                        ; implicit-def: $vgpr10_vgpr11_vgpr12_vgpr13_vgpr14_vgpr15_vgpr16_vgpr17
                                        ; implicit-def: $vgpr18_vgpr19_vgpr20_vgpr21_vgpr22_vgpr23_vgpr24_vgpr25
                                        ; implicit-def: $vgpr4
	s_cbranch_execz .LBB182_40
; %bb.26:                               ;   in Loop: Header=BB182_3 Depth=1
	s_load_dword s8, s[30:31], 0x0
	v_mov_b32_e32 v66, 0
	s_waitcnt lgkmcnt(0)
	s_cmp_lt_u32 s6, s8
	s_cselect_b32 s8, 12, 18
	s_add_u32 s8, s30, s8
	s_addc_u32 s9, s31, 0
	global_load_ushort v2, v3, s[8:9]
	s_waitcnt vmcnt(0)
	v_mad_u32_u24 v2, v61, v2, v59
	v_and_b32_e32 v2, 63, v2
	v_cmp_gt_u32_e32 vcc, 8, v2
	s_and_saveexec_b64 s[8:9], vcc
	s_cbranch_execz .LBB182_30
; %bb.27:                               ;   in Loop: Header=BB182_3 Depth=1
	v_add_co_u32_e32 v2, vcc, v64, v2
	v_addc_co_u32_e32 v5, vcc, 0, v65, vcc
	v_add_co_u32_e32 v4, vcc, 0xffffff81, v2
	v_addc_co_u32_e32 v5, vcc, -1, v5, vcc
	v_cmp_gt_i64_e32 vcc, s[12:13], v[4:5]
	v_mov_b32_e32 v66, 0
	s_and_saveexec_b64 s[22:23], vcc
	s_cbranch_execz .LBB182_29
; %bb.28:                               ;   in Loop: Header=BB182_3 Depth=1
	v_lshlrev_b64 v[4:5], 2, v[4:5]
	v_mov_b32_e32 v2, s11
	v_add_co_u32_e32 v4, vcc, s10, v4
	v_addc_co_u32_e32 v5, vcc, v2, v5, vcc
	global_load_dword v66, v[4:5], off
.LBB182_29:                             ;   in Loop: Header=BB182_3 Depth=1
	s_or_b64 exec, exec, s[22:23]
.LBB182_30:                             ;   in Loop: Header=BB182_3 Depth=1
	s_or_b64 exec, exec, s[8:9]
	s_mov_b32 s21, s20
	s_mov_b32 s22, s20
	;; [unrolled: 1-line block ×7, first 2 shown]
	v_pk_mov_b32 v[10:11], s[20:21], s[20:21] op_sel:[0,1]
	v_pk_mov_b32 v[16:17], s[26:27], s[26:27] op_sel:[0,1]
	;; [unrolled: 1-line block ×8, first 2 shown]
	s_and_saveexec_b64 s[8:9], s[2:3]
	s_cbranch_execnz .LBB182_42
; %bb.31:                               ;   in Loop: Header=BB182_3 Depth=1
	s_or_b64 exec, exec, s[8:9]
	s_and_saveexec_b64 s[8:9], s[2:3]
	s_cbranch_execnz .LBB182_43
.LBB182_32:                             ;   in Loop: Header=BB182_3 Depth=1
	s_or_b64 exec, exec, s[8:9]
	s_and_saveexec_b64 s[8:9], s[2:3]
	s_cbranch_execnz .LBB182_44
.LBB182_33:                             ;   in Loop: Header=BB182_3 Depth=1
	s_or_b64 exec, exec, s[8:9]
	s_and_saveexec_b64 s[8:9], s[2:3]
	s_cbranch_execnz .LBB182_45
.LBB182_34:                             ;   in Loop: Header=BB182_3 Depth=1
	s_or_b64 exec, exec, s[8:9]
	s_and_saveexec_b64 s[8:9], s[2:3]
	s_cbranch_execnz .LBB182_46
.LBB182_35:                             ;   in Loop: Header=BB182_3 Depth=1
	s_or_b64 exec, exec, s[8:9]
	s_and_saveexec_b64 s[8:9], s[2:3]
	s_cbranch_execnz .LBB182_47
.LBB182_36:                             ;   in Loop: Header=BB182_3 Depth=1
	s_or_b64 exec, exec, s[8:9]
	s_and_saveexec_b64 s[8:9], s[2:3]
	s_cbranch_execnz .LBB182_48
.LBB182_37:                             ;   in Loop: Header=BB182_3 Depth=1
	s_or_b64 exec, exec, s[8:9]
	s_and_saveexec_b64 s[8:9], s[2:3]
	s_cbranch_execz .LBB182_39
.LBB182_38:                             ;   in Loop: Header=BB182_3 Depth=1
	v_add_co_u32_e32 v4, vcc, v30, v28
	v_addc_co_u32_e32 v5, vcc, v1, v29, vcc
	global_load_ushort v2, v[4:5], off
	v_add_co_u32_e32 v4, vcc, v32, v28
	v_addc_co_u32_e32 v5, vcc, v27, v29, vcc
	global_load_ushort v4, v[4:5], off
	s_waitcnt vmcnt(1)
	v_cvt_f32_f16_e32 v25, v2
	s_waitcnt vmcnt(0)
	v_cvt_f32_f16_e32 v17, v4
.LBB182_39:                             ;   in Loop: Header=BB182_3 Depth=1
	s_or_b64 exec, exec, s[8:9]
	s_waitcnt vmcnt(0)
	ds_bpermute_b32 v4, v62, v66 offset:4
	ds_bpermute_b32 v5, v62, v66 offset:8
	ds_bpermute_b32 v2, v62, v66
	v_mul_f32_e32 v8, v10, v18
	v_pk_mul_f32 v[10:11], v[10:11], v[18:19]
	v_pk_mul_f32 v[12:13], v[12:13], v[20:21]
	v_mov_b32_e32 v10, v11
	v_mov_b32_e32 v11, v12
	s_waitcnt lgkmcnt(1)
	v_pk_mul_f32 v[4:5], v[10:11], v[4:5]
	ds_bpermute_b32 v10, v62, v66 offset:12
	ds_bpermute_b32 v11, v62, v66 offset:16
	s_waitcnt lgkmcnt(2)
	v_fmac_f32_e32 v63, v8, v2
	v_pk_mul_f32 v[8:9], v[14:15], v[22:23]
	v_add_f32_e32 v2, v63, v4
	v_add_f32_e32 v2, v2, v5
	v_mov_b32_e32 v4, v13
	v_mov_b32_e32 v5, v8
	s_waitcnt lgkmcnt(0)
	v_pk_mul_f32 v[4:5], v[4:5], v[10:11]
	ds_bpermute_b32 v10, v62, v66 offset:20
	ds_bpermute_b32 v11, v62, v66 offset:24
	v_pk_mul_f32 v[6:7], v[16:17], v[24:25]
	v_add_f32_e32 v2, v2, v4
	v_mov_b32_e32 v8, v9
	v_mov_b32_e32 v9, v6
	v_add_f32_e32 v2, v2, v5
	s_waitcnt lgkmcnt(0)
	v_pk_mul_f32 v[6:7], v[8:9], v[10:11]
	v_add_f32_e32 v2, v2, v6
	ds_bpermute_b32 v4, v62, v66 offset:28
	v_add_f32_e32 v2, v2, v7
.LBB182_40:                             ;   in Loop: Header=BB182_3 Depth=1
	v_mul_f32_e32 v5, v25, v17
	s_waitcnt lgkmcnt(0)
	v_fmac_f32_e32 v2, v5, v4
	v_mov_b32_e32 v4, s35
	v_add_co_u32_e32 v30, vcc, s34, v30
	v_addc_co_u32_e32 v1, vcc, v1, v4, vcc
	v_add_co_u32_e32 v32, vcc, s34, v32
	v_addc_co_u32_e32 v27, vcc, v27, v4, vcc
	;; [unrolled: 2-line block ×15, first 2 shown]
	s_add_u32 s38, s38, s7
	v_add_co_u32_e32 v60, vcc, s34, v60
	s_addc_u32 s39, s39, 0
	v_addc_co_u32_e32 v57, vcc, v57, v4, vcc
	v_pk_mov_b32 v[4:5], s[12:13], s[12:13] op_sel:[0,1]
	s_add_u32 s36, s36, s7
	v_cmp_lt_i64_e32 vcc, s[38:39], v[4:5]
	s_addc_u32 s37, s37, 0
	s_cbranch_vccz .LBB182_50
; %bb.41:                               ;   in Loop: Header=BB182_3 Depth=1
	v_mov_b32_e32 v63, v2
	s_branch .LBB182_3
.LBB182_42:                             ;   in Loop: Header=BB182_3 Depth=1
	v_add_co_u32_e32 v4, vcc, v58, v28
	v_addc_co_u32_e32 v5, vcc, v55, v29, vcc
	global_load_ushort v2, v[4:5], off
	v_add_co_u32_e32 v4, vcc, v60, v28
	v_addc_co_u32_e32 v5, vcc, v57, v29, vcc
	global_load_ushort v10, v[4:5], off
	v_mov_b32_e32 v8, v3
	v_mov_b32_e32 v9, v3
	;; [unrolled: 1-line block ×13, first 2 shown]
	s_waitcnt vmcnt(1)
	v_cvt_f32_f16_e32 v2, v2
	v_pk_mov_b32 v[24:25], v[8:9], v[8:9] op_sel:[0,1]
	v_pk_mov_b32 v[22:23], v[6:7], v[6:7] op_sel:[0,1]
	;; [unrolled: 1-line block ×4, first 2 shown]
	s_waitcnt vmcnt(0)
	v_cvt_f32_f16_e32 v10, v10
	s_or_b64 exec, exec, s[8:9]
	s_and_saveexec_b64 s[8:9], s[2:3]
	s_cbranch_execz .LBB182_32
.LBB182_43:                             ;   in Loop: Header=BB182_3 Depth=1
	v_add_co_u32_e32 v4, vcc, v54, v28
	v_addc_co_u32_e32 v5, vcc, v51, v29, vcc
	global_load_ushort v2, v[4:5], off
	v_add_co_u32_e32 v4, vcc, v56, v28
	v_addc_co_u32_e32 v5, vcc, v53, v29, vcc
	global_load_ushort v4, v[4:5], off
	s_waitcnt vmcnt(1)
	v_cvt_f32_f16_e32 v19, v2
	s_waitcnt vmcnt(0)
	v_cvt_f32_f16_e32 v11, v4
	s_or_b64 exec, exec, s[8:9]
	s_and_saveexec_b64 s[8:9], s[2:3]
	s_cbranch_execz .LBB182_33
.LBB182_44:                             ;   in Loop: Header=BB182_3 Depth=1
	v_add_co_u32_e32 v4, vcc, v50, v28
	v_addc_co_u32_e32 v5, vcc, v47, v29, vcc
	global_load_ushort v2, v[4:5], off
	v_add_co_u32_e32 v4, vcc, v52, v28
	v_addc_co_u32_e32 v5, vcc, v49, v29, vcc
	global_load_ushort v4, v[4:5], off
	s_waitcnt vmcnt(1)
	v_cvt_f32_f16_e32 v20, v2
	s_waitcnt vmcnt(0)
	v_cvt_f32_f16_e32 v12, v4
	s_or_b64 exec, exec, s[8:9]
	s_and_saveexec_b64 s[8:9], s[2:3]
	s_cbranch_execz .LBB182_34
.LBB182_45:                             ;   in Loop: Header=BB182_3 Depth=1
	v_add_co_u32_e32 v4, vcc, v46, v28
	v_addc_co_u32_e32 v5, vcc, v43, v29, vcc
	global_load_ushort v2, v[4:5], off
	v_add_co_u32_e32 v4, vcc, v48, v28
	v_addc_co_u32_e32 v5, vcc, v45, v29, vcc
	global_load_ushort v4, v[4:5], off
	s_waitcnt vmcnt(1)
	v_cvt_f32_f16_e32 v21, v2
	s_waitcnt vmcnt(0)
	v_cvt_f32_f16_e32 v13, v4
	s_or_b64 exec, exec, s[8:9]
	s_and_saveexec_b64 s[8:9], s[2:3]
	s_cbranch_execz .LBB182_35
.LBB182_46:                             ;   in Loop: Header=BB182_3 Depth=1
	v_add_co_u32_e32 v4, vcc, v42, v28
	v_addc_co_u32_e32 v5, vcc, v39, v29, vcc
	global_load_ushort v2, v[4:5], off
	v_add_co_u32_e32 v4, vcc, v44, v28
	v_addc_co_u32_e32 v5, vcc, v41, v29, vcc
	global_load_ushort v4, v[4:5], off
	s_waitcnt vmcnt(1)
	v_cvt_f32_f16_e32 v22, v2
	s_waitcnt vmcnt(0)
	v_cvt_f32_f16_e32 v14, v4
	s_or_b64 exec, exec, s[8:9]
	s_and_saveexec_b64 s[8:9], s[2:3]
	s_cbranch_execz .LBB182_36
.LBB182_47:                             ;   in Loop: Header=BB182_3 Depth=1
	v_add_co_u32_e32 v4, vcc, v38, v28
	v_addc_co_u32_e32 v5, vcc, v35, v29, vcc
	global_load_ushort v2, v[4:5], off
	v_add_co_u32_e32 v4, vcc, v40, v28
	v_addc_co_u32_e32 v5, vcc, v37, v29, vcc
	global_load_ushort v4, v[4:5], off
	s_waitcnt vmcnt(1)
	v_cvt_f32_f16_e32 v23, v2
	s_waitcnt vmcnt(0)
	v_cvt_f32_f16_e32 v15, v4
	s_or_b64 exec, exec, s[8:9]
	s_and_saveexec_b64 s[8:9], s[2:3]
	s_cbranch_execz .LBB182_37
.LBB182_48:                             ;   in Loop: Header=BB182_3 Depth=1
	v_add_co_u32_e32 v4, vcc, v34, v28
	v_addc_co_u32_e32 v5, vcc, v31, v29, vcc
	global_load_ushort v2, v[4:5], off
	v_add_co_u32_e32 v4, vcc, v36, v28
	v_addc_co_u32_e32 v5, vcc, v33, v29, vcc
	global_load_ushort v4, v[4:5], off
	s_waitcnt vmcnt(1)
	v_cvt_f32_f16_e32 v24, v2
	s_waitcnt vmcnt(0)
	v_cvt_f32_f16_e32 v16, v4
	s_or_b64 exec, exec, s[8:9]
	s_and_saveexec_b64 s[8:9], s[2:3]
	s_cbranch_execnz .LBB182_38
	s_branch .LBB182_39
.LBB182_49:
                                        ; implicit-def: $vgpr2
	s_branch .LBB182_51
.LBB182_50:
	s_cbranch_execnz .LBB182_83
.LBB182_51:
	s_and_b64 vcc, exec, s[0:1]
	v_mov_b32_e32 v2, 0
	s_cbranch_vccnz .LBB182_83
; %bb.52:
	s_load_dword s0, s[4:5], 0x44
	s_add_u32 s2, s4, 64
	s_addc_u32 s3, s5, 0
	v_bfe_u32 v85, v0, 10, 10
	v_lshlrev_b32_e32 v1, 4, v85
	s_waitcnt lgkmcnt(0)
	s_lshl_b32 s7, s0, 7
	s_add_u32 s8, s28, 0x7f
	s_addc_u32 s9, 0, 0
	s_lshl_b64 s[0:1], s[28:29], 1
	v_mov_b32_e32 v2, s1
	v_add_co_u32_e32 v1, vcc, s0, v1
	v_addc_co_u32_e32 v4, vcc, 0, v2, vcc
	v_add_co_u32_e32 v6, vcc, 2, v1
	v_addc_co_u32_e32 v5, vcc, 0, v4, vcc
	v_add_co_u32_e32 v9, vcc, 4, v1
	v_mul_lo_u32 v7, s14, v5
	v_addc_co_u32_e32 v5, vcc, 0, v4, vcc
	v_add_co_u32_e32 v12, vcc, 6, v1
	v_mul_lo_u32 v10, s14, v5
	;; [unrolled: 3-line block ×5, first 2 shown]
	v_addc_co_u32_e32 v5, vcc, 0, v4, vcc
	v_add_co_u32_e32 v24, vcc, 14, v1
	v_lshlrev_b32_e32 v26, 3, v85
	v_addc_co_u32_e32 v1, vcc, 0, v4, vcc
	v_mul_lo_u32 v25, s14, v1
	v_mov_b32_e32 v1, s29
	v_add_co_u32_e32 v43, vcc, s28, v26
	v_pk_mov_b32 v[2:3], s[16:17], s[16:17] op_sel:[0,1]
	v_addc_co_u32_e32 v59, vcc, 0, v1, vcc
	v_mad_u64_u32 v[28:29], s[0:1], s14, v6, v[2:3]
	v_mad_u64_u32 v[30:31], s[0:1], s14, v9, v[2:3]
	;; [unrolled: 1-line block ×7, first 2 shown]
	v_mul_lo_u32 v60, s15, v43
	v_mul_lo_u32 v61, s14, v59
	v_mad_u64_u32 v[2:3], s[0:1], s14, v43, 0
	v_add3_u32 v3, v3, v61, v60
	v_lshlrev_b64 v[2:3], 1, v[2:3]
	v_mul_lo_u32 v22, s14, v5
	v_mov_b32_e32 v81, s17
	v_add_co_u32_e32 v42, vcc, s16, v2
	v_pk_mov_b32 v[4:5], s[18:19], s[18:19] op_sel:[0,1]
	v_mul_lo_u32 v17, s15, v15
	v_addc_co_u32_e32 v1, vcc, v81, v3, vcc
	v_mad_u64_u32 v[50:51], s[0:1], s14, v15, v[4:5]
	v_add3_u32 v35, v17, v35, v16
	v_mul_lo_u32 v27, s15, v24
	v_add3_u32 v51, v17, v51, v16
	v_mad_u64_u32 v[56:57], s[0:1], s14, v24, v[4:5]
	v_mov_b32_e32 v16, s19
	v_add_co_u32_e32 v58, vcc, s18, v2
	v_add3_u32 v41, v27, v41, v25
	v_add3_u32 v57, v27, v57, v25
	v_addc_co_u32_e32 v27, vcc, v16, v3, vcc
	v_add_co_u32_e32 v2, vcc, 7, v43
	v_addc_co_u32_e32 v3, vcc, 0, v59, vcc
	v_mad_u64_u32 v[44:45], s[0:1], s14, v6, v[4:5]
	v_mad_u64_u32 v[46:47], s[0:1], s14, v9, v[4:5]
	;; [unrolled: 1-line block ×5, first 2 shown]
	v_mul_lo_u32 v4, s15, v2
	v_mul_lo_u32 v5, s14, v3
	v_mad_u64_u32 v[2:3], s[0:1], s14, v2, 0
	v_add3_u32 v3, v3, v5, v4
	v_add_co_u32_e32 v4, vcc, 6, v43
	v_mul_lo_u32 v8, s15, v6
	v_addc_co_u32_e32 v5, vcc, 0, v59, vcc
	v_add3_u32 v29, v8, v29, v7
	v_add3_u32 v45, v8, v45, v7
	v_mul_lo_u32 v6, s15, v4
	v_mul_lo_u32 v7, s14, v5
	v_mad_u64_u32 v[4:5], s[0:1], s14, v4, 0
	v_add3_u32 v5, v5, v7, v6
	v_add_co_u32_e32 v6, vcc, 5, v43
	v_addc_co_u32_e32 v7, vcc, 0, v59, vcc
	v_mul_lo_u32 v11, s15, v9
	v_mul_lo_u32 v8, s15, v6
	;; [unrolled: 1-line block ×3, first 2 shown]
	v_mad_u64_u32 v[6:7], s[0:1], s14, v6, 0
	v_add3_u32 v7, v7, v9, v8
	v_add_co_u32_e32 v8, vcc, 4, v43
	v_addc_co_u32_e32 v9, vcc, 0, v59, vcc
	v_add3_u32 v31, v11, v31, v10
	v_add3_u32 v47, v11, v47, v10
	v_mul_lo_u32 v10, s15, v8
	v_mul_lo_u32 v11, s14, v9
	v_mad_u64_u32 v[8:9], s[0:1], s14, v8, 0
	v_add3_u32 v9, v9, v11, v10
	v_add_co_u32_e32 v10, vcc, 3, v43
	v_mul_lo_u32 v14, s15, v12
	v_addc_co_u32_e32 v11, vcc, 0, v59, vcc
	v_add3_u32 v33, v14, v33, v13
	v_add3_u32 v49, v14, v49, v13
	v_mul_lo_u32 v12, s15, v10
	v_mul_lo_u32 v13, s14, v11
	v_mad_u64_u32 v[10:11], s[0:1], s14, v10, 0
	v_add3_u32 v11, v11, v13, v12
	v_add_co_u32_e32 v12, vcc, 2, v43
	v_addc_co_u32_e32 v13, vcc, 0, v59, vcc
	v_mul_lo_u32 v14, s15, v12
	v_mul_lo_u32 v15, s14, v13
	v_mad_u64_u32 v[12:13], s[0:1], s14, v12, 0
	v_add3_u32 v13, v13, v15, v14
	v_pk_mov_b32 v[14:15], s[14:15], s[14:15] op_sel:[0,1]
	v_lshlrev_b64 v[2:3], 1, v[2:3]
	v_mad_u64_u32 v[14:15], s[0:1], s14, v43, v[14:15]
	v_add3_u32 v15, v60, v15, v61
	v_add_co_u32_e32 v60, vcc, s16, v2
	v_addc_co_u32_e32 v43, vcc, v81, v3, vcc
	v_add_co_u32_e32 v62, vcc, s18, v2
	v_addc_co_u32_e32 v59, vcc, v16, v3, vcc
	v_lshlrev_b64 v[2:3], 1, v[4:5]
	v_add_co_u32_e32 v64, vcc, s16, v2
	v_addc_co_u32_e32 v61, vcc, v81, v3, vcc
	v_add_co_u32_e32 v66, vcc, s18, v2
	v_addc_co_u32_e32 v63, vcc, v16, v3, vcc
	v_lshlrev_b64 v[2:3], 1, v[6:7]
	;; [unrolled: 5-line block ×6, first 2 shown]
	v_add_co_u32_e32 v84, vcc, s16, v2
	v_addc_co_u32_e32 v81, vcc, v81, v3, vcc
	v_mbcnt_lo_u32_b32 v4, -1, 0
	v_add_co_u32_e32 v86, vcc, s18, v2
	v_and_b32_e32 v87, 0x3ff, v0
	s_mul_i32 s0, s15, s7
	s_mul_hi_u32 s1, s14, s7
	v_mbcnt_hi_u32_b32 v4, -1, v4
	v_mul_lo_u32 v20, s15, v18
	v_mul_lo_u32 v23, s15, v21
	v_addc_co_u32_e32 v83, vcc, v16, v3, vcc
	v_add_u32_e32 v2, s33, v87
	v_mov_b32_e32 v3, 0
	s_add_i32 s1, s1, s0
	s_mul_i32 s0, s14, s7
	v_lshlrev_b32_e32 v4, 2, v4
	v_add3_u32 v37, v20, v37, v19
	v_add3_u32 v39, v23, v39, v22
	;; [unrolled: 1-line block ×4, first 2 shown]
	s_mov_b32 s16, 0
	s_lshl_b64 s[24:25], s[0:1], 1
	v_and_b32_e32 v90, 0x100, v4
	v_mov_b32_e32 v91, 0
	v_lshlrev_b64 v[88:89], 1, v[2:3]
.LBB182_53:                             ; =>This Inner Loop Header: Depth=1
	v_pk_mov_b32 v[4:5], s[12:13], s[12:13] op_sel:[0,1]
	v_cmp_ge_i64_e32 vcc, s[8:9], v[4:5]
	v_mov_b32_e32 v2, s9
	v_add_co_u32_e64 v92, s[0:1], s8, v26
	v_addc_co_u32_e64 v93, s[0:1], 0, v2, s[0:1]
	s_cbranch_vccz .LBB182_75
; %bb.54:                               ;   in Loop: Header=BB182_53 Depth=1
	s_load_dword s0, s[2:3], 0xc
	v_mov_b32_e32 v94, 0
	s_waitcnt lgkmcnt(0)
	s_and_b32 s0, s0, 0xffff
	v_mad_u32_u24 v2, v85, s0, v87
	v_and_b32_e32 v2, 63, v2
	v_cmp_gt_u32_e32 vcc, 8, v2
	s_and_saveexec_b64 s[0:1], vcc
	s_cbranch_execz .LBB182_58
; %bb.55:                               ;   in Loop: Header=BB182_53 Depth=1
	v_add_co_u32_e32 v2, vcc, v92, v2
	v_addc_co_u32_e32 v5, vcc, 0, v93, vcc
	v_add_co_u32_e32 v4, vcc, 0xffffff81, v2
	v_addc_co_u32_e32 v5, vcc, -1, v5, vcc
	v_cmp_gt_i64_e32 vcc, s[12:13], v[4:5]
	v_mov_b32_e32 v94, 0
	s_and_saveexec_b64 s[18:19], vcc
	s_cbranch_execz .LBB182_57
; %bb.56:                               ;   in Loop: Header=BB182_53 Depth=1
	v_lshlrev_b64 v[4:5], 2, v[4:5]
	v_mov_b32_e32 v2, s11
	v_add_co_u32_e32 v4, vcc, s10, v4
	v_addc_co_u32_e32 v5, vcc, v2, v5, vcc
	global_load_dword v94, v[4:5], off
.LBB182_57:                             ;   in Loop: Header=BB182_53 Depth=1
	s_or_b64 exec, exec, s[18:19]
.LBB182_58:                             ;   in Loop: Header=BB182_53 Depth=1
	s_or_b64 exec, exec, s[0:1]
	s_mov_b32 s17, s16
	s_mov_b32 s18, s16
	s_mov_b32 s19, s16
	s_mov_b32 s20, s16
	s_mov_b32 s21, s16
	s_mov_b32 s22, s16
	s_mov_b32 s23, s16
	v_pk_mov_b32 v[10:11], s[16:17], s[16:17] op_sel:[0,1]
	v_add_co_u32_e32 v4, vcc, 0xffffff81, v92
	v_pk_mov_b32 v[16:17], s[22:23], s[22:23] op_sel:[0,1]
	v_addc_co_u32_e32 v5, vcc, -1, v93, vcc
	v_pk_mov_b32 v[12:13], s[18:19], s[18:19] op_sel:[0,1]
	v_pk_mov_b32 v[14:15], s[20:21], s[20:21] op_sel:[0,1]
	;; [unrolled: 1-line block ×3, first 2 shown]
	v_cmp_gt_i64_e32 vcc, s[12:13], v[4:5]
	v_pk_mov_b32 v[22:23], v[14:15], v[14:15] op_sel:[0,1]
	v_pk_mov_b32 v[20:21], v[12:13], v[12:13] op_sel:[0,1]
	;; [unrolled: 1-line block ×3, first 2 shown]
	s_and_saveexec_b64 s[0:1], vcc
	s_cbranch_execz .LBB182_60
; %bb.59:                               ;   in Loop: Header=BB182_53 Depth=1
	v_add_co_u32_e32 v4, vcc, v42, v88
	v_addc_co_u32_e32 v5, vcc, v1, v89, vcc
	global_load_ushort v2, v[4:5], off
	v_add_co_u32_e32 v4, vcc, v58, v88
	v_addc_co_u32_e32 v5, vcc, v27, v89, vcc
	global_load_ushort v10, v[4:5], off
	v_mov_b32_e32 v8, v3
	v_mov_b32_e32 v9, v3
	;; [unrolled: 1-line block ×13, first 2 shown]
	s_waitcnt vmcnt(1)
	v_cvt_f32_f16_e32 v2, v2
	v_pk_mov_b32 v[24:25], v[8:9], v[8:9] op_sel:[0,1]
	v_pk_mov_b32 v[22:23], v[6:7], v[6:7] op_sel:[0,1]
	;; [unrolled: 1-line block ×4, first 2 shown]
	s_waitcnt vmcnt(0)
	v_cvt_f32_f16_e32 v10, v10
.LBB182_60:                             ;   in Loop: Header=BB182_53 Depth=1
	s_or_b64 exec, exec, s[0:1]
	v_add_co_u32_e32 v4, vcc, 0xffffff82, v92
	v_addc_co_u32_e32 v5, vcc, -1, v93, vcc
	v_cmp_gt_i64_e32 vcc, s[12:13], v[4:5]
	s_and_saveexec_b64 s[0:1], vcc
	s_cbranch_execz .LBB182_62
; %bb.61:                               ;   in Loop: Header=BB182_53 Depth=1
	v_add_co_u32_e32 v4, vcc, v84, v88
	v_addc_co_u32_e32 v5, vcc, v81, v89, vcc
	global_load_ushort v2, v[4:5], off
	v_add_co_u32_e32 v4, vcc, v86, v88
	v_addc_co_u32_e32 v5, vcc, v83, v89, vcc
	global_load_ushort v4, v[4:5], off
	s_waitcnt vmcnt(1)
	v_cvt_f32_f16_e32 v19, v2
	s_waitcnt vmcnt(0)
	v_cvt_f32_f16_e32 v11, v4
.LBB182_62:                             ;   in Loop: Header=BB182_53 Depth=1
	s_or_b64 exec, exec, s[0:1]
	v_add_co_u32_e32 v4, vcc, 0xffffff83, v92
	v_addc_co_u32_e32 v5, vcc, -1, v93, vcc
	v_cmp_gt_i64_e32 vcc, s[12:13], v[4:5]
	s_and_saveexec_b64 s[0:1], vcc
	s_cbranch_execz .LBB182_64
; %bb.63:                               ;   in Loop: Header=BB182_53 Depth=1
	v_add_co_u32_e32 v4, vcc, v80, v88
	v_addc_co_u32_e32 v5, vcc, v77, v89, vcc
	global_load_ushort v2, v[4:5], off
	v_add_co_u32_e32 v4, vcc, v82, v88
	v_addc_co_u32_e32 v5, vcc, v79, v89, vcc
	global_load_ushort v4, v[4:5], off
	s_waitcnt vmcnt(1)
	v_cvt_f32_f16_e32 v20, v2
	s_waitcnt vmcnt(0)
	v_cvt_f32_f16_e32 v12, v4
.LBB182_64:                             ;   in Loop: Header=BB182_53 Depth=1
	;; [unrolled: 18-line block ×7, first 2 shown]
	s_or_b64 exec, exec, s[0:1]
	s_waitcnt vmcnt(0)
	ds_bpermute_b32 v4, v90, v94
	ds_bpermute_b32 v5, v90, v94 offset:4
	v_pk_mul_f32 v[8:9], v[14:15], v[22:23]
	ds_bpermute_b32 v14, v90, v94 offset:8
	ds_bpermute_b32 v15, v90, v94 offset:12
	v_pk_mul_f32 v[10:11], v[10:11], v[18:19]
	s_waitcnt lgkmcnt(2)
	v_pk_mul_f32 v[4:5], v[10:11], v[4:5]
	ds_bpermute_b32 v10, v90, v94 offset:16
	ds_bpermute_b32 v11, v90, v94 offset:20
	v_pk_mul_f32 v[12:13], v[12:13], v[20:21]
	v_add_f32_e32 v2, v91, v4
	v_add_f32_e32 v2, v2, v5
	s_waitcnt lgkmcnt(2)
	v_pk_mul_f32 v[4:5], v[12:13], v[14:15]
	ds_bpermute_b32 v12, v90, v94 offset:24
	ds_bpermute_b32 v13, v90, v94 offset:28
	v_add_f32_e32 v2, v2, v4
	v_add_f32_e32 v2, v2, v5
	s_waitcnt lgkmcnt(2)
	v_pk_mul_f32 v[4:5], v[8:9], v[10:11]
	v_pk_mul_f32 v[6:7], v[16:17], v[24:25]
	v_add_f32_e32 v2, v2, v4
	v_add_f32_e32 v2, v2, v5
	s_waitcnt lgkmcnt(0)
	v_pk_mul_f32 v[4:5], v[6:7], v[12:13]
	v_add_f32_e32 v2, v2, v4
	v_add_f32_e32 v2, v2, v5
	s_branch .LBB182_81
.LBB182_75:                             ;   in Loop: Header=BB182_53 Depth=1
                                        ; implicit-def: $vgpr2
	s_cbranch_execz .LBB182_81
; %bb.76:                               ;   in Loop: Header=BB182_53 Depth=1
	s_load_dword s0, s[2:3], 0x0
	s_waitcnt lgkmcnt(0)
	s_cmp_lt_u32 s6, s0
	s_cselect_b32 s0, 12, 18
	s_add_u32 s0, s2, s0
	s_addc_u32 s1, s3, 0
	global_load_ushort v2, v3, s[0:1]
	s_waitcnt vmcnt(0)
	v_mad_u32_u24 v2, v85, v2, v87
	v_and_b32_e32 v4, 63, v2
	v_cmp_gt_u32_e32 vcc, 8, v4
	v_mov_b32_e32 v2, 0
	s_and_saveexec_b64 s[0:1], vcc
	s_cbranch_execz .LBB182_80
; %bb.77:                               ;   in Loop: Header=BB182_53 Depth=1
	v_add_co_u32_e32 v2, vcc, v92, v4
	v_addc_co_u32_e32 v5, vcc, 0, v93, vcc
	v_add_co_u32_e32 v4, vcc, 0xffffff81, v2
	v_addc_co_u32_e32 v5, vcc, -1, v5, vcc
	v_cmp_gt_i64_e32 vcc, s[12:13], v[4:5]
	v_mov_b32_e32 v2, 0
	s_and_saveexec_b64 s[18:19], vcc
	s_cbranch_execz .LBB182_79
; %bb.78:                               ;   in Loop: Header=BB182_53 Depth=1
	v_lshlrev_b64 v[4:5], 2, v[4:5]
	v_mov_b32_e32 v2, s11
	v_add_co_u32_e32 v4, vcc, s10, v4
	v_addc_co_u32_e32 v5, vcc, v2, v5, vcc
	global_load_dword v2, v[4:5], off
.LBB182_79:                             ;   in Loop: Header=BB182_53 Depth=1
	s_or_b64 exec, exec, s[18:19]
.LBB182_80:                             ;   in Loop: Header=BB182_53 Depth=1
	s_or_b64 exec, exec, s[0:1]
	v_add_co_u32_e32 v4, vcc, v42, v88
	v_addc_co_u32_e32 v5, vcc, v1, v89, vcc
	global_load_ushort v6, v[4:5], off
	v_add_co_u32_e32 v4, vcc, v58, v88
	v_addc_co_u32_e32 v5, vcc, v27, v89, vcc
	global_load_ushort v7, v[4:5], off
	;; [unrolled: 3-line block ×16, first 2 shown]
	s_waitcnt vmcnt(16)
	ds_bpermute_b32 v21, v90, v2 offset:4
	s_waitcnt vmcnt(15)
	v_cvt_f32_f16_e32 v5, v6
	s_waitcnt vmcnt(14)
	v_cvt_f32_f16_e32 v6, v7
	v_mul_f32_e32 v5, v5, v6
	s_waitcnt vmcnt(13)
	v_cvt_f32_f16_e32 v7, v8
	s_waitcnt vmcnt(12)
	v_cvt_f32_f16_e32 v8, v9
	v_mul_f32_e32 v6, v7, v8
	;; [unrolled: 5-line block ×3, first 2 shown]
	s_waitcnt vmcnt(9)
	v_cvt_f32_f16_e32 v11, v12
	s_waitcnt vmcnt(8)
	v_cvt_f32_f16_e32 v12, v13
	;; [unrolled: 2-line block ×8, first 2 shown]
	ds_bpermute_b32 v19, v90, v2
	s_waitcnt vmcnt(1)
	v_cvt_f32_f16_e32 v20, v20
	s_waitcnt lgkmcnt(0)
	v_fmac_f32_e32 v91, v5, v19
	ds_bpermute_b32 v5, v90, v2 offset:8
	v_fmac_f32_e32 v91, v6, v21
	ds_bpermute_b32 v6, v90, v2 offset:12
	s_waitcnt vmcnt(0)
	v_cvt_f32_f16_e32 v4, v4
	s_waitcnt lgkmcnt(1)
	v_fmac_f32_e32 v91, v7, v5
	ds_bpermute_b32 v5, v90, v2 offset:16
	v_mul_f32_e32 v7, v11, v12
	s_waitcnt lgkmcnt(1)
	v_fmac_f32_e32 v91, v7, v6
	v_mul_f32_e32 v6, v13, v14
	ds_bpermute_b32 v7, v90, v2 offset:20
	s_waitcnt lgkmcnt(1)
	v_fmac_f32_e32 v91, v6, v5
	ds_bpermute_b32 v5, v90, v2 offset:24
	ds_bpermute_b32 v2, v90, v2 offset:28
	v_mul_f32_e32 v6, v15, v16
	s_waitcnt lgkmcnt(2)
	v_fmac_f32_e32 v91, v6, v7
	v_mul_f32_e32 v6, v17, v18
	s_waitcnt lgkmcnt(1)
	v_fmac_f32_e32 v91, v6, v5
	;; [unrolled: 3-line block ×3, first 2 shown]
	v_mov_b32_e32 v2, v91
.LBB182_81:                             ;   in Loop: Header=BB182_53 Depth=1
	s_add_u32 s28, s28, s7
	s_addc_u32 s29, s29, 0
	v_pk_mov_b32 v[4:5], s[12:13], s[12:13] op_sel:[0,1]
	v_cmp_ge_i64_e32 vcc, s[28:29], v[4:5]
	v_mov_b32_e32 v4, s25
	v_add_co_u32_e64 v28, s[0:1], s24, v28
	v_addc_co_u32_e64 v29, s[0:1], v29, v4, s[0:1]
	v_add_co_u32_e64 v30, s[0:1], s24, v30
	v_addc_co_u32_e64 v31, s[0:1], v31, v4, s[0:1]
	;; [unrolled: 2-line block ×29, first 2 shown]
	v_add_co_u32_e64 v86, s[0:1], s24, v86
	s_add_u32 s8, s8, s7
	v_addc_co_u32_e64 v83, s[0:1], v83, v4, s[0:1]
	s_addc_u32 s9, s9, 0
	s_cbranch_vccnz .LBB182_83
; %bb.82:                               ;   in Loop: Header=BB182_53 Depth=1
	v_mov_b32_e32 v91, v2
	s_branch .LBB182_53
.LBB182_83:
	v_and_b32_e32 v3, 0x3ff, v0
	v_bfe_u32 v0, v0, 10, 10
	v_mad_u32_u24 v4, v0, 33, v3
	v_lshl_add_u32 v5, v4, 2, 0
	ds_write_b32 v5, v2
	v_sub_u32_e32 v2, v4, v0
	s_movk_i32 s0, 0x800
	s_mov_b32 s7, 0
	v_mov_b32_e32 v1, 0
	v_cmp_gt_u32_e32 vcc, s0, v2
	ds_write_b32 v5, v1 offset:2112
	s_waitcnt lgkmcnt(0)
	s_barrier
	s_and_saveexec_b64 s[0:1], vcc
	s_cbranch_execz .LBB182_90
; %bb.84:
	v_mbcnt_lo_u32_b32 v4, -1, 0
	v_mbcnt_hi_u32_b32 v7, -1, v4
	v_and_b32_e32 v4, 64, v7
	v_add_u32_e32 v8, 64, v4
	v_cmp_ne_u32_e64 s[0:1], 0, v3
	v_xor_b32_e32 v3, 8, v7
	v_cmp_lt_i32_e64 s[2:3], v3, v8
	v_cndmask_b32_e64 v3, v7, v3, s[2:3]
	v_lshlrev_b32_e32 v4, 2, v3
	v_xor_b32_e32 v3, 4, v7
	v_cmp_lt_i32_e64 s[2:3], v3, v8
	s_load_dwordx2 s[12:13], s[4:5], 0x30
	v_cndmask_b32_e64 v3, v7, v3, s[2:3]
	v_lshlrev_b32_e32 v5, 2, v3
	v_xor_b32_e32 v3, 2, v7
	v_cmp_lt_i32_e64 s[2:3], v3, v8
	v_cndmask_b32_e64 v3, v7, v3, s[2:3]
	s_lshl_b64 s[4:5], s[6:7], 5
	v_lshlrev_b32_e32 v6, 2, v3
	v_xor_b32_e32 v3, 1, v7
	s_waitcnt lgkmcnt(0)
	s_cmp_eq_u64 s[12:13], 0
	v_cmp_lt_i32_e64 s[2:3], v3, v8
	v_lshrrev_b32_e32 v0, 6, v2
	v_and_b32_e32 v2, 63, v2
	s_cselect_b64 s[10:11], -1, 0
	v_cndmask_b32_e64 v3, v7, v3, s[2:3]
	s_lshl_b64 s[2:3], s[6:7], 6
	v_cmp_gt_u32_e32 vcc, 16, v2
	v_mul_u32_u24_e32 v2, 0x84, v2
	v_lshlrev_b32_e32 v7, 2, v3
	v_lshlrev_b32_e32 v3, 2, v0
	s_add_u32 s2, s12, s2
	v_add3_u32 v8, v2, v3, 0
	v_lshlrev_b32_e32 v2, 1, v0
	s_addc_u32 s3, s13, s3
	v_mov_b32_e32 v3, s3
	v_add_co_u32_e64 v2, s[2:3], s2, v2
	s_mov_b64 s[8:9], 0
	v_addc_co_u32_e64 v3, s[2:3], 0, v3, s[2:3]
	v_mov_b32_e32 v9, s5
                                        ; implicit-def: $vgpr10
	s_branch .LBB182_86
.LBB182_85:                             ;   in Loop: Header=BB182_86 Depth=1
	s_or_b64 exec, exec, s[2:3]
	v_add_co_u32_e64 v0, s[2:3], 8, v0
	v_addc_co_u32_e64 v1, s[2:3], 0, v1, s[2:3]
	v_add_u32_e32 v11, -8, v0
	v_cmp_lt_u32_e64 s[2:3], 23, v11
	s_or_b64 s[8:9], s[2:3], s[8:9]
	v_add_co_u32_e64 v2, s[2:3], 16, v2
	v_add_u32_e32 v8, 32, v8
	v_addc_co_u32_e64 v3, s[2:3], 0, v3, s[2:3]
	s_andn2_b64 exec, exec, s[8:9]
	s_cbranch_execz .LBB182_90
.LBB182_86:                             ; =>This Inner Loop Header: Depth=1
	s_and_saveexec_b64 s[2:3], vcc
	s_cbranch_execz .LBB182_88
; %bb.87:                               ;   in Loop: Header=BB182_86 Depth=1
	ds_read_b32 v10, v8
.LBB182_88:                             ;   in Loop: Header=BB182_86 Depth=1
	s_or_b64 exec, exec, s[2:3]
	s_waitcnt lgkmcnt(0)
	ds_bpermute_b32 v11, v4, v10
	s_waitcnt lgkmcnt(0)
	v_add_f32_e32 v10, v10, v11
	ds_bpermute_b32 v11, v5, v10
	s_waitcnt lgkmcnt(0)
	v_add_f32_e32 v10, v10, v11
	;; [unrolled: 3-line block ×3, first 2 shown]
	ds_bpermute_b32 v13, v7, v12
	v_add_co_u32_e64 v10, s[2:3], s4, v0
	v_addc_co_u32_e64 v11, s[2:3], v9, v1, s[2:3]
	v_cmp_le_i64_e64 s[2:3], s[14:15], v[10:11]
	s_or_b64 s[2:3], s[0:1], s[2:3]
	s_or_b64 s[2:3], s[10:11], s[2:3]
	s_waitcnt lgkmcnt(0)
	v_add_f32_e32 v10, v12, v13
	s_xor_b64 s[6:7], s[2:3], -1
	s_and_saveexec_b64 s[2:3], s[6:7]
	s_cbranch_execz .LBB182_85
; %bb.89:                               ;   in Loop: Header=BB182_86 Depth=1
	v_cvt_f16_f32_e32 v11, v10
	global_store_short v[2:3], v11, off
	s_branch .LBB182_85
.LBB182_90:
	s_endpgm
	.section	.rodata,"a",@progbits
	.p2align	6, 0x0
	.amdhsa_kernel _ZN2at6native12_GLOBAL__N_135GammaBetaBackwardCUDAKernelTemplateIN3c104HalfEfLj32ELj16ELj128ELb0ELb0ELb1EEEvllPKT_S7_PKT0_SA_PS5_SB_
		.amdhsa_group_segment_fixed_size 0
		.amdhsa_private_segment_fixed_size 0
		.amdhsa_kernarg_size 320
		.amdhsa_user_sgpr_count 6
		.amdhsa_user_sgpr_private_segment_buffer 1
		.amdhsa_user_sgpr_dispatch_ptr 0
		.amdhsa_user_sgpr_queue_ptr 0
		.amdhsa_user_sgpr_kernarg_segment_ptr 1
		.amdhsa_user_sgpr_dispatch_id 0
		.amdhsa_user_sgpr_flat_scratch_init 0
		.amdhsa_user_sgpr_kernarg_preload_length 0
		.amdhsa_user_sgpr_kernarg_preload_offset 0
		.amdhsa_user_sgpr_private_segment_size 0
		.amdhsa_uses_dynamic_stack 0
		.amdhsa_system_sgpr_private_segment_wavefront_offset 0
		.amdhsa_system_sgpr_workgroup_id_x 1
		.amdhsa_system_sgpr_workgroup_id_y 1
		.amdhsa_system_sgpr_workgroup_id_z 0
		.amdhsa_system_sgpr_workgroup_info 0
		.amdhsa_system_vgpr_workitem_id 1
		.amdhsa_next_free_vgpr 95
		.amdhsa_next_free_sgpr 42
		.amdhsa_accum_offset 96
		.amdhsa_reserve_vcc 1
		.amdhsa_reserve_flat_scratch 0
		.amdhsa_float_round_mode_32 0
		.amdhsa_float_round_mode_16_64 0
		.amdhsa_float_denorm_mode_32 3
		.amdhsa_float_denorm_mode_16_64 3
		.amdhsa_dx10_clamp 1
		.amdhsa_ieee_mode 1
		.amdhsa_fp16_overflow 0
		.amdhsa_tg_split 0
		.amdhsa_exception_fp_ieee_invalid_op 0
		.amdhsa_exception_fp_denorm_src 0
		.amdhsa_exception_fp_ieee_div_zero 0
		.amdhsa_exception_fp_ieee_overflow 0
		.amdhsa_exception_fp_ieee_underflow 0
		.amdhsa_exception_fp_ieee_inexact 0
		.amdhsa_exception_int_div_zero 0
	.end_amdhsa_kernel
	.section	.text._ZN2at6native12_GLOBAL__N_135GammaBetaBackwardCUDAKernelTemplateIN3c104HalfEfLj32ELj16ELj128ELb0ELb0ELb1EEEvllPKT_S7_PKT0_SA_PS5_SB_,"axG",@progbits,_ZN2at6native12_GLOBAL__N_135GammaBetaBackwardCUDAKernelTemplateIN3c104HalfEfLj32ELj16ELj128ELb0ELb0ELb1EEEvllPKT_S7_PKT0_SA_PS5_SB_,comdat
.Lfunc_end182:
	.size	_ZN2at6native12_GLOBAL__N_135GammaBetaBackwardCUDAKernelTemplateIN3c104HalfEfLj32ELj16ELj128ELb0ELb0ELb1EEEvllPKT_S7_PKT0_SA_PS5_SB_, .Lfunc_end182-_ZN2at6native12_GLOBAL__N_135GammaBetaBackwardCUDAKernelTemplateIN3c104HalfEfLj32ELj16ELj128ELb0ELb0ELb1EEEvllPKT_S7_PKT0_SA_PS5_SB_
                                        ; -- End function
	.section	.AMDGPU.csdata,"",@progbits
; Kernel info:
; codeLenInByte = 7144
; NumSgprs: 46
; NumVgprs: 95
; NumAgprs: 0
; TotalNumVgprs: 95
; ScratchSize: 0
; MemoryBound: 0
; FloatMode: 240
; IeeeMode: 1
; LDSByteSize: 0 bytes/workgroup (compile time only)
; SGPRBlocks: 5
; VGPRBlocks: 11
; NumSGPRsForWavesPerEU: 46
; NumVGPRsForWavesPerEU: 95
; AccumOffset: 96
; Occupancy: 5
; WaveLimiterHint : 0
; COMPUTE_PGM_RSRC2:SCRATCH_EN: 0
; COMPUTE_PGM_RSRC2:USER_SGPR: 6
; COMPUTE_PGM_RSRC2:TRAP_HANDLER: 0
; COMPUTE_PGM_RSRC2:TGID_X_EN: 1
; COMPUTE_PGM_RSRC2:TGID_Y_EN: 1
; COMPUTE_PGM_RSRC2:TGID_Z_EN: 0
; COMPUTE_PGM_RSRC2:TIDIG_COMP_CNT: 1
; COMPUTE_PGM_RSRC3_GFX90A:ACCUM_OFFSET: 23
; COMPUTE_PGM_RSRC3_GFX90A:TG_SPLIT: 0
	.section	.text._ZN2at6native12_GLOBAL__N_135GammaBetaBackwardCUDAKernelTemplateIN3c104HalfEfLj32ELj32ELj256ELb0ELb1ELb1EEEvllPKT_S7_PKT0_SA_PS5_SB_,"axG",@progbits,_ZN2at6native12_GLOBAL__N_135GammaBetaBackwardCUDAKernelTemplateIN3c104HalfEfLj32ELj32ELj256ELb0ELb1ELb1EEEvllPKT_S7_PKT0_SA_PS5_SB_,comdat
	.globl	_ZN2at6native12_GLOBAL__N_135GammaBetaBackwardCUDAKernelTemplateIN3c104HalfEfLj32ELj32ELj256ELb0ELb1ELb1EEEvllPKT_S7_PKT0_SA_PS5_SB_ ; -- Begin function _ZN2at6native12_GLOBAL__N_135GammaBetaBackwardCUDAKernelTemplateIN3c104HalfEfLj32ELj32ELj256ELb0ELb1ELb1EEEvllPKT_S7_PKT0_SA_PS5_SB_
	.p2align	8
	.type	_ZN2at6native12_GLOBAL__N_135GammaBetaBackwardCUDAKernelTemplateIN3c104HalfEfLj32ELj32ELj256ELb0ELb1ELb1EEEvllPKT_S7_PKT0_SA_PS5_SB_,@function
_ZN2at6native12_GLOBAL__N_135GammaBetaBackwardCUDAKernelTemplateIN3c104HalfEfLj32ELj32ELj256ELb0ELb1ELb1EEEvllPKT_S7_PKT0_SA_PS5_SB_: ; @_ZN2at6native12_GLOBAL__N_135GammaBetaBackwardCUDAKernelTemplateIN3c104HalfEfLj32ELj32ELj256ELb0ELb1ELb1EEEvllPKT_S7_PKT0_SA_PS5_SB_
; %bb.0:
	s_load_dwordx4 s[8:11], s[4:5], 0x0
	s_lshl_b32 s16, s7, 8
	s_mov_b32 s17, 0
	v_bfe_u32 v11, v0, 10, 10
	s_waitcnt lgkmcnt(0)
	v_pk_mov_b32 v[2:3], s[8:9], s[8:9] op_sel:[0,1]
	v_cmp_lt_i64_e32 vcc, s[16:17], v[2:3]
	s_cbranch_vccnz .LBB183_2
; %bb.1:
	s_mov_b64 s[0:1], 0
	v_bfe_u32 v2, v0, 10, 10
	s_branch .LBB183_3
.LBB183_2:
	s_mov_b64 s[0:1], -1
                                        ; implicit-def: $vgpr2
.LBB183_3:
	s_load_dwordx2 s[2:3], s[4:5], 0x30
	v_and_b32_e32 v6, 0x3ff, v0
	s_andn2_b64 vcc, exec, s[0:1]
	v_mov_b32_e32 v1, s17
	v_mbcnt_lo_u32_b32 v10, -1, 0
	s_cbranch_vccnz .LBB183_11
; %bb.4:
	s_load_dword s0, s[4:5], 0x4c
	s_load_dword s7, s[4:5], 0x44
	s_load_dwordx4 s[12:15], s[4:5], 0x10
	s_load_dwordx2 s[18:19], s[4:5], 0x28
	v_mbcnt_hi_u32_b32 v4, -1, v10
	v_lshlrev_b32_e32 v2, 3, v11
	s_waitcnt lgkmcnt(0)
	s_and_b32 s0, s0, 0xffff
	v_lshlrev_b32_e32 v4, 2, v4
	v_mad_u32_u24 v0, v11, s0, v6
	v_and_b32_e32 v12, 0x100, v4
	v_mov_b32_e32 v4, s17
	v_add_co_u32_e32 v7, vcc, s16, v2
	v_and_b32_e32 v3, 63, v0
	v_addc_co_u32_e32 v8, vcc, 0, v4, vcc
	v_add_co_u32_e32 v2, vcc, v7, v3
	v_cmp_gt_u32_e64 s[0:1], 8, v3
	v_addc_co_u32_e32 v3, vcc, 0, v8, vcc
	v_lshlrev_b64 v[4:5], 2, v[2:3]
	v_mov_b32_e32 v9, s19
	v_add_co_u32_e32 v4, vcc, s18, v4
	s_lshl_b32 s4, s7, 8
	v_addc_co_u32_e32 v5, vcc, v9, v5, vcc
	v_mul_lo_u32 v20, s11, v7
	v_mul_lo_u32 v21, s10, v8
	v_mad_u64_u32 v[8:9], s[20:21], s10, v7, 0
	v_mov_b32_e32 v1, 0
	v_lshl_add_u32 v0, s6, 5, v6
	v_add3_u32 v9, v9, v21, v20
	s_mul_i32 s7, s11, s4
	s_mul_hi_u32 s20, s10, s4
	s_mov_b32 s5, 0
	v_lshlrev_b64 v[8:9], 1, v[8:9]
	v_lshlrev_b64 v[20:21], 1, v[0:1]
	s_add_i32 s21, s20, s7
	s_mul_i32 s20, s10, s4
	s_lshl_b64 s[18:19], s[4:5], 2
	v_add_co_u32_e32 v0, vcc, v8, v20
	s_lshl_b64 s[20:21], s[20:21], 1
	s_lshl_b64 s[10:11], s[10:11], 1
	v_or_b32_e32 v13, 4, v12
	v_or_b32_e32 v14, 8, v12
	v_or_b32_e32 v15, 12, v12
	v_or_b32_e32 v16, 16, v12
	v_or_b32_e32 v17, 20, v12
	v_or_b32_e32 v18, 24, v12
	v_or_b32_e32 v19, 28, v12
	v_addc_co_u32_e32 v7, vcc, v9, v21, vcc
	v_mov_b32_e32 v20, s13
	v_mov_b32_e32 v21, s15
	;; [unrolled: 1-line block ×6, first 2 shown]
	v_pk_mov_b32 v[8:9], s[8:9], s[8:9] op_sel:[0,1]
	s_branch .LBB183_7
.LBB183_5:                              ;   in Loop: Header=BB183_7 Depth=1
	s_or_b64 exec, exec, s[24:25]
.LBB183_6:                              ;   in Loop: Header=BB183_7 Depth=1
	s_or_b64 exec, exec, s[22:23]
	v_add_co_u32_e32 v28, vcc, s12, v0
	v_addc_co_u32_e32 v29, vcc, v20, v7, vcc
	v_add_co_u32_e32 v30, vcc, s14, v0
	v_addc_co_u32_e32 v31, vcc, v21, v7, vcc
	global_load_ushort v27, v[28:29], off
	v_add_co_u32_e32 v28, vcc, s10, v28
	v_addc_co_u32_e32 v29, vcc, v29, v22, vcc
	global_load_ushort v32, v[30:31], off
	;; [unrolled: 3-line block ×11, first 2 shown]
	global_load_ushort v42, v[30:31], off
	v_add_co_u32_e32 v28, vcc, s10, v28
	v_addc_co_u32_e32 v29, vcc, v29, v22, vcc
	v_add_co_u32_e32 v30, vcc, s10, v30
	v_addc_co_u32_e32 v31, vcc, v31, v22, vcc
	global_load_ushort v44, v[30:31], off
	global_load_ushort v43, v[28:29], off
	v_add_co_u32_e32 v28, vcc, s10, v28
	v_addc_co_u32_e32 v29, vcc, v29, v22, vcc
	global_load_ushort v45, v[28:29], off
	v_add_co_u32_e32 v28, vcc, s10, v30
	v_addc_co_u32_e32 v29, vcc, v31, v22, vcc
	;; [unrolled: 3-line block ×3, first 2 shown]
	v_add_co_u32_e32 v2, vcc, s4, v2
	v_addc_co_u32_e32 v3, vcc, v3, v24, vcc
	s_waitcnt vmcnt(15)
	v_cvt_f32_f16_e32 v27, v27
	s_add_u32 s16, s16, s4
	v_add_co_u32_e32 v0, vcc, s20, v0
	s_addc_u32 s17, s17, 0
	s_waitcnt vmcnt(14)
	v_cvt_f32_f16_e32 v29, v32
	v_addc_co_u32_e32 v7, vcc, v7, v25, vcc
	v_cmp_lt_i64_e32 vcc, s[16:17], v[8:9]
	v_mul_f32_e32 v27, v27, v29
	s_waitcnt vmcnt(13)
	v_cvt_f32_f16_e32 v30, v33
	s_and_b64 vcc, exec, vcc
	s_waitcnt vmcnt(12)
	v_cvt_f32_f16_e32 v31, v34
	v_mul_f32_e32 v29, v30, v31
	s_waitcnt vmcnt(11)
	v_cvt_f32_f16_e32 v32, v35
	s_waitcnt vmcnt(10)
	v_cvt_f32_f16_e32 v33, v36
	v_mul_f32_e32 v30, v32, v33
	s_waitcnt vmcnt(9)
	v_cvt_f32_f16_e32 v34, v37
	s_waitcnt vmcnt(8)
	v_cvt_f32_f16_e32 v35, v38
	;; [unrolled: 2-line block ×6, first 2 shown]
	ds_bpermute_b32 v42, v12, v26
	s_waitcnt lgkmcnt(0)
	v_fmac_f32_e32 v1, v27, v42
	ds_bpermute_b32 v27, v14, v26
	s_waitcnt vmcnt(3)
	v_cvt_f32_f16_e32 v41, v44
	ds_bpermute_b32 v44, v13, v26
	s_waitcnt vmcnt(2)
	v_cvt_f32_f16_e32 v40, v43
	s_waitcnt lgkmcnt(0)
	v_fmac_f32_e32 v1, v29, v44
	ds_bpermute_b32 v29, v15, v26
	v_fmac_f32_e32 v1, v30, v27
	ds_bpermute_b32 v27, v16, v26
	v_mul_f32_e32 v30, v34, v35
	s_waitcnt vmcnt(1)
	v_cvt_f32_f16_e32 v43, v45
	s_waitcnt lgkmcnt(1)
	v_fmac_f32_e32 v1, v30, v29
	v_mul_f32_e32 v29, v36, v37
	ds_bpermute_b32 v30, v17, v26
	s_waitcnt lgkmcnt(1)
	v_fmac_f32_e32 v1, v29, v27
	ds_bpermute_b32 v27, v18, v26
	s_waitcnt vmcnt(0)
	v_cvt_f32_f16_e32 v28, v28
	ds_bpermute_b32 v26, v19, v26
	v_mul_f32_e32 v29, v38, v39
	s_waitcnt lgkmcnt(2)
	v_fmac_f32_e32 v1, v29, v30
	v_mul_f32_e32 v29, v40, v41
	s_waitcnt lgkmcnt(1)
	v_fmac_f32_e32 v1, v29, v27
	;; [unrolled: 3-line block ×3, first 2 shown]
	s_cbranch_vccz .LBB183_10
.LBB183_7:                              ; =>This Inner Loop Header: Depth=1
	v_mov_b32_e32 v26, 0
	s_and_saveexec_b64 s[22:23], s[0:1]
	s_cbranch_execz .LBB183_6
; %bb.8:                                ;   in Loop: Header=BB183_7 Depth=1
	v_cmp_gt_i64_e32 vcc, s[8:9], v[2:3]
	v_mov_b32_e32 v26, 0
	s_and_saveexec_b64 s[24:25], vcc
	s_cbranch_execz .LBB183_5
; %bb.9:                                ;   in Loop: Header=BB183_7 Depth=1
	global_load_dword v26, v[4:5], off
	s_branch .LBB183_5
.LBB183_10:
	v_mov_b32_e32 v2, v11
.LBB183_11:
	v_mad_u32_u24 v0, v2, 33, v6
	v_lshl_add_u32 v3, v0, 2, 0
	v_sub_u32_e32 v0, v0, v2
	s_movk_i32 s0, 0x800
	s_mov_b32 s7, 0
	ds_write_b32 v3, v1
	v_mov_b32_e32 v1, 0
	v_cmp_gt_u32_e32 vcc, s0, v0
	ds_write_b32 v3, v1 offset:4224
	s_waitcnt lgkmcnt(0)
	s_barrier
	s_and_saveexec_b64 s[0:1], vcc
	s_cbranch_execz .LBB183_18
; %bb.12:
	v_mbcnt_hi_u32_b32 v7, -1, v10
	v_and_b32_e32 v2, 64, v7
	s_cmp_lg_u64 s[2:3], 0
	v_add_u32_e32 v8, 64, v2
	v_cmp_eq_u32_e64 s[0:1], 0, v6
	s_cselect_b64 s[8:9], -1, 0
	v_xor_b32_e32 v2, 16, v7
	s_and_b64 s[8:9], s[0:1], s[8:9]
	v_cmp_lt_i32_e64 s[0:1], v2, v8
	v_xor_b32_e32 v3, 8, v7
	v_cndmask_b32_e64 v2, v7, v2, s[0:1]
	v_cmp_lt_i32_e64 s[0:1], v3, v8
	v_xor_b32_e32 v4, 4, v7
	v_cndmask_b32_e64 v3, v7, v3, s[0:1]
	;; [unrolled: 3-line block ×4, first 2 shown]
	v_cmp_lt_i32_e64 s[0:1], v6, v8
	v_lshrrev_b32_e32 v1, 6, v0
	v_and_b32_e32 v0, 63, v0
	v_cndmask_b32_e64 v6, v7, v6, s[0:1]
	s_lshl_b64 s[0:1], s[6:7], 6
	v_cmp_gt_u32_e32 vcc, 32, v0
	v_mul_u32_u24_e32 v0, 0x84, v0
	v_lshlrev_b32_e32 v7, 2, v1
	s_add_u32 s0, s2, s0
	v_add3_u32 v7, v0, v7, 0
	v_lshlrev_b32_e32 v0, 1, v1
	s_addc_u32 s1, s3, s1
	v_add_u32_e32 v8, -16, v1
	v_mov_b32_e32 v1, s1
	v_add_co_u32_e64 v0, s[0:1], s0, v0
	s_mov_b64 s[4:5], 0
	v_lshlrev_b32_e32 v2, 2, v2
	v_lshlrev_b32_e32 v3, 2, v3
	v_lshlrev_b32_e32 v4, 2, v4
	v_lshlrev_b32_e32 v5, 2, v5
	v_lshlrev_b32_e32 v6, 2, v6
	v_addc_co_u32_e64 v1, s[0:1], 0, v1, s[0:1]
                                        ; implicit-def: $vgpr9
	s_branch .LBB183_14
.LBB183_13:                             ;   in Loop: Header=BB183_14 Depth=1
	s_or_b64 exec, exec, s[0:1]
	v_add_co_u32_e64 v8, s[0:1], 16, v8
	s_xor_b64 s[0:1], s[0:1], -1
	s_and_b64 s[0:1], exec, s[0:1]
	s_or_b64 s[4:5], s[0:1], s[4:5]
	v_add_co_u32_e64 v0, s[0:1], 32, v0
	v_add_u32_e32 v7, 64, v7
	v_addc_co_u32_e64 v1, s[0:1], 0, v1, s[0:1]
	s_andn2_b64 exec, exec, s[4:5]
	s_cbranch_execz .LBB183_18
.LBB183_14:                             ; =>This Inner Loop Header: Depth=1
	s_and_saveexec_b64 s[0:1], vcc
	s_cbranch_execz .LBB183_16
; %bb.15:                               ;   in Loop: Header=BB183_14 Depth=1
	ds_read_b32 v9, v7
.LBB183_16:                             ;   in Loop: Header=BB183_14 Depth=1
	s_or_b64 exec, exec, s[0:1]
	s_waitcnt lgkmcnt(0)
	ds_bpermute_b32 v10, v2, v9
	s_waitcnt lgkmcnt(0)
	v_add_f32_e32 v9, v9, v10
	ds_bpermute_b32 v10, v3, v9
	s_waitcnt lgkmcnt(0)
	v_add_f32_e32 v9, v9, v10
	;; [unrolled: 3-line block ×5, first 2 shown]
	s_and_saveexec_b64 s[0:1], s[8:9]
	s_cbranch_execz .LBB183_13
; %bb.17:                               ;   in Loop: Header=BB183_14 Depth=1
	v_cvt_f16_f32_e32 v10, v9
	global_store_short v[0:1], v10, off
	s_branch .LBB183_13
.LBB183_18:
	s_endpgm
	.section	.rodata,"a",@progbits
	.p2align	6, 0x0
	.amdhsa_kernel _ZN2at6native12_GLOBAL__N_135GammaBetaBackwardCUDAKernelTemplateIN3c104HalfEfLj32ELj32ELj256ELb0ELb1ELb1EEEvllPKT_S7_PKT0_SA_PS5_SB_
		.amdhsa_group_segment_fixed_size 0
		.amdhsa_private_segment_fixed_size 0
		.amdhsa_kernarg_size 320
		.amdhsa_user_sgpr_count 6
		.amdhsa_user_sgpr_private_segment_buffer 1
		.amdhsa_user_sgpr_dispatch_ptr 0
		.amdhsa_user_sgpr_queue_ptr 0
		.amdhsa_user_sgpr_kernarg_segment_ptr 1
		.amdhsa_user_sgpr_dispatch_id 0
		.amdhsa_user_sgpr_flat_scratch_init 0
		.amdhsa_user_sgpr_kernarg_preload_length 0
		.amdhsa_user_sgpr_kernarg_preload_offset 0
		.amdhsa_user_sgpr_private_segment_size 0
		.amdhsa_uses_dynamic_stack 0
		.amdhsa_system_sgpr_private_segment_wavefront_offset 0
		.amdhsa_system_sgpr_workgroup_id_x 1
		.amdhsa_system_sgpr_workgroup_id_y 1
		.amdhsa_system_sgpr_workgroup_id_z 0
		.amdhsa_system_sgpr_workgroup_info 0
		.amdhsa_system_vgpr_workitem_id 1
		.amdhsa_next_free_vgpr 46
		.amdhsa_next_free_sgpr 26
		.amdhsa_accum_offset 48
		.amdhsa_reserve_vcc 1
		.amdhsa_reserve_flat_scratch 0
		.amdhsa_float_round_mode_32 0
		.amdhsa_float_round_mode_16_64 0
		.amdhsa_float_denorm_mode_32 3
		.amdhsa_float_denorm_mode_16_64 3
		.amdhsa_dx10_clamp 1
		.amdhsa_ieee_mode 1
		.amdhsa_fp16_overflow 0
		.amdhsa_tg_split 0
		.amdhsa_exception_fp_ieee_invalid_op 0
		.amdhsa_exception_fp_denorm_src 0
		.amdhsa_exception_fp_ieee_div_zero 0
		.amdhsa_exception_fp_ieee_overflow 0
		.amdhsa_exception_fp_ieee_underflow 0
		.amdhsa_exception_fp_ieee_inexact 0
		.amdhsa_exception_int_div_zero 0
	.end_amdhsa_kernel
	.section	.text._ZN2at6native12_GLOBAL__N_135GammaBetaBackwardCUDAKernelTemplateIN3c104HalfEfLj32ELj32ELj256ELb0ELb1ELb1EEEvllPKT_S7_PKT0_SA_PS5_SB_,"axG",@progbits,_ZN2at6native12_GLOBAL__N_135GammaBetaBackwardCUDAKernelTemplateIN3c104HalfEfLj32ELj32ELj256ELb0ELb1ELb1EEEvllPKT_S7_PKT0_SA_PS5_SB_,comdat
.Lfunc_end183:
	.size	_ZN2at6native12_GLOBAL__N_135GammaBetaBackwardCUDAKernelTemplateIN3c104HalfEfLj32ELj32ELj256ELb0ELb1ELb1EEEvllPKT_S7_PKT0_SA_PS5_SB_, .Lfunc_end183-_ZN2at6native12_GLOBAL__N_135GammaBetaBackwardCUDAKernelTemplateIN3c104HalfEfLj32ELj32ELj256ELb0ELb1ELb1EEEvllPKT_S7_PKT0_SA_PS5_SB_
                                        ; -- End function
	.section	.AMDGPU.csdata,"",@progbits
; Kernel info:
; codeLenInByte = 1520
; NumSgprs: 30
; NumVgprs: 46
; NumAgprs: 0
; TotalNumVgprs: 46
; ScratchSize: 0
; MemoryBound: 0
; FloatMode: 240
; IeeeMode: 1
; LDSByteSize: 0 bytes/workgroup (compile time only)
; SGPRBlocks: 3
; VGPRBlocks: 5
; NumSGPRsForWavesPerEU: 30
; NumVGPRsForWavesPerEU: 46
; AccumOffset: 48
; Occupancy: 8
; WaveLimiterHint : 0
; COMPUTE_PGM_RSRC2:SCRATCH_EN: 0
; COMPUTE_PGM_RSRC2:USER_SGPR: 6
; COMPUTE_PGM_RSRC2:TRAP_HANDLER: 0
; COMPUTE_PGM_RSRC2:TGID_X_EN: 1
; COMPUTE_PGM_RSRC2:TGID_Y_EN: 1
; COMPUTE_PGM_RSRC2:TGID_Z_EN: 0
; COMPUTE_PGM_RSRC2:TIDIG_COMP_CNT: 1
; COMPUTE_PGM_RSRC3_GFX90A:ACCUM_OFFSET: 11
; COMPUTE_PGM_RSRC3_GFX90A:TG_SPLIT: 0
	.section	.text._ZN2at6native12_GLOBAL__N_135GammaBetaBackwardCUDAKernelTemplateIN3c104HalfEfLj32ELj32ELj256ELb0ELb0ELb1EEEvllPKT_S7_PKT0_SA_PS5_SB_,"axG",@progbits,_ZN2at6native12_GLOBAL__N_135GammaBetaBackwardCUDAKernelTemplateIN3c104HalfEfLj32ELj32ELj256ELb0ELb0ELb1EEEvllPKT_S7_PKT0_SA_PS5_SB_,comdat
	.globl	_ZN2at6native12_GLOBAL__N_135GammaBetaBackwardCUDAKernelTemplateIN3c104HalfEfLj32ELj32ELj256ELb0ELb0ELb1EEEvllPKT_S7_PKT0_SA_PS5_SB_ ; -- Begin function _ZN2at6native12_GLOBAL__N_135GammaBetaBackwardCUDAKernelTemplateIN3c104HalfEfLj32ELj32ELj256ELb0ELb0ELb1EEEvllPKT_S7_PKT0_SA_PS5_SB_
	.p2align	8
	.type	_ZN2at6native12_GLOBAL__N_135GammaBetaBackwardCUDAKernelTemplateIN3c104HalfEfLj32ELj32ELj256ELb0ELb0ELb1EEEvllPKT_S7_PKT0_SA_PS5_SB_,@function
_ZN2at6native12_GLOBAL__N_135GammaBetaBackwardCUDAKernelTemplateIN3c104HalfEfLj32ELj32ELj256ELb0ELb0ELb1EEEvllPKT_S7_PKT0_SA_PS5_SB_: ; @_ZN2at6native12_GLOBAL__N_135GammaBetaBackwardCUDAKernelTemplateIN3c104HalfEfLj32ELj32ELj256ELb0ELb0ELb1EEEvllPKT_S7_PKT0_SA_PS5_SB_
; %bb.0:
	s_load_dwordx8 s[12:19], s[4:5], 0x0
	s_load_dwordx2 s[10:11], s[4:5], 0x28
	s_lshl_b32 s33, s6, 5
	s_or_b32 s28, s33, 31
	s_mov_b32 s29, 0
	s_waitcnt lgkmcnt(0)
	v_pk_mov_b32 v[2:3], s[14:15], s[14:15] op_sel:[0,1]
	v_cmp_ge_i64_e32 vcc, s[28:29], v[2:3]
	s_lshl_b32 s28, s7, 8
	v_pk_mov_b32 v[2:3], s[12:13], s[12:13] op_sel:[0,1]
	v_cmp_lt_i64_e64 s[0:1], s[28:29], v[2:3]
	v_cndmask_b32_e64 v1, 0, 1, s[0:1]
	v_cmp_ne_u32_e64 s[0:1], 1, v1
	s_cbranch_vccz .LBB184_49
; %bb.1:
	s_and_b64 vcc, exec, s[0:1]
	v_mov_b32_e32 v2, 0
	s_cbranch_vccnz .LBB184_50
; %bb.2:
	v_and_b32_e32 v59, 0x3ff, v0
	v_bfe_u32 v61, v0, 10, 10
	v_add_u32_e32 v2, s33, v59
	v_mov_b32_e32 v3, 0
	v_lshlrev_b32_e32 v26, 3, v61
	v_cmp_gt_i64_e64 s[2:3], s[14:15], v[2:3]
	v_lshlrev_b64 v[28:29], 1, v[2:3]
	v_mov_b32_e32 v1, s29
	v_add_co_u32_e32 v2, vcc, s28, v26
	v_addc_co_u32_e32 v6, vcc, 0, v1, vcc
	v_add_co_u32_e32 v1, vcc, 7, v2
	v_addc_co_u32_e32 v4, vcc, 0, v6, vcc
	v_mul_lo_u32 v7, s15, v1
	v_mul_lo_u32 v8, s14, v4
	v_mad_u64_u32 v[4:5], s[8:9], s14, v1, 0
	s_load_dword s7, s[4:5], 0x44
	v_add3_u32 v5, v5, v8, v7
	v_lshlrev_b64 v[4:5], 1, v[4:5]
	v_mov_b32_e32 v7, s17
	v_add_co_u32_e32 v30, vcc, s16, v4
	v_addc_co_u32_e32 v1, vcc, v7, v5, vcc
	s_add_u32 s30, s4, 64
	v_mov_b32_e32 v8, s19
	v_add_co_u32_e32 v32, vcc, s18, v4
	s_addc_u32 s31, s5, 0
	s_waitcnt lgkmcnt(0)
	s_lshl_b32 s7, s7, 8
	v_addc_co_u32_e32 v27, vcc, v8, v5, vcc
	s_mul_i32 s8, s15, s7
	s_mul_hi_u32 s9, s14, s7
	v_add_co_u32_e32 v4, vcc, 6, v2
	s_add_i32 s9, s9, s8
	s_mul_i32 s8, s14, s7
	v_addc_co_u32_e32 v5, vcc, 0, v6, vcc
	s_lshl_b64 s[34:35], s[8:9], 1
	v_mul_lo_u32 v9, s15, v4
	v_mul_lo_u32 v10, s14, v5
	v_mad_u64_u32 v[4:5], s[8:9], s14, v4, 0
	v_add3_u32 v5, v5, v10, v9
	v_lshlrev_b64 v[4:5], 1, v[4:5]
	v_add_co_u32_e32 v34, vcc, s16, v4
	v_addc_co_u32_e32 v31, vcc, v7, v5, vcc
	v_add_co_u32_e32 v36, vcc, s18, v4
	v_addc_co_u32_e32 v33, vcc, v8, v5, vcc
	v_add_co_u32_e32 v4, vcc, 5, v2
	v_addc_co_u32_e32 v5, vcc, 0, v6, vcc
	v_mul_lo_u32 v9, s15, v4
	v_mul_lo_u32 v10, s14, v5
	v_mad_u64_u32 v[4:5], s[8:9], s14, v4, 0
	v_add3_u32 v5, v5, v10, v9
	v_lshlrev_b64 v[4:5], 1, v[4:5]
	v_add_co_u32_e32 v38, vcc, s16, v4
	v_addc_co_u32_e32 v35, vcc, v7, v5, vcc
	v_add_co_u32_e32 v40, vcc, s18, v4
	v_addc_co_u32_e32 v37, vcc, v8, v5, vcc
	v_add_co_u32_e32 v4, vcc, 4, v2
	v_addc_co_u32_e32 v5, vcc, 0, v6, vcc
	;; [unrolled: 11-line block ×4, first 2 shown]
	v_mul_lo_u32 v9, s15, v4
	v_mul_lo_u32 v10, s14, v5
	v_mad_u64_u32 v[4:5], s[8:9], s14, v4, 0
	v_add3_u32 v5, v5, v10, v9
	v_lshlrev_b64 v[4:5], 1, v[4:5]
	v_add_co_u32_e32 v50, vcc, s16, v4
	v_addc_co_u32_e32 v47, vcc, v7, v5, vcc
	v_add_co_u32_e32 v52, vcc, s18, v4
	v_addc_co_u32_e32 v49, vcc, v8, v5, vcc
	v_pk_mov_b32 v[4:5], s[14:15], s[14:15] op_sel:[0,1]
	v_mad_u64_u32 v[4:5], s[8:9], s14, v2, v[4:5]
	v_mul_lo_u32 v6, s14, v6
	v_mul_lo_u32 v9, s15, v2
	v_add3_u32 v5, v9, v5, v6
	v_lshlrev_b64 v[4:5], 1, v[4:5]
	v_add_co_u32_e32 v54, vcc, s16, v4
	v_addc_co_u32_e32 v51, vcc, v7, v5, vcc
	v_add_co_u32_e32 v56, vcc, s18, v4
	v_addc_co_u32_e32 v53, vcc, v8, v5, vcc
	v_mad_u64_u32 v[4:5], s[8:9], s14, v2, 0
	v_add3_u32 v5, v5, v6, v9
	v_lshlrev_b64 v[4:5], 1, v[4:5]
	v_add_co_u32_e32 v58, vcc, s16, v4
	v_mbcnt_lo_u32_b32 v2, -1, 0
	v_addc_co_u32_e32 v55, vcc, v7, v5, vcc
	v_mbcnt_hi_u32_b32 v2, -1, v2
	s_add_u32 s36, s28, 0xff
	v_add_co_u32_e32 v60, vcc, s18, v4
	v_lshlrev_b32_e32 v2, 2, v2
	s_mov_b32 s20, 0
	s_addc_u32 s37, 0, 0
	v_addc_co_u32_e32 v57, vcc, v8, v5, vcc
	v_and_b32_e32 v62, 0x100, v2
	s_mov_b64 s[38:39], s[28:29]
	v_mov_b32_e32 v63, 0
.LBB184_3:                              ; =>This Inner Loop Header: Depth=1
	v_pk_mov_b32 v[4:5], s[12:13], s[12:13] op_sel:[0,1]
	v_cmp_ge_i64_e32 vcc, s[36:37], v[4:5]
	v_mov_b32_e32 v2, s37
	v_add_co_u32_e64 v64, s[8:9], s36, v26
	v_addc_co_u32_e64 v65, s[8:9], 0, v2, s[8:9]
	s_cbranch_vccz .LBB184_25
; %bb.4:                                ;   in Loop: Header=BB184_3 Depth=1
	s_load_dword s8, s[30:31], 0xc
	v_mov_b32_e32 v66, 0
	s_waitcnt lgkmcnt(0)
	s_and_b32 s8, s8, 0xffff
	v_mad_u32_u24 v2, v61, s8, v59
	v_and_b32_e32 v2, 63, v2
	v_cmp_gt_u32_e32 vcc, 8, v2
	s_and_saveexec_b64 s[8:9], vcc
	s_cbranch_execz .LBB184_8
; %bb.5:                                ;   in Loop: Header=BB184_3 Depth=1
	v_add_co_u32_e32 v2, vcc, v64, v2
	v_addc_co_u32_e32 v5, vcc, 0, v65, vcc
	v_add_co_u32_e32 v4, vcc, 0xffffff01, v2
	v_addc_co_u32_e32 v5, vcc, -1, v5, vcc
	v_cmp_gt_i64_e32 vcc, s[12:13], v[4:5]
	v_mov_b32_e32 v66, 0
	s_and_saveexec_b64 s[22:23], vcc
	s_cbranch_execz .LBB184_7
; %bb.6:                                ;   in Loop: Header=BB184_3 Depth=1
	v_lshlrev_b64 v[4:5], 2, v[4:5]
	v_mov_b32_e32 v2, s11
	v_add_co_u32_e32 v4, vcc, s10, v4
	v_addc_co_u32_e32 v5, vcc, v2, v5, vcc
	global_load_dword v66, v[4:5], off
.LBB184_7:                              ;   in Loop: Header=BB184_3 Depth=1
	s_or_b64 exec, exec, s[22:23]
.LBB184_8:                              ;   in Loop: Header=BB184_3 Depth=1
	s_or_b64 exec, exec, s[8:9]
	s_mov_b32 s21, s20
	v_add_co_u32_e32 v4, vcc, 0xffffff01, v64
	s_mov_b32 s22, s20
	s_mov_b32 s23, s20
	;; [unrolled: 1-line block ×6, first 2 shown]
	v_pk_mov_b32 v[10:11], s[20:21], s[20:21] op_sel:[0,1]
	v_addc_co_u32_e32 v5, vcc, -1, v65, vcc
	v_pk_mov_b32 v[16:17], s[26:27], s[26:27] op_sel:[0,1]
	v_cmp_gt_i64_e32 vcc, s[12:13], v[4:5]
	v_pk_mov_b32 v[12:13], s[22:23], s[22:23] op_sel:[0,1]
	v_pk_mov_b32 v[14:15], s[24:25], s[24:25] op_sel:[0,1]
	v_pk_mov_b32 v[24:25], v[16:17], v[16:17] op_sel:[0,1]
	s_and_b64 s[40:41], s[2:3], vcc
	v_pk_mov_b32 v[22:23], v[14:15], v[14:15] op_sel:[0,1]
	v_pk_mov_b32 v[20:21], v[12:13], v[12:13] op_sel:[0,1]
	;; [unrolled: 1-line block ×3, first 2 shown]
	s_and_saveexec_b64 s[8:9], s[40:41]
	s_cbranch_execz .LBB184_10
; %bb.9:                                ;   in Loop: Header=BB184_3 Depth=1
	v_add_co_u32_e32 v4, vcc, v58, v28
	v_addc_co_u32_e32 v5, vcc, v55, v29, vcc
	global_load_ushort v2, v[4:5], off
	v_add_co_u32_e32 v4, vcc, v60, v28
	v_addc_co_u32_e32 v5, vcc, v57, v29, vcc
	global_load_ushort v10, v[4:5], off
	v_mov_b32_e32 v8, v3
	v_mov_b32_e32 v9, v3
	;; [unrolled: 1-line block ×13, first 2 shown]
	s_waitcnt vmcnt(1)
	v_cvt_f32_f16_e32 v2, v2
	v_pk_mov_b32 v[24:25], v[8:9], v[8:9] op_sel:[0,1]
	v_pk_mov_b32 v[22:23], v[6:7], v[6:7] op_sel:[0,1]
	;; [unrolled: 1-line block ×4, first 2 shown]
	s_waitcnt vmcnt(0)
	v_cvt_f32_f16_e32 v10, v10
.LBB184_10:                             ;   in Loop: Header=BB184_3 Depth=1
	s_or_b64 exec, exec, s[8:9]
	v_add_co_u32_e32 v4, vcc, 0xffffff02, v64
	v_addc_co_u32_e32 v5, vcc, -1, v65, vcc
	v_cmp_gt_i64_e32 vcc, s[12:13], v[4:5]
	s_and_b64 s[22:23], s[2:3], vcc
	s_and_saveexec_b64 s[8:9], s[22:23]
	s_cbranch_execz .LBB184_12
; %bb.11:                               ;   in Loop: Header=BB184_3 Depth=1
	v_add_co_u32_e32 v4, vcc, v54, v28
	v_addc_co_u32_e32 v5, vcc, v51, v29, vcc
	global_load_ushort v2, v[4:5], off
	v_add_co_u32_e32 v4, vcc, v56, v28
	v_addc_co_u32_e32 v5, vcc, v53, v29, vcc
	global_load_ushort v4, v[4:5], off
	s_waitcnt vmcnt(1)
	v_cvt_f32_f16_e32 v19, v2
	s_waitcnt vmcnt(0)
	v_cvt_f32_f16_e32 v11, v4
.LBB184_12:                             ;   in Loop: Header=BB184_3 Depth=1
	s_or_b64 exec, exec, s[8:9]
	v_add_co_u32_e32 v4, vcc, 0xffffff03, v64
	v_addc_co_u32_e32 v5, vcc, -1, v65, vcc
	v_cmp_gt_i64_e32 vcc, s[12:13], v[4:5]
	s_and_b64 s[22:23], s[2:3], vcc
	s_and_saveexec_b64 s[8:9], s[22:23]
	s_cbranch_execz .LBB184_14
; %bb.13:                               ;   in Loop: Header=BB184_3 Depth=1
	v_add_co_u32_e32 v4, vcc, v50, v28
	v_addc_co_u32_e32 v5, vcc, v47, v29, vcc
	global_load_ushort v2, v[4:5], off
	v_add_co_u32_e32 v4, vcc, v52, v28
	v_addc_co_u32_e32 v5, vcc, v49, v29, vcc
	global_load_ushort v4, v[4:5], off
	s_waitcnt vmcnt(1)
	v_cvt_f32_f16_e32 v20, v2
	s_waitcnt vmcnt(0)
	v_cvt_f32_f16_e32 v12, v4
.LBB184_14:                             ;   in Loop: Header=BB184_3 Depth=1
	;; [unrolled: 19-line block ×7, first 2 shown]
	s_or_b64 exec, exec, s[8:9]
	s_waitcnt vmcnt(0)
	ds_bpermute_b32 v4, v62, v66 offset:4
	ds_bpermute_b32 v5, v62, v66 offset:8
	ds_bpermute_b32 v2, v62, v66
	v_mul_f32_e32 v8, v10, v18
	v_pk_mul_f32 v[10:11], v[10:11], v[18:19]
	v_pk_mul_f32 v[12:13], v[12:13], v[20:21]
	v_mov_b32_e32 v10, v11
	v_mov_b32_e32 v11, v12
	s_waitcnt lgkmcnt(1)
	v_pk_mul_f32 v[4:5], v[10:11], v[4:5]
	ds_bpermute_b32 v10, v62, v66 offset:12
	ds_bpermute_b32 v11, v62, v66 offset:16
	s_waitcnt lgkmcnt(2)
	v_fma_f32 v2, v8, v2, v63
	v_pk_mul_f32 v[8:9], v[14:15], v[22:23]
	v_add_f32_e32 v2, v2, v4
	v_add_f32_e32 v2, v2, v5
	v_mov_b32_e32 v4, v13
	v_mov_b32_e32 v5, v8
	s_waitcnt lgkmcnt(0)
	v_pk_mul_f32 v[4:5], v[4:5], v[10:11]
	ds_bpermute_b32 v10, v62, v66 offset:20
	ds_bpermute_b32 v11, v62, v66 offset:24
	v_pk_mul_f32 v[6:7], v[16:17], v[24:25]
	v_add_f32_e32 v2, v2, v4
	ds_bpermute_b32 v4, v62, v66 offset:28
	v_mov_b32_e32 v8, v9
	v_mov_b32_e32 v9, v6
	v_add_f32_e32 v2, v2, v5
	s_waitcnt lgkmcnt(1)
	v_pk_mul_f32 v[6:7], v[8:9], v[10:11]
	v_add_f32_e32 v2, v2, v6
	v_add_f32_e32 v2, v2, v7
	s_branch .LBB184_40
.LBB184_25:                             ;   in Loop: Header=BB184_3 Depth=1
                                        ; implicit-def: $vgpr2
                                        ; implicit-def: $vgpr10_vgpr11_vgpr12_vgpr13_vgpr14_vgpr15_vgpr16_vgpr17
                                        ; implicit-def: $vgpr18_vgpr19_vgpr20_vgpr21_vgpr22_vgpr23_vgpr24_vgpr25
                                        ; implicit-def: $vgpr4
	s_cbranch_execz .LBB184_40
; %bb.26:                               ;   in Loop: Header=BB184_3 Depth=1
	s_load_dword s8, s[30:31], 0x0
	v_mov_b32_e32 v66, 0
	s_waitcnt lgkmcnt(0)
	s_cmp_lt_u32 s6, s8
	s_cselect_b32 s8, 12, 18
	s_add_u32 s8, s30, s8
	s_addc_u32 s9, s31, 0
	global_load_ushort v2, v3, s[8:9]
	s_waitcnt vmcnt(0)
	v_mad_u32_u24 v2, v61, v2, v59
	v_and_b32_e32 v2, 63, v2
	v_cmp_gt_u32_e32 vcc, 8, v2
	s_and_saveexec_b64 s[8:9], vcc
	s_cbranch_execz .LBB184_30
; %bb.27:                               ;   in Loop: Header=BB184_3 Depth=1
	v_add_co_u32_e32 v2, vcc, v64, v2
	v_addc_co_u32_e32 v5, vcc, 0, v65, vcc
	v_add_co_u32_e32 v4, vcc, 0xffffff01, v2
	v_addc_co_u32_e32 v5, vcc, -1, v5, vcc
	v_cmp_gt_i64_e32 vcc, s[12:13], v[4:5]
	v_mov_b32_e32 v66, 0
	s_and_saveexec_b64 s[22:23], vcc
	s_cbranch_execz .LBB184_29
; %bb.28:                               ;   in Loop: Header=BB184_3 Depth=1
	v_lshlrev_b64 v[4:5], 2, v[4:5]
	v_mov_b32_e32 v2, s11
	v_add_co_u32_e32 v4, vcc, s10, v4
	v_addc_co_u32_e32 v5, vcc, v2, v5, vcc
	global_load_dword v66, v[4:5], off
.LBB184_29:                             ;   in Loop: Header=BB184_3 Depth=1
	s_or_b64 exec, exec, s[22:23]
.LBB184_30:                             ;   in Loop: Header=BB184_3 Depth=1
	s_or_b64 exec, exec, s[8:9]
	s_mov_b32 s21, s20
	s_mov_b32 s22, s20
	;; [unrolled: 1-line block ×7, first 2 shown]
	v_pk_mov_b32 v[10:11], s[20:21], s[20:21] op_sel:[0,1]
	v_pk_mov_b32 v[16:17], s[26:27], s[26:27] op_sel:[0,1]
	;; [unrolled: 1-line block ×8, first 2 shown]
	s_and_saveexec_b64 s[8:9], s[2:3]
	s_cbranch_execnz .LBB184_42
; %bb.31:                               ;   in Loop: Header=BB184_3 Depth=1
	s_or_b64 exec, exec, s[8:9]
	s_and_saveexec_b64 s[8:9], s[2:3]
	s_cbranch_execnz .LBB184_43
.LBB184_32:                             ;   in Loop: Header=BB184_3 Depth=1
	s_or_b64 exec, exec, s[8:9]
	s_and_saveexec_b64 s[8:9], s[2:3]
	s_cbranch_execnz .LBB184_44
.LBB184_33:                             ;   in Loop: Header=BB184_3 Depth=1
	s_or_b64 exec, exec, s[8:9]
	s_and_saveexec_b64 s[8:9], s[2:3]
	s_cbranch_execnz .LBB184_45
.LBB184_34:                             ;   in Loop: Header=BB184_3 Depth=1
	s_or_b64 exec, exec, s[8:9]
	s_and_saveexec_b64 s[8:9], s[2:3]
	s_cbranch_execnz .LBB184_46
.LBB184_35:                             ;   in Loop: Header=BB184_3 Depth=1
	s_or_b64 exec, exec, s[8:9]
	s_and_saveexec_b64 s[8:9], s[2:3]
	s_cbranch_execnz .LBB184_47
.LBB184_36:                             ;   in Loop: Header=BB184_3 Depth=1
	s_or_b64 exec, exec, s[8:9]
	s_and_saveexec_b64 s[8:9], s[2:3]
	s_cbranch_execnz .LBB184_48
.LBB184_37:                             ;   in Loop: Header=BB184_3 Depth=1
	s_or_b64 exec, exec, s[8:9]
	s_and_saveexec_b64 s[8:9], s[2:3]
	s_cbranch_execz .LBB184_39
.LBB184_38:                             ;   in Loop: Header=BB184_3 Depth=1
	v_add_co_u32_e32 v4, vcc, v30, v28
	v_addc_co_u32_e32 v5, vcc, v1, v29, vcc
	global_load_ushort v2, v[4:5], off
	v_add_co_u32_e32 v4, vcc, v32, v28
	v_addc_co_u32_e32 v5, vcc, v27, v29, vcc
	global_load_ushort v4, v[4:5], off
	s_waitcnt vmcnt(1)
	v_cvt_f32_f16_e32 v25, v2
	s_waitcnt vmcnt(0)
	v_cvt_f32_f16_e32 v17, v4
.LBB184_39:                             ;   in Loop: Header=BB184_3 Depth=1
	s_or_b64 exec, exec, s[8:9]
	s_waitcnt vmcnt(0)
	ds_bpermute_b32 v4, v62, v66 offset:4
	ds_bpermute_b32 v5, v62, v66 offset:8
	ds_bpermute_b32 v2, v62, v66
	v_mul_f32_e32 v8, v10, v18
	v_pk_mul_f32 v[10:11], v[10:11], v[18:19]
	v_pk_mul_f32 v[12:13], v[12:13], v[20:21]
	v_mov_b32_e32 v10, v11
	v_mov_b32_e32 v11, v12
	s_waitcnt lgkmcnt(1)
	v_pk_mul_f32 v[4:5], v[10:11], v[4:5]
	ds_bpermute_b32 v10, v62, v66 offset:12
	ds_bpermute_b32 v11, v62, v66 offset:16
	s_waitcnt lgkmcnt(2)
	v_fmac_f32_e32 v63, v8, v2
	v_pk_mul_f32 v[8:9], v[14:15], v[22:23]
	v_add_f32_e32 v2, v63, v4
	v_add_f32_e32 v2, v2, v5
	v_mov_b32_e32 v4, v13
	v_mov_b32_e32 v5, v8
	s_waitcnt lgkmcnt(0)
	v_pk_mul_f32 v[4:5], v[4:5], v[10:11]
	ds_bpermute_b32 v10, v62, v66 offset:20
	ds_bpermute_b32 v11, v62, v66 offset:24
	v_pk_mul_f32 v[6:7], v[16:17], v[24:25]
	v_add_f32_e32 v2, v2, v4
	v_mov_b32_e32 v8, v9
	v_mov_b32_e32 v9, v6
	v_add_f32_e32 v2, v2, v5
	s_waitcnt lgkmcnt(0)
	v_pk_mul_f32 v[6:7], v[8:9], v[10:11]
	v_add_f32_e32 v2, v2, v6
	ds_bpermute_b32 v4, v62, v66 offset:28
	v_add_f32_e32 v2, v2, v7
.LBB184_40:                             ;   in Loop: Header=BB184_3 Depth=1
	v_mul_f32_e32 v5, v25, v17
	s_waitcnt lgkmcnt(0)
	v_fmac_f32_e32 v2, v5, v4
	v_mov_b32_e32 v4, s35
	v_add_co_u32_e32 v30, vcc, s34, v30
	v_addc_co_u32_e32 v1, vcc, v1, v4, vcc
	v_add_co_u32_e32 v32, vcc, s34, v32
	v_addc_co_u32_e32 v27, vcc, v27, v4, vcc
	;; [unrolled: 2-line block ×15, first 2 shown]
	s_add_u32 s38, s38, s7
	v_add_co_u32_e32 v60, vcc, s34, v60
	s_addc_u32 s39, s39, 0
	v_addc_co_u32_e32 v57, vcc, v57, v4, vcc
	v_pk_mov_b32 v[4:5], s[12:13], s[12:13] op_sel:[0,1]
	s_add_u32 s36, s36, s7
	v_cmp_lt_i64_e32 vcc, s[38:39], v[4:5]
	s_addc_u32 s37, s37, 0
	s_cbranch_vccz .LBB184_50
; %bb.41:                               ;   in Loop: Header=BB184_3 Depth=1
	v_mov_b32_e32 v63, v2
	s_branch .LBB184_3
.LBB184_42:                             ;   in Loop: Header=BB184_3 Depth=1
	v_add_co_u32_e32 v4, vcc, v58, v28
	v_addc_co_u32_e32 v5, vcc, v55, v29, vcc
	global_load_ushort v2, v[4:5], off
	v_add_co_u32_e32 v4, vcc, v60, v28
	v_addc_co_u32_e32 v5, vcc, v57, v29, vcc
	global_load_ushort v10, v[4:5], off
	v_mov_b32_e32 v8, v3
	v_mov_b32_e32 v9, v3
	v_mov_b32_e32 v4, v3
	v_mov_b32_e32 v5, v3
	v_mov_b32_e32 v6, v3
	v_mov_b32_e32 v7, v3
	v_mov_b32_e32 v11, v3
	v_mov_b32_e32 v12, v3
	v_mov_b32_e32 v13, v3
	v_mov_b32_e32 v14, v3
	v_mov_b32_e32 v15, v3
	v_mov_b32_e32 v16, v3
	v_mov_b32_e32 v17, v3
	s_waitcnt vmcnt(1)
	v_cvt_f32_f16_e32 v2, v2
	v_pk_mov_b32 v[24:25], v[8:9], v[8:9] op_sel:[0,1]
	v_pk_mov_b32 v[22:23], v[6:7], v[6:7] op_sel:[0,1]
	;; [unrolled: 1-line block ×4, first 2 shown]
	s_waitcnt vmcnt(0)
	v_cvt_f32_f16_e32 v10, v10
	s_or_b64 exec, exec, s[8:9]
	s_and_saveexec_b64 s[8:9], s[2:3]
	s_cbranch_execz .LBB184_32
.LBB184_43:                             ;   in Loop: Header=BB184_3 Depth=1
	v_add_co_u32_e32 v4, vcc, v54, v28
	v_addc_co_u32_e32 v5, vcc, v51, v29, vcc
	global_load_ushort v2, v[4:5], off
	v_add_co_u32_e32 v4, vcc, v56, v28
	v_addc_co_u32_e32 v5, vcc, v53, v29, vcc
	global_load_ushort v4, v[4:5], off
	s_waitcnt vmcnt(1)
	v_cvt_f32_f16_e32 v19, v2
	s_waitcnt vmcnt(0)
	v_cvt_f32_f16_e32 v11, v4
	s_or_b64 exec, exec, s[8:9]
	s_and_saveexec_b64 s[8:9], s[2:3]
	s_cbranch_execz .LBB184_33
.LBB184_44:                             ;   in Loop: Header=BB184_3 Depth=1
	v_add_co_u32_e32 v4, vcc, v50, v28
	v_addc_co_u32_e32 v5, vcc, v47, v29, vcc
	global_load_ushort v2, v[4:5], off
	v_add_co_u32_e32 v4, vcc, v52, v28
	v_addc_co_u32_e32 v5, vcc, v49, v29, vcc
	global_load_ushort v4, v[4:5], off
	s_waitcnt vmcnt(1)
	v_cvt_f32_f16_e32 v20, v2
	s_waitcnt vmcnt(0)
	v_cvt_f32_f16_e32 v12, v4
	s_or_b64 exec, exec, s[8:9]
	s_and_saveexec_b64 s[8:9], s[2:3]
	s_cbranch_execz .LBB184_34
.LBB184_45:                             ;   in Loop: Header=BB184_3 Depth=1
	v_add_co_u32_e32 v4, vcc, v46, v28
	v_addc_co_u32_e32 v5, vcc, v43, v29, vcc
	global_load_ushort v2, v[4:5], off
	v_add_co_u32_e32 v4, vcc, v48, v28
	v_addc_co_u32_e32 v5, vcc, v45, v29, vcc
	global_load_ushort v4, v[4:5], off
	s_waitcnt vmcnt(1)
	v_cvt_f32_f16_e32 v21, v2
	s_waitcnt vmcnt(0)
	v_cvt_f32_f16_e32 v13, v4
	s_or_b64 exec, exec, s[8:9]
	s_and_saveexec_b64 s[8:9], s[2:3]
	s_cbranch_execz .LBB184_35
.LBB184_46:                             ;   in Loop: Header=BB184_3 Depth=1
	v_add_co_u32_e32 v4, vcc, v42, v28
	v_addc_co_u32_e32 v5, vcc, v39, v29, vcc
	global_load_ushort v2, v[4:5], off
	v_add_co_u32_e32 v4, vcc, v44, v28
	v_addc_co_u32_e32 v5, vcc, v41, v29, vcc
	global_load_ushort v4, v[4:5], off
	s_waitcnt vmcnt(1)
	v_cvt_f32_f16_e32 v22, v2
	s_waitcnt vmcnt(0)
	v_cvt_f32_f16_e32 v14, v4
	s_or_b64 exec, exec, s[8:9]
	s_and_saveexec_b64 s[8:9], s[2:3]
	s_cbranch_execz .LBB184_36
.LBB184_47:                             ;   in Loop: Header=BB184_3 Depth=1
	v_add_co_u32_e32 v4, vcc, v38, v28
	v_addc_co_u32_e32 v5, vcc, v35, v29, vcc
	global_load_ushort v2, v[4:5], off
	v_add_co_u32_e32 v4, vcc, v40, v28
	v_addc_co_u32_e32 v5, vcc, v37, v29, vcc
	global_load_ushort v4, v[4:5], off
	s_waitcnt vmcnt(1)
	v_cvt_f32_f16_e32 v23, v2
	s_waitcnt vmcnt(0)
	v_cvt_f32_f16_e32 v15, v4
	s_or_b64 exec, exec, s[8:9]
	s_and_saveexec_b64 s[8:9], s[2:3]
	s_cbranch_execz .LBB184_37
.LBB184_48:                             ;   in Loop: Header=BB184_3 Depth=1
	v_add_co_u32_e32 v4, vcc, v34, v28
	v_addc_co_u32_e32 v5, vcc, v31, v29, vcc
	global_load_ushort v2, v[4:5], off
	v_add_co_u32_e32 v4, vcc, v36, v28
	v_addc_co_u32_e32 v5, vcc, v33, v29, vcc
	global_load_ushort v4, v[4:5], off
	s_waitcnt vmcnt(1)
	v_cvt_f32_f16_e32 v24, v2
	s_waitcnt vmcnt(0)
	v_cvt_f32_f16_e32 v16, v4
	s_or_b64 exec, exec, s[8:9]
	s_and_saveexec_b64 s[8:9], s[2:3]
	s_cbranch_execnz .LBB184_38
	s_branch .LBB184_39
.LBB184_49:
                                        ; implicit-def: $vgpr2
	s_branch .LBB184_51
.LBB184_50:
	s_cbranch_execnz .LBB184_83
.LBB184_51:
	s_and_b64 vcc, exec, s[0:1]
	v_mov_b32_e32 v2, 0
	s_cbranch_vccnz .LBB184_83
; %bb.52:
	s_load_dword s0, s[4:5], 0x44
	s_add_u32 s2, s4, 64
	s_addc_u32 s3, s5, 0
	v_bfe_u32 v85, v0, 10, 10
	v_lshlrev_b32_e32 v1, 4, v85
	s_waitcnt lgkmcnt(0)
	s_lshl_b32 s7, s0, 8
	s_add_u32 s8, s28, 0xff
	s_addc_u32 s9, 0, 0
	s_lshl_b64 s[0:1], s[28:29], 1
	v_mov_b32_e32 v2, s1
	v_add_co_u32_e32 v1, vcc, s0, v1
	v_addc_co_u32_e32 v4, vcc, 0, v2, vcc
	v_add_co_u32_e32 v6, vcc, 2, v1
	v_addc_co_u32_e32 v5, vcc, 0, v4, vcc
	v_add_co_u32_e32 v9, vcc, 4, v1
	v_mul_lo_u32 v7, s14, v5
	v_addc_co_u32_e32 v5, vcc, 0, v4, vcc
	v_add_co_u32_e32 v12, vcc, 6, v1
	v_mul_lo_u32 v10, s14, v5
	;; [unrolled: 3-line block ×5, first 2 shown]
	v_addc_co_u32_e32 v5, vcc, 0, v4, vcc
	v_add_co_u32_e32 v24, vcc, 14, v1
	v_lshlrev_b32_e32 v26, 3, v85
	v_addc_co_u32_e32 v1, vcc, 0, v4, vcc
	v_mul_lo_u32 v25, s14, v1
	v_mov_b32_e32 v1, s29
	v_add_co_u32_e32 v43, vcc, s28, v26
	v_pk_mov_b32 v[2:3], s[16:17], s[16:17] op_sel:[0,1]
	v_addc_co_u32_e32 v59, vcc, 0, v1, vcc
	v_mad_u64_u32 v[28:29], s[0:1], s14, v6, v[2:3]
	v_mad_u64_u32 v[30:31], s[0:1], s14, v9, v[2:3]
	;; [unrolled: 1-line block ×7, first 2 shown]
	v_mul_lo_u32 v60, s15, v43
	v_mul_lo_u32 v61, s14, v59
	v_mad_u64_u32 v[2:3], s[0:1], s14, v43, 0
	v_add3_u32 v3, v3, v61, v60
	v_lshlrev_b64 v[2:3], 1, v[2:3]
	v_mul_lo_u32 v22, s14, v5
	v_mov_b32_e32 v81, s17
	v_add_co_u32_e32 v42, vcc, s16, v2
	v_pk_mov_b32 v[4:5], s[18:19], s[18:19] op_sel:[0,1]
	v_mul_lo_u32 v17, s15, v15
	v_addc_co_u32_e32 v1, vcc, v81, v3, vcc
	v_mad_u64_u32 v[50:51], s[0:1], s14, v15, v[4:5]
	v_add3_u32 v35, v17, v35, v16
	v_mul_lo_u32 v27, s15, v24
	v_add3_u32 v51, v17, v51, v16
	v_mad_u64_u32 v[56:57], s[0:1], s14, v24, v[4:5]
	v_mov_b32_e32 v16, s19
	v_add_co_u32_e32 v58, vcc, s18, v2
	v_add3_u32 v41, v27, v41, v25
	v_add3_u32 v57, v27, v57, v25
	v_addc_co_u32_e32 v27, vcc, v16, v3, vcc
	v_add_co_u32_e32 v2, vcc, 7, v43
	v_addc_co_u32_e32 v3, vcc, 0, v59, vcc
	v_mad_u64_u32 v[44:45], s[0:1], s14, v6, v[4:5]
	v_mad_u64_u32 v[46:47], s[0:1], s14, v9, v[4:5]
	;; [unrolled: 1-line block ×5, first 2 shown]
	v_mul_lo_u32 v4, s15, v2
	v_mul_lo_u32 v5, s14, v3
	v_mad_u64_u32 v[2:3], s[0:1], s14, v2, 0
	v_add3_u32 v3, v3, v5, v4
	v_add_co_u32_e32 v4, vcc, 6, v43
	v_mul_lo_u32 v8, s15, v6
	v_addc_co_u32_e32 v5, vcc, 0, v59, vcc
	v_add3_u32 v29, v8, v29, v7
	v_add3_u32 v45, v8, v45, v7
	v_mul_lo_u32 v6, s15, v4
	v_mul_lo_u32 v7, s14, v5
	v_mad_u64_u32 v[4:5], s[0:1], s14, v4, 0
	v_add3_u32 v5, v5, v7, v6
	v_add_co_u32_e32 v6, vcc, 5, v43
	v_addc_co_u32_e32 v7, vcc, 0, v59, vcc
	v_mul_lo_u32 v11, s15, v9
	v_mul_lo_u32 v8, s15, v6
	;; [unrolled: 1-line block ×3, first 2 shown]
	v_mad_u64_u32 v[6:7], s[0:1], s14, v6, 0
	v_add3_u32 v7, v7, v9, v8
	v_add_co_u32_e32 v8, vcc, 4, v43
	v_addc_co_u32_e32 v9, vcc, 0, v59, vcc
	v_add3_u32 v31, v11, v31, v10
	v_add3_u32 v47, v11, v47, v10
	v_mul_lo_u32 v10, s15, v8
	v_mul_lo_u32 v11, s14, v9
	v_mad_u64_u32 v[8:9], s[0:1], s14, v8, 0
	v_add3_u32 v9, v9, v11, v10
	v_add_co_u32_e32 v10, vcc, 3, v43
	v_mul_lo_u32 v14, s15, v12
	v_addc_co_u32_e32 v11, vcc, 0, v59, vcc
	v_add3_u32 v33, v14, v33, v13
	v_add3_u32 v49, v14, v49, v13
	v_mul_lo_u32 v12, s15, v10
	v_mul_lo_u32 v13, s14, v11
	v_mad_u64_u32 v[10:11], s[0:1], s14, v10, 0
	v_add3_u32 v11, v11, v13, v12
	v_add_co_u32_e32 v12, vcc, 2, v43
	v_addc_co_u32_e32 v13, vcc, 0, v59, vcc
	v_mul_lo_u32 v14, s15, v12
	v_mul_lo_u32 v15, s14, v13
	v_mad_u64_u32 v[12:13], s[0:1], s14, v12, 0
	v_add3_u32 v13, v13, v15, v14
	v_pk_mov_b32 v[14:15], s[14:15], s[14:15] op_sel:[0,1]
	v_lshlrev_b64 v[2:3], 1, v[2:3]
	v_mad_u64_u32 v[14:15], s[0:1], s14, v43, v[14:15]
	v_add3_u32 v15, v60, v15, v61
	v_add_co_u32_e32 v60, vcc, s16, v2
	v_addc_co_u32_e32 v43, vcc, v81, v3, vcc
	v_add_co_u32_e32 v62, vcc, s18, v2
	v_addc_co_u32_e32 v59, vcc, v16, v3, vcc
	v_lshlrev_b64 v[2:3], 1, v[4:5]
	v_add_co_u32_e32 v64, vcc, s16, v2
	v_addc_co_u32_e32 v61, vcc, v81, v3, vcc
	v_add_co_u32_e32 v66, vcc, s18, v2
	v_addc_co_u32_e32 v63, vcc, v16, v3, vcc
	v_lshlrev_b64 v[2:3], 1, v[6:7]
	;; [unrolled: 5-line block ×6, first 2 shown]
	v_add_co_u32_e32 v84, vcc, s16, v2
	v_addc_co_u32_e32 v81, vcc, v81, v3, vcc
	v_mbcnt_lo_u32_b32 v4, -1, 0
	v_add_co_u32_e32 v86, vcc, s18, v2
	v_and_b32_e32 v87, 0x3ff, v0
	s_mul_i32 s0, s15, s7
	s_mul_hi_u32 s1, s14, s7
	v_mbcnt_hi_u32_b32 v4, -1, v4
	v_mul_lo_u32 v20, s15, v18
	v_mul_lo_u32 v23, s15, v21
	v_addc_co_u32_e32 v83, vcc, v16, v3, vcc
	v_add_u32_e32 v2, s33, v87
	v_mov_b32_e32 v3, 0
	s_add_i32 s1, s1, s0
	s_mul_i32 s0, s14, s7
	v_lshlrev_b32_e32 v4, 2, v4
	v_add3_u32 v37, v20, v37, v19
	v_add3_u32 v39, v23, v39, v22
	;; [unrolled: 1-line block ×4, first 2 shown]
	s_mov_b32 s16, 0
	s_lshl_b64 s[24:25], s[0:1], 1
	v_and_b32_e32 v90, 0x100, v4
	v_mov_b32_e32 v91, 0
	v_lshlrev_b64 v[88:89], 1, v[2:3]
.LBB184_53:                             ; =>This Inner Loop Header: Depth=1
	v_pk_mov_b32 v[4:5], s[12:13], s[12:13] op_sel:[0,1]
	v_cmp_ge_i64_e32 vcc, s[8:9], v[4:5]
	v_mov_b32_e32 v2, s9
	v_add_co_u32_e64 v92, s[0:1], s8, v26
	v_addc_co_u32_e64 v93, s[0:1], 0, v2, s[0:1]
	s_cbranch_vccz .LBB184_75
; %bb.54:                               ;   in Loop: Header=BB184_53 Depth=1
	s_load_dword s0, s[2:3], 0xc
	v_mov_b32_e32 v94, 0
	s_waitcnt lgkmcnt(0)
	s_and_b32 s0, s0, 0xffff
	v_mad_u32_u24 v2, v85, s0, v87
	v_and_b32_e32 v2, 63, v2
	v_cmp_gt_u32_e32 vcc, 8, v2
	s_and_saveexec_b64 s[0:1], vcc
	s_cbranch_execz .LBB184_58
; %bb.55:                               ;   in Loop: Header=BB184_53 Depth=1
	v_add_co_u32_e32 v2, vcc, v92, v2
	v_addc_co_u32_e32 v5, vcc, 0, v93, vcc
	v_add_co_u32_e32 v4, vcc, 0xffffff01, v2
	v_addc_co_u32_e32 v5, vcc, -1, v5, vcc
	v_cmp_gt_i64_e32 vcc, s[12:13], v[4:5]
	v_mov_b32_e32 v94, 0
	s_and_saveexec_b64 s[18:19], vcc
	s_cbranch_execz .LBB184_57
; %bb.56:                               ;   in Loop: Header=BB184_53 Depth=1
	v_lshlrev_b64 v[4:5], 2, v[4:5]
	v_mov_b32_e32 v2, s11
	v_add_co_u32_e32 v4, vcc, s10, v4
	v_addc_co_u32_e32 v5, vcc, v2, v5, vcc
	global_load_dword v94, v[4:5], off
.LBB184_57:                             ;   in Loop: Header=BB184_53 Depth=1
	s_or_b64 exec, exec, s[18:19]
.LBB184_58:                             ;   in Loop: Header=BB184_53 Depth=1
	s_or_b64 exec, exec, s[0:1]
	s_mov_b32 s17, s16
	s_mov_b32 s18, s16
	;; [unrolled: 1-line block ×7, first 2 shown]
	v_pk_mov_b32 v[10:11], s[16:17], s[16:17] op_sel:[0,1]
	v_add_co_u32_e32 v4, vcc, 0xffffff01, v92
	v_pk_mov_b32 v[16:17], s[22:23], s[22:23] op_sel:[0,1]
	v_addc_co_u32_e32 v5, vcc, -1, v93, vcc
	v_pk_mov_b32 v[12:13], s[18:19], s[18:19] op_sel:[0,1]
	v_pk_mov_b32 v[14:15], s[20:21], s[20:21] op_sel:[0,1]
	;; [unrolled: 1-line block ×3, first 2 shown]
	v_cmp_gt_i64_e32 vcc, s[12:13], v[4:5]
	v_pk_mov_b32 v[22:23], v[14:15], v[14:15] op_sel:[0,1]
	v_pk_mov_b32 v[20:21], v[12:13], v[12:13] op_sel:[0,1]
	;; [unrolled: 1-line block ×3, first 2 shown]
	s_and_saveexec_b64 s[0:1], vcc
	s_cbranch_execz .LBB184_60
; %bb.59:                               ;   in Loop: Header=BB184_53 Depth=1
	v_add_co_u32_e32 v4, vcc, v42, v88
	v_addc_co_u32_e32 v5, vcc, v1, v89, vcc
	global_load_ushort v2, v[4:5], off
	v_add_co_u32_e32 v4, vcc, v58, v88
	v_addc_co_u32_e32 v5, vcc, v27, v89, vcc
	global_load_ushort v10, v[4:5], off
	v_mov_b32_e32 v8, v3
	v_mov_b32_e32 v9, v3
	;; [unrolled: 1-line block ×13, first 2 shown]
	s_waitcnt vmcnt(1)
	v_cvt_f32_f16_e32 v2, v2
	v_pk_mov_b32 v[24:25], v[8:9], v[8:9] op_sel:[0,1]
	v_pk_mov_b32 v[22:23], v[6:7], v[6:7] op_sel:[0,1]
	;; [unrolled: 1-line block ×4, first 2 shown]
	s_waitcnt vmcnt(0)
	v_cvt_f32_f16_e32 v10, v10
.LBB184_60:                             ;   in Loop: Header=BB184_53 Depth=1
	s_or_b64 exec, exec, s[0:1]
	v_add_co_u32_e32 v4, vcc, 0xffffff02, v92
	v_addc_co_u32_e32 v5, vcc, -1, v93, vcc
	v_cmp_gt_i64_e32 vcc, s[12:13], v[4:5]
	s_and_saveexec_b64 s[0:1], vcc
	s_cbranch_execz .LBB184_62
; %bb.61:                               ;   in Loop: Header=BB184_53 Depth=1
	v_add_co_u32_e32 v4, vcc, v84, v88
	v_addc_co_u32_e32 v5, vcc, v81, v89, vcc
	global_load_ushort v2, v[4:5], off
	v_add_co_u32_e32 v4, vcc, v86, v88
	v_addc_co_u32_e32 v5, vcc, v83, v89, vcc
	global_load_ushort v4, v[4:5], off
	s_waitcnt vmcnt(1)
	v_cvt_f32_f16_e32 v19, v2
	s_waitcnt vmcnt(0)
	v_cvt_f32_f16_e32 v11, v4
.LBB184_62:                             ;   in Loop: Header=BB184_53 Depth=1
	s_or_b64 exec, exec, s[0:1]
	v_add_co_u32_e32 v4, vcc, 0xffffff03, v92
	v_addc_co_u32_e32 v5, vcc, -1, v93, vcc
	v_cmp_gt_i64_e32 vcc, s[12:13], v[4:5]
	s_and_saveexec_b64 s[0:1], vcc
	s_cbranch_execz .LBB184_64
; %bb.63:                               ;   in Loop: Header=BB184_53 Depth=1
	v_add_co_u32_e32 v4, vcc, v80, v88
	v_addc_co_u32_e32 v5, vcc, v77, v89, vcc
	global_load_ushort v2, v[4:5], off
	v_add_co_u32_e32 v4, vcc, v82, v88
	v_addc_co_u32_e32 v5, vcc, v79, v89, vcc
	global_load_ushort v4, v[4:5], off
	s_waitcnt vmcnt(1)
	v_cvt_f32_f16_e32 v20, v2
	s_waitcnt vmcnt(0)
	v_cvt_f32_f16_e32 v12, v4
.LBB184_64:                             ;   in Loop: Header=BB184_53 Depth=1
	s_or_b64 exec, exec, s[0:1]
	v_add_co_u32_e32 v4, vcc, 0xffffff04, v92
	v_addc_co_u32_e32 v5, vcc, -1, v93, vcc
	v_cmp_gt_i64_e32 vcc, s[12:13], v[4:5]
	s_and_saveexec_b64 s[0:1], vcc
	s_cbranch_execz .LBB184_66
; %bb.65:                               ;   in Loop: Header=BB184_53 Depth=1
	v_add_co_u32_e32 v4, vcc, v76, v88
	v_addc_co_u32_e32 v5, vcc, v73, v89, vcc
	global_load_ushort v2, v[4:5], off
	v_add_co_u32_e32 v4, vcc, v78, v88
	v_addc_co_u32_e32 v5, vcc, v75, v89, vcc
	global_load_ushort v4, v[4:5], off
	s_waitcnt vmcnt(1)
	v_cvt_f32_f16_e32 v21, v2
	s_waitcnt vmcnt(0)
	v_cvt_f32_f16_e32 v13, v4
.LBB184_66:                             ;   in Loop: Header=BB184_53 Depth=1
	s_or_b64 exec, exec, s[0:1]
	v_add_co_u32_e32 v4, vcc, 0xffffff05, v92
	v_addc_co_u32_e32 v5, vcc, -1, v93, vcc
	v_cmp_gt_i64_e32 vcc, s[12:13], v[4:5]
	s_and_saveexec_b64 s[0:1], vcc
	s_cbranch_execz .LBB184_68
; %bb.67:                               ;   in Loop: Header=BB184_53 Depth=1
	v_add_co_u32_e32 v4, vcc, v72, v88
	v_addc_co_u32_e32 v5, vcc, v69, v89, vcc
	global_load_ushort v2, v[4:5], off
	v_add_co_u32_e32 v4, vcc, v74, v88
	v_addc_co_u32_e32 v5, vcc, v71, v89, vcc
	global_load_ushort v4, v[4:5], off
	s_waitcnt vmcnt(1)
	v_cvt_f32_f16_e32 v22, v2
	s_waitcnt vmcnt(0)
	v_cvt_f32_f16_e32 v14, v4
.LBB184_68:                             ;   in Loop: Header=BB184_53 Depth=1
	s_or_b64 exec, exec, s[0:1]
	v_add_co_u32_e32 v4, vcc, 0xffffff06, v92
	v_addc_co_u32_e32 v5, vcc, -1, v93, vcc
	v_cmp_gt_i64_e32 vcc, s[12:13], v[4:5]
	s_and_saveexec_b64 s[0:1], vcc
	s_cbranch_execz .LBB184_70
; %bb.69:                               ;   in Loop: Header=BB184_53 Depth=1
	v_add_co_u32_e32 v4, vcc, v68, v88
	v_addc_co_u32_e32 v5, vcc, v65, v89, vcc
	global_load_ushort v2, v[4:5], off
	v_add_co_u32_e32 v4, vcc, v70, v88
	v_addc_co_u32_e32 v5, vcc, v67, v89, vcc
	global_load_ushort v4, v[4:5], off
	s_waitcnt vmcnt(1)
	v_cvt_f32_f16_e32 v23, v2
	s_waitcnt vmcnt(0)
	v_cvt_f32_f16_e32 v15, v4
.LBB184_70:                             ;   in Loop: Header=BB184_53 Depth=1
	s_or_b64 exec, exec, s[0:1]
	v_add_co_u32_e32 v4, vcc, 0xffffff07, v92
	v_addc_co_u32_e32 v5, vcc, -1, v93, vcc
	v_cmp_gt_i64_e32 vcc, s[12:13], v[4:5]
	s_and_saveexec_b64 s[0:1], vcc
	s_cbranch_execz .LBB184_72
; %bb.71:                               ;   in Loop: Header=BB184_53 Depth=1
	v_add_co_u32_e32 v4, vcc, v64, v88
	v_addc_co_u32_e32 v5, vcc, v61, v89, vcc
	global_load_ushort v2, v[4:5], off
	v_add_co_u32_e32 v4, vcc, v66, v88
	v_addc_co_u32_e32 v5, vcc, v63, v89, vcc
	global_load_ushort v4, v[4:5], off
	s_waitcnt vmcnt(1)
	v_cvt_f32_f16_e32 v24, v2
	s_waitcnt vmcnt(0)
	v_cvt_f32_f16_e32 v16, v4
.LBB184_72:                             ;   in Loop: Header=BB184_53 Depth=1
	s_or_b64 exec, exec, s[0:1]
	v_add_co_u32_e32 v4, vcc, 0xffffff08, v92
	v_addc_co_u32_e32 v5, vcc, -1, v93, vcc
	v_cmp_gt_i64_e32 vcc, s[12:13], v[4:5]
	s_and_saveexec_b64 s[0:1], vcc
	s_cbranch_execz .LBB184_74
; %bb.73:                               ;   in Loop: Header=BB184_53 Depth=1
	v_add_co_u32_e32 v4, vcc, v60, v88
	v_addc_co_u32_e32 v5, vcc, v43, v89, vcc
	global_load_ushort v2, v[4:5], off
	v_add_co_u32_e32 v4, vcc, v62, v88
	v_addc_co_u32_e32 v5, vcc, v59, v89, vcc
	global_load_ushort v4, v[4:5], off
	s_waitcnt vmcnt(1)
	v_cvt_f32_f16_e32 v25, v2
	s_waitcnt vmcnt(0)
	v_cvt_f32_f16_e32 v17, v4
.LBB184_74:                             ;   in Loop: Header=BB184_53 Depth=1
	s_or_b64 exec, exec, s[0:1]
	s_waitcnt vmcnt(0)
	ds_bpermute_b32 v4, v90, v94
	ds_bpermute_b32 v5, v90, v94 offset:4
	v_pk_mul_f32 v[8:9], v[14:15], v[22:23]
	ds_bpermute_b32 v14, v90, v94 offset:8
	ds_bpermute_b32 v15, v90, v94 offset:12
	v_pk_mul_f32 v[10:11], v[10:11], v[18:19]
	s_waitcnt lgkmcnt(2)
	v_pk_mul_f32 v[4:5], v[10:11], v[4:5]
	ds_bpermute_b32 v10, v90, v94 offset:16
	ds_bpermute_b32 v11, v90, v94 offset:20
	v_pk_mul_f32 v[12:13], v[12:13], v[20:21]
	v_add_f32_e32 v2, v91, v4
	v_add_f32_e32 v2, v2, v5
	s_waitcnt lgkmcnt(2)
	v_pk_mul_f32 v[4:5], v[12:13], v[14:15]
	ds_bpermute_b32 v12, v90, v94 offset:24
	ds_bpermute_b32 v13, v90, v94 offset:28
	v_add_f32_e32 v2, v2, v4
	v_add_f32_e32 v2, v2, v5
	s_waitcnt lgkmcnt(2)
	v_pk_mul_f32 v[4:5], v[8:9], v[10:11]
	v_pk_mul_f32 v[6:7], v[16:17], v[24:25]
	v_add_f32_e32 v2, v2, v4
	v_add_f32_e32 v2, v2, v5
	s_waitcnt lgkmcnt(0)
	v_pk_mul_f32 v[4:5], v[6:7], v[12:13]
	v_add_f32_e32 v2, v2, v4
	v_add_f32_e32 v2, v2, v5
	s_branch .LBB184_81
.LBB184_75:                             ;   in Loop: Header=BB184_53 Depth=1
                                        ; implicit-def: $vgpr2
	s_cbranch_execz .LBB184_81
; %bb.76:                               ;   in Loop: Header=BB184_53 Depth=1
	s_load_dword s0, s[2:3], 0x0
	s_waitcnt lgkmcnt(0)
	s_cmp_lt_u32 s6, s0
	s_cselect_b32 s0, 12, 18
	s_add_u32 s0, s2, s0
	s_addc_u32 s1, s3, 0
	global_load_ushort v2, v3, s[0:1]
	s_waitcnt vmcnt(0)
	v_mad_u32_u24 v2, v85, v2, v87
	v_and_b32_e32 v4, 63, v2
	v_cmp_gt_u32_e32 vcc, 8, v4
	v_mov_b32_e32 v2, 0
	s_and_saveexec_b64 s[0:1], vcc
	s_cbranch_execz .LBB184_80
; %bb.77:                               ;   in Loop: Header=BB184_53 Depth=1
	v_add_co_u32_e32 v2, vcc, v92, v4
	v_addc_co_u32_e32 v5, vcc, 0, v93, vcc
	v_add_co_u32_e32 v4, vcc, 0xffffff01, v2
	v_addc_co_u32_e32 v5, vcc, -1, v5, vcc
	v_cmp_gt_i64_e32 vcc, s[12:13], v[4:5]
	v_mov_b32_e32 v2, 0
	s_and_saveexec_b64 s[18:19], vcc
	s_cbranch_execz .LBB184_79
; %bb.78:                               ;   in Loop: Header=BB184_53 Depth=1
	v_lshlrev_b64 v[4:5], 2, v[4:5]
	v_mov_b32_e32 v2, s11
	v_add_co_u32_e32 v4, vcc, s10, v4
	v_addc_co_u32_e32 v5, vcc, v2, v5, vcc
	global_load_dword v2, v[4:5], off
.LBB184_79:                             ;   in Loop: Header=BB184_53 Depth=1
	s_or_b64 exec, exec, s[18:19]
.LBB184_80:                             ;   in Loop: Header=BB184_53 Depth=1
	s_or_b64 exec, exec, s[0:1]
	v_add_co_u32_e32 v4, vcc, v42, v88
	v_addc_co_u32_e32 v5, vcc, v1, v89, vcc
	global_load_ushort v6, v[4:5], off
	v_add_co_u32_e32 v4, vcc, v58, v88
	v_addc_co_u32_e32 v5, vcc, v27, v89, vcc
	global_load_ushort v7, v[4:5], off
	;; [unrolled: 3-line block ×16, first 2 shown]
	s_waitcnt vmcnt(16)
	ds_bpermute_b32 v21, v90, v2 offset:4
	s_waitcnt vmcnt(15)
	v_cvt_f32_f16_e32 v5, v6
	s_waitcnt vmcnt(14)
	v_cvt_f32_f16_e32 v6, v7
	v_mul_f32_e32 v5, v5, v6
	s_waitcnt vmcnt(13)
	v_cvt_f32_f16_e32 v7, v8
	s_waitcnt vmcnt(12)
	v_cvt_f32_f16_e32 v8, v9
	v_mul_f32_e32 v6, v7, v8
	;; [unrolled: 5-line block ×3, first 2 shown]
	s_waitcnt vmcnt(9)
	v_cvt_f32_f16_e32 v11, v12
	s_waitcnt vmcnt(8)
	v_cvt_f32_f16_e32 v12, v13
	;; [unrolled: 2-line block ×8, first 2 shown]
	ds_bpermute_b32 v19, v90, v2
	s_waitcnt vmcnt(1)
	v_cvt_f32_f16_e32 v20, v20
	s_waitcnt lgkmcnt(0)
	v_fmac_f32_e32 v91, v5, v19
	ds_bpermute_b32 v5, v90, v2 offset:8
	v_fmac_f32_e32 v91, v6, v21
	ds_bpermute_b32 v6, v90, v2 offset:12
	s_waitcnt vmcnt(0)
	v_cvt_f32_f16_e32 v4, v4
	s_waitcnt lgkmcnt(1)
	v_fmac_f32_e32 v91, v7, v5
	ds_bpermute_b32 v5, v90, v2 offset:16
	v_mul_f32_e32 v7, v11, v12
	s_waitcnt lgkmcnt(1)
	v_fmac_f32_e32 v91, v7, v6
	v_mul_f32_e32 v6, v13, v14
	ds_bpermute_b32 v7, v90, v2 offset:20
	s_waitcnt lgkmcnt(1)
	v_fmac_f32_e32 v91, v6, v5
	ds_bpermute_b32 v5, v90, v2 offset:24
	ds_bpermute_b32 v2, v90, v2 offset:28
	v_mul_f32_e32 v6, v15, v16
	s_waitcnt lgkmcnt(2)
	v_fmac_f32_e32 v91, v6, v7
	v_mul_f32_e32 v6, v17, v18
	s_waitcnt lgkmcnt(1)
	v_fmac_f32_e32 v91, v6, v5
	;; [unrolled: 3-line block ×3, first 2 shown]
	v_mov_b32_e32 v2, v91
.LBB184_81:                             ;   in Loop: Header=BB184_53 Depth=1
	s_add_u32 s28, s28, s7
	s_addc_u32 s29, s29, 0
	v_pk_mov_b32 v[4:5], s[12:13], s[12:13] op_sel:[0,1]
	v_cmp_ge_i64_e32 vcc, s[28:29], v[4:5]
	v_mov_b32_e32 v4, s25
	v_add_co_u32_e64 v28, s[0:1], s24, v28
	v_addc_co_u32_e64 v29, s[0:1], v29, v4, s[0:1]
	v_add_co_u32_e64 v30, s[0:1], s24, v30
	v_addc_co_u32_e64 v31, s[0:1], v31, v4, s[0:1]
	;; [unrolled: 2-line block ×29, first 2 shown]
	v_add_co_u32_e64 v86, s[0:1], s24, v86
	s_add_u32 s8, s8, s7
	v_addc_co_u32_e64 v83, s[0:1], v83, v4, s[0:1]
	s_addc_u32 s9, s9, 0
	s_cbranch_vccnz .LBB184_83
; %bb.82:                               ;   in Loop: Header=BB184_53 Depth=1
	v_mov_b32_e32 v91, v2
	s_branch .LBB184_53
.LBB184_83:
	v_and_b32_e32 v3, 0x3ff, v0
	v_bfe_u32 v0, v0, 10, 10
	v_mad_u32_u24 v4, v0, 33, v3
	v_lshl_add_u32 v5, v4, 2, 0
	ds_write_b32 v5, v2
	v_sub_u32_e32 v2, v4, v0
	s_movk_i32 s0, 0x800
	s_mov_b32 s7, 0
	v_mov_b32_e32 v1, 0
	v_cmp_gt_u32_e32 vcc, s0, v2
	ds_write_b32 v5, v1 offset:4224
	s_waitcnt lgkmcnt(0)
	s_barrier
	s_and_saveexec_b64 s[0:1], vcc
	s_cbranch_execz .LBB184_90
; %bb.84:
	v_mbcnt_lo_u32_b32 v4, -1, 0
	v_mbcnt_hi_u32_b32 v8, -1, v4
	v_and_b32_e32 v4, 64, v8
	v_add_u32_e32 v9, 64, v4
	v_cmp_ne_u32_e64 s[0:1], 0, v3
	v_xor_b32_e32 v3, 16, v8
	v_cmp_lt_i32_e64 s[2:3], v3, v9
	v_cndmask_b32_e64 v3, v8, v3, s[2:3]
	v_lshlrev_b32_e32 v4, 2, v3
	v_xor_b32_e32 v3, 8, v8
	v_cmp_lt_i32_e64 s[2:3], v3, v9
	v_cndmask_b32_e64 v3, v8, v3, s[2:3]
	v_lshlrev_b32_e32 v5, 2, v3
	v_xor_b32_e32 v3, 4, v8
	v_cmp_lt_i32_e64 s[2:3], v3, v9
	s_load_dwordx2 s[12:13], s[4:5], 0x30
	v_cndmask_b32_e64 v3, v8, v3, s[2:3]
	v_lshlrev_b32_e32 v6, 2, v3
	v_xor_b32_e32 v3, 2, v8
	v_cmp_lt_i32_e64 s[2:3], v3, v9
	v_cndmask_b32_e64 v3, v8, v3, s[2:3]
	s_lshl_b64 s[4:5], s[6:7], 5
	v_lshlrev_b32_e32 v7, 2, v3
	v_xor_b32_e32 v3, 1, v8
	s_waitcnt lgkmcnt(0)
	s_cmp_eq_u64 s[12:13], 0
	v_cmp_lt_i32_e64 s[2:3], v3, v9
	v_lshrrev_b32_e32 v0, 6, v2
	v_and_b32_e32 v2, 63, v2
	s_cselect_b64 s[10:11], -1, 0
	v_cndmask_b32_e64 v3, v8, v3, s[2:3]
	s_lshl_b64 s[2:3], s[6:7], 6
	v_cmp_gt_u32_e32 vcc, 32, v2
	v_mul_u32_u24_e32 v2, 0x84, v2
	v_lshlrev_b32_e32 v8, 2, v3
	v_lshlrev_b32_e32 v3, 2, v0
	s_add_u32 s2, s12, s2
	v_add3_u32 v9, v2, v3, 0
	v_lshlrev_b32_e32 v2, 1, v0
	s_addc_u32 s3, s13, s3
	v_mov_b32_e32 v3, s3
	v_add_co_u32_e64 v2, s[2:3], s2, v2
	s_mov_b64 s[8:9], 0
	v_addc_co_u32_e64 v3, s[2:3], 0, v3, s[2:3]
	v_mov_b32_e32 v10, s5
                                        ; implicit-def: $vgpr11
	s_branch .LBB184_86
.LBB184_85:                             ;   in Loop: Header=BB184_86 Depth=1
	s_or_b64 exec, exec, s[2:3]
	v_add_co_u32_e64 v0, s[2:3], 16, v0
	v_addc_co_u32_e64 v1, s[2:3], 0, v1, s[2:3]
	v_add_u32_e32 v12, -16, v0
	v_cmp_lt_u32_e64 s[2:3], 15, v12
	s_or_b64 s[8:9], s[2:3], s[8:9]
	v_add_co_u32_e64 v2, s[2:3], 32, v2
	v_add_u32_e32 v9, 64, v9
	v_addc_co_u32_e64 v3, s[2:3], 0, v3, s[2:3]
	s_andn2_b64 exec, exec, s[8:9]
	s_cbranch_execz .LBB184_90
.LBB184_86:                             ; =>This Inner Loop Header: Depth=1
	s_and_saveexec_b64 s[2:3], vcc
	s_cbranch_execz .LBB184_88
; %bb.87:                               ;   in Loop: Header=BB184_86 Depth=1
	ds_read_b32 v11, v9
.LBB184_88:                             ;   in Loop: Header=BB184_86 Depth=1
	s_or_b64 exec, exec, s[2:3]
	s_waitcnt lgkmcnt(0)
	ds_bpermute_b32 v12, v4, v11
	s_waitcnt lgkmcnt(0)
	v_add_f32_e32 v11, v11, v12
	ds_bpermute_b32 v12, v5, v11
	s_waitcnt lgkmcnt(0)
	v_add_f32_e32 v11, v11, v12
	;; [unrolled: 3-line block ×4, first 2 shown]
	ds_bpermute_b32 v14, v8, v11
	v_add_co_u32_e64 v12, s[2:3], s4, v0
	v_addc_co_u32_e64 v13, s[2:3], v10, v1, s[2:3]
	v_cmp_le_i64_e64 s[2:3], s[14:15], v[12:13]
	s_or_b64 s[2:3], s[0:1], s[2:3]
	s_or_b64 s[2:3], s[10:11], s[2:3]
	s_waitcnt lgkmcnt(0)
	v_add_f32_e32 v11, v11, v14
	s_xor_b64 s[6:7], s[2:3], -1
	s_and_saveexec_b64 s[2:3], s[6:7]
	s_cbranch_execz .LBB184_85
; %bb.89:                               ;   in Loop: Header=BB184_86 Depth=1
	v_cvt_f16_f32_e32 v12, v11
	global_store_short v[2:3], v12, off
	s_branch .LBB184_85
.LBB184_90:
	s_endpgm
	.section	.rodata,"a",@progbits
	.p2align	6, 0x0
	.amdhsa_kernel _ZN2at6native12_GLOBAL__N_135GammaBetaBackwardCUDAKernelTemplateIN3c104HalfEfLj32ELj32ELj256ELb0ELb0ELb1EEEvllPKT_S7_PKT0_SA_PS5_SB_
		.amdhsa_group_segment_fixed_size 0
		.amdhsa_private_segment_fixed_size 0
		.amdhsa_kernarg_size 320
		.amdhsa_user_sgpr_count 6
		.amdhsa_user_sgpr_private_segment_buffer 1
		.amdhsa_user_sgpr_dispatch_ptr 0
		.amdhsa_user_sgpr_queue_ptr 0
		.amdhsa_user_sgpr_kernarg_segment_ptr 1
		.amdhsa_user_sgpr_dispatch_id 0
		.amdhsa_user_sgpr_flat_scratch_init 0
		.amdhsa_user_sgpr_kernarg_preload_length 0
		.amdhsa_user_sgpr_kernarg_preload_offset 0
		.amdhsa_user_sgpr_private_segment_size 0
		.amdhsa_uses_dynamic_stack 0
		.amdhsa_system_sgpr_private_segment_wavefront_offset 0
		.amdhsa_system_sgpr_workgroup_id_x 1
		.amdhsa_system_sgpr_workgroup_id_y 1
		.amdhsa_system_sgpr_workgroup_id_z 0
		.amdhsa_system_sgpr_workgroup_info 0
		.amdhsa_system_vgpr_workitem_id 1
		.amdhsa_next_free_vgpr 95
		.amdhsa_next_free_sgpr 42
		.amdhsa_accum_offset 96
		.amdhsa_reserve_vcc 1
		.amdhsa_reserve_flat_scratch 0
		.amdhsa_float_round_mode_32 0
		.amdhsa_float_round_mode_16_64 0
		.amdhsa_float_denorm_mode_32 3
		.amdhsa_float_denorm_mode_16_64 3
		.amdhsa_dx10_clamp 1
		.amdhsa_ieee_mode 1
		.amdhsa_fp16_overflow 0
		.amdhsa_tg_split 0
		.amdhsa_exception_fp_ieee_invalid_op 0
		.amdhsa_exception_fp_denorm_src 0
		.amdhsa_exception_fp_ieee_div_zero 0
		.amdhsa_exception_fp_ieee_overflow 0
		.amdhsa_exception_fp_ieee_underflow 0
		.amdhsa_exception_fp_ieee_inexact 0
		.amdhsa_exception_int_div_zero 0
	.end_amdhsa_kernel
	.section	.text._ZN2at6native12_GLOBAL__N_135GammaBetaBackwardCUDAKernelTemplateIN3c104HalfEfLj32ELj32ELj256ELb0ELb0ELb1EEEvllPKT_S7_PKT0_SA_PS5_SB_,"axG",@progbits,_ZN2at6native12_GLOBAL__N_135GammaBetaBackwardCUDAKernelTemplateIN3c104HalfEfLj32ELj32ELj256ELb0ELb0ELb1EEEvllPKT_S7_PKT0_SA_PS5_SB_,comdat
.Lfunc_end184:
	.size	_ZN2at6native12_GLOBAL__N_135GammaBetaBackwardCUDAKernelTemplateIN3c104HalfEfLj32ELj32ELj256ELb0ELb0ELb1EEEvllPKT_S7_PKT0_SA_PS5_SB_, .Lfunc_end184-_ZN2at6native12_GLOBAL__N_135GammaBetaBackwardCUDAKernelTemplateIN3c104HalfEfLj32ELj32ELj256ELb0ELb0ELb1EEEvllPKT_S7_PKT0_SA_PS5_SB_
                                        ; -- End function
	.section	.AMDGPU.csdata,"",@progbits
; Kernel info:
; codeLenInByte = 7184
; NumSgprs: 46
; NumVgprs: 95
; NumAgprs: 0
; TotalNumVgprs: 95
; ScratchSize: 0
; MemoryBound: 0
; FloatMode: 240
; IeeeMode: 1
; LDSByteSize: 0 bytes/workgroup (compile time only)
; SGPRBlocks: 5
; VGPRBlocks: 11
; NumSGPRsForWavesPerEU: 46
; NumVGPRsForWavesPerEU: 95
; AccumOffset: 96
; Occupancy: 5
; WaveLimiterHint : 0
; COMPUTE_PGM_RSRC2:SCRATCH_EN: 0
; COMPUTE_PGM_RSRC2:USER_SGPR: 6
; COMPUTE_PGM_RSRC2:TRAP_HANDLER: 0
; COMPUTE_PGM_RSRC2:TGID_X_EN: 1
; COMPUTE_PGM_RSRC2:TGID_Y_EN: 1
; COMPUTE_PGM_RSRC2:TGID_Z_EN: 0
; COMPUTE_PGM_RSRC2:TIDIG_COMP_CNT: 1
; COMPUTE_PGM_RSRC3_GFX90A:ACCUM_OFFSET: 23
; COMPUTE_PGM_RSRC3_GFX90A:TG_SPLIT: 0
	.section	.text._ZN2at6native12_GLOBAL__N_118cuComputeGradInputIN3c108BFloat16EfLb1EEEvPKT_S7_llPKT0_SA_S7_PS5_,"axG",@progbits,_ZN2at6native12_GLOBAL__N_118cuComputeGradInputIN3c108BFloat16EfLb1EEEvPKT_S7_llPKT0_SA_S7_PS5_,comdat
	.globl	_ZN2at6native12_GLOBAL__N_118cuComputeGradInputIN3c108BFloat16EfLb1EEEvPKT_S7_llPKT0_SA_S7_PS5_ ; -- Begin function _ZN2at6native12_GLOBAL__N_118cuComputeGradInputIN3c108BFloat16EfLb1EEEvPKT_S7_llPKT0_SA_S7_PS5_
	.p2align	8
	.type	_ZN2at6native12_GLOBAL__N_118cuComputeGradInputIN3c108BFloat16EfLb1EEEvPKT_S7_llPKT0_SA_S7_PS5_,@function
_ZN2at6native12_GLOBAL__N_118cuComputeGradInputIN3c108BFloat16EfLb1EEEvPKT_S7_llPKT0_SA_S7_PS5_: ; @_ZN2at6native12_GLOBAL__N_118cuComputeGradInputIN3c108BFloat16EfLb1EEEvPKT_S7_llPKT0_SA_S7_PS5_
; %bb.0:
	s_load_dwordx4 s[16:19], s[4:5], 0x10
	s_mov_b32 s14, s7
	s_ashr_i32 s15, s7, 31
	s_waitcnt lgkmcnt(0)
	v_pk_mov_b32 v[2:3], s[16:17], s[16:17] op_sel:[0,1]
	v_cmp_ge_i64_e32 vcc, s[14:15], v[2:3]
	s_cbranch_vccnz .LBB185_49
; %bb.1:
	s_load_dword s10, s[4:5], 0x4c
	s_load_dwordx4 s[20:23], s[4:5], 0x30
	s_load_dword s33, s[4:5], 0x44
	s_load_dwordx4 s[24:27], s[4:5], 0x0
	s_load_dwordx2 s[28:29], s[4:5], 0x28
	s_waitcnt lgkmcnt(0)
	s_lshr_b32 s40, s10, 16
	s_and_b32 s41, s10, 0xffff
	s_cmp_lg_u64 s[20:21], 0
	s_cselect_b64 s[6:7], -1, 0
	s_xor_b32 s1, s18, s19
	s_flbit_i32 s0, s19
	s_ashr_i32 s1, s1, 31
	s_add_i32 s0, s0, -1
	s_add_i32 s1, s1, 32
	s_min_u32 s2, s0, s1
	s_lshl_b64 s[0:1], s[18:19], s2
	s_min_u32 s0, s0, 1
	s_or_b32 s0, s1, s0
	v_cvt_f32_i32_e32 v1, s0
	s_sub_i32 s0, 32, s2
	v_and_b32_e32 v16, 0x3ff, v0
	v_bfe_u32 v17, v0, 10, 10
	v_ldexp_f32 v2, v1, s0
	v_div_scale_f32 v1, s[0:1], v2, v2, 1.0
	v_rcp_f32_e32 v3, v1
	s_mul_i32 s42, s40, s41
	v_mad_u32_u24 v0, v17, s41, v16
	s_ashr_i32 s43, s42, 31
	v_fma_f32 v4, -v1, v3, 1.0
	v_fmac_f32_e32 v3, v4, v3
	v_div_scale_f32 v4, vcc, 1.0, v2, 1.0
	v_mul_f32_e32 v5, v4, v3
	v_fma_f32 v6, -v1, v5, v4
	v_fmac_f32_e32 v5, v6, v3
	v_fma_f32 v1, -v1, v5, v4
	v_div_fmas_f32 v1, v1, v3, v5
	v_add_u32_e32 v3, s42, v0
	v_ashrrev_i32_e32 v5, 31, v3
	v_mov_b32_e32 v6, s43
	v_subrev_co_u32_e32 v4, vcc, s42, v3
	v_cndmask_b32_e64 v3, 0, 1, s[6:7]
	v_cmp_gt_i64_e64 s[6:7], s[18:19], 0
	v_subb_co_u32_e32 v5, vcc, v5, v6, vcc
	v_cndmask_b32_e64 v6, 0, 1, s[6:7]
	v_cmp_ne_u32_e64 s[6:7], 1, v3
	v_mbcnt_lo_u32_b32 v3, -1, 0
	v_mbcnt_hi_u32_b32 v21, -1, v3
	v_div_fixup_f32 v20, v1, v2, 1.0
	v_mov_b32_e32 v1, 0
	v_and_b32_e32 v3, 64, v21
	v_lshl_add_u32 v18, v0, 3, 0
	v_cmp_eq_u32_e64 s[0:1], 0, v17
	v_cmp_ne_u32_e64 s[2:3], 0, v17
	v_lshl_add_u32 v19, v16, 3, 0
	v_cmp_gt_i64_e64 s[4:5], s[18:19], v[0:1]
	s_movk_i32 s44, 0x7fff
	v_cmp_ne_u32_e64 s[8:9], 1, v6
	v_pk_mov_b32 v[6:7], s[18:19], s[18:19] op_sel:[0,1]
	v_pk_mov_b32 v[8:9], s[18:19], s[18:19] op_sel:[0,1]
	v_cmp_gt_u16_e64 s[30:31], s10, 1
	v_add_u32_e32 v22, 64, v3
	v_cmp_gt_u16_e64 s[34:35], s40, 1
	v_mov_b32_e32 v23, 0x7fc0
	s_branch .LBB185_4
.LBB185_2:                              ;   in Loop: Header=BB185_4 Depth=1
	s_or_b64 exec, exec, s[12:13]
.LBB185_3:                              ;   in Loop: Header=BB185_4 Depth=1
	s_add_i32 s14, s33, s14
	s_ashr_i32 s15, s14, 31
	v_pk_mov_b32 v[10:11], s[16:17], s[16:17] op_sel:[0,1]
	v_cmp_ge_i64_e32 vcc, s[14:15], v[10:11]
	s_barrier
	s_cbranch_vccnz .LBB185_49
.LBB185_4:                              ; =>This Loop Header: Depth=1
                                        ;     Child Loop BB185_8 Depth 2
                                        ;     Child Loop BB185_20 Depth 2
	;; [unrolled: 1-line block ×6, first 2 shown]
	s_mul_i32 s10, s14, s19
	s_mul_hi_u32 s11, s14, s18
	s_add_i32 s10, s11, s10
	s_mul_i32 s11, s15, s18
	s_add_i32 s11, s10, s11
	s_lshl_b64 s[12:13], s[14:15], 2
	s_add_u32 s12, s28, s12
	s_mul_i32 s10, s14, s18
	s_addc_u32 s13, s29, s13
	s_load_dword s48, s[12:13], 0x0
	s_lshl_b64 s[36:37], s[10:11], 1
	s_add_u32 s15, s26, s36
	s_addc_u32 s45, s27, s37
	s_add_u32 s46, s24, s36
	s_addc_u32 s47, s25, s37
	s_and_b64 vcc, exec, s[6:7]
	s_cbranch_vccnz .LBB185_14
; %bb.5:                                ;   in Loop: Header=BB185_4 Depth=1
	s_and_b64 vcc, exec, s[8:9]
	s_cbranch_vccnz .LBB185_15
; %bb.6:                                ;   in Loop: Header=BB185_4 Depth=1
	s_mov_b32 s12, 0
	v_mov_b32_e32 v11, 0
	s_branch .LBB185_8
.LBB185_7:                              ;   in Loop: Header=BB185_8 Depth=2
	s_or_b64 exec, exec, s[10:11]
	s_waitcnt vmcnt(0)
	v_lshlrev_b32_e32 v3, 16, v3
	v_lshlrev_b32_e32 v10, 16, v10
	s_add_i32 s12, s12, s42
	v_lshlrev_b32_e32 v12, 16, v14
	v_mul_f32_e32 v3, v3, v10
	s_ashr_i32 s13, s12, 31
	v_mul_f32_e32 v3, v3, v12
	v_cmp_ge_i64_e32 vcc, s[12:13], v[6:7]
	s_waitcnt lgkmcnt(0)
	v_fmac_f32_e32 v11, s48, v3
	s_cbranch_vccnz .LBB185_16
.LBB185_8:                              ;   Parent Loop BB185_4 Depth=1
                                        ; =>  This Inner Loop Header: Depth=2
	v_add_u32_e32 v12, s12, v0
	v_ashrrev_i32_e32 v13, 31, v12
	v_cmp_gt_i64_e32 vcc, s[18:19], v[12:13]
	v_lshlrev_b64 v[12:13], 1, v[12:13]
	v_mov_b32_e32 v3, 0
	s_and_saveexec_b64 s[38:39], vcc
	s_cbranch_execz .LBB185_10
; %bb.9:                                ;   in Loop: Header=BB185_8 Depth=2
	v_mov_b32_e32 v3, s21
	v_add_co_u32_e64 v14, s[10:11], s20, v12
	v_addc_co_u32_e64 v15, s[10:11], v3, v13, s[10:11]
	global_load_ushort v3, v[14:15], off
.LBB185_10:                             ;   in Loop: Header=BB185_8 Depth=2
	s_or_b64 exec, exec, s[38:39]
	v_mov_b32_e32 v10, 0
	v_mov_b32_e32 v14, 0
	s_and_saveexec_b64 s[38:39], vcc
	s_cbranch_execz .LBB185_12
; %bb.11:                               ;   in Loop: Header=BB185_8 Depth=2
	v_mov_b32_e32 v15, s45
	v_add_co_u32_e64 v14, s[10:11], s15, v12
	v_addc_co_u32_e64 v15, s[10:11], v15, v13, s[10:11]
	global_load_ushort v14, v[14:15], off
.LBB185_12:                             ;   in Loop: Header=BB185_8 Depth=2
	s_or_b64 exec, exec, s[38:39]
	s_and_saveexec_b64 s[10:11], vcc
	s_cbranch_execz .LBB185_7
; %bb.13:                               ;   in Loop: Header=BB185_8 Depth=2
	v_mov_b32_e32 v10, s47
	v_add_co_u32_e32 v12, vcc, s46, v12
	v_addc_co_u32_e32 v13, vcc, v10, v13, vcc
	global_load_ushort v10, v[12:13], off
	s_branch .LBB185_7
.LBB185_14:                             ;   in Loop: Header=BB185_4 Depth=1
                                        ; implicit-def: $vgpr11
	s_branch .LBB185_17
.LBB185_15:                             ;   in Loop: Header=BB185_4 Depth=1
	v_mov_b32_e32 v11, 0
.LBB185_16:                             ;   in Loop: Header=BB185_4 Depth=1
	s_cbranch_execnz .LBB185_25
.LBB185_17:                             ;   in Loop: Header=BB185_4 Depth=1
	s_and_b64 vcc, exec, s[8:9]
	s_cbranch_vccnz .LBB185_24
; %bb.18:                               ;   in Loop: Header=BB185_4 Depth=1
	s_mov_b32 s12, 0
	v_mov_b32_e32 v11, 0
	s_branch .LBB185_20
.LBB185_19:                             ;   in Loop: Header=BB185_20 Depth=2
	s_or_b64 exec, exec, s[10:11]
	s_add_i32 s12, s12, s42
	s_waitcnt vmcnt(0)
	v_lshlrev_b32_e32 v3, 16, v3
	v_lshlrev_b32_e32 v10, 16, v10
	s_ashr_i32 s13, s12, 31
	v_mul_f32_e32 v3, v3, v10
	v_cmp_ge_i64_e32 vcc, s[12:13], v[8:9]
	s_waitcnt lgkmcnt(0)
	v_fmac_f32_e32 v11, s48, v3
	s_cbranch_vccnz .LBB185_25
.LBB185_20:                             ;   Parent Loop BB185_4 Depth=1
                                        ; =>  This Inner Loop Header: Depth=2
	v_add_u32_e32 v12, s12, v0
	v_ashrrev_i32_e32 v13, 31, v12
	v_cmp_gt_i64_e32 vcc, s[18:19], v[12:13]
	v_lshlrev_b64 v[12:13], 1, v[12:13]
	v_mov_b32_e32 v3, 0
	s_and_saveexec_b64 s[38:39], vcc
	s_cbranch_execz .LBB185_22
; %bb.21:                               ;   in Loop: Header=BB185_20 Depth=2
	v_mov_b32_e32 v3, s45
	v_add_co_u32_e64 v14, s[10:11], s15, v12
	v_addc_co_u32_e64 v15, s[10:11], v3, v13, s[10:11]
	global_load_ushort v3, v[14:15], off
.LBB185_22:                             ;   in Loop: Header=BB185_20 Depth=2
	s_or_b64 exec, exec, s[38:39]
	v_mov_b32_e32 v10, 0
	s_and_saveexec_b64 s[10:11], vcc
	s_cbranch_execz .LBB185_19
; %bb.23:                               ;   in Loop: Header=BB185_20 Depth=2
	v_mov_b32_e32 v10, s47
	v_add_co_u32_e32 v12, vcc, s46, v12
	v_addc_co_u32_e32 v13, vcc, v10, v13, vcc
	global_load_ushort v10, v[12:13], off
	s_branch .LBB185_19
.LBB185_24:                             ;   in Loop: Header=BB185_4 Depth=1
	v_mov_b32_e32 v11, 0
.LBB185_25:                             ;   in Loop: Header=BB185_4 Depth=1
	s_andn2_b64 vcc, exec, s[30:31]
	s_cbranch_vccnz .LBB185_28
; %bb.26:                               ;   in Loop: Header=BB185_4 Depth=1
	s_mov_b32 s10, s41
.LBB185_27:                             ;   Parent Loop BB185_4 Depth=1
                                        ; =>  This Inner Loop Header: Depth=2
	s_lshr_b32 s11, s10, 1
	v_xor_b32_e32 v3, s11, v21
	v_cmp_lt_i32_e32 vcc, v3, v22
	v_cndmask_b32_e32 v3, v21, v3, vcc
	v_lshlrev_b32_e32 v3, 2, v3
	ds_bpermute_b32 v3, v3, v11
	s_cmp_lt_u32 s10, 4
	s_mov_b32 s10, s11
	s_waitcnt lgkmcnt(0)
	v_add_f32_e32 v11, v11, v3
	s_cbranch_scc0 .LBB185_27
.LBB185_28:                             ;   in Loop: Header=BB185_4 Depth=1
	s_andn2_b64 vcc, exec, s[34:35]
	s_mov_b32 s38, s40
	s_cbranch_vccnz .LBB185_40
.LBB185_29:                             ;   Parent Loop BB185_4 Depth=1
                                        ; =>  This Inner Loop Header: Depth=2
	s_lshr_b32 s39, s38, 1
	s_and_b32 s12, s38, 0xfffe
	v_cmp_le_u32_e64 s[10:11], s39, v17
	v_cmp_gt_u32_e64 s[12:13], s12, v17
	v_cmp_gt_u32_e32 vcc, s39, v17
	s_and_b64 s[12:13], s[10:11], s[12:13]
	s_and_saveexec_b64 s[10:11], s[12:13]
	s_cbranch_execz .LBB185_31
; %bb.30:                               ;   in Loop: Header=BB185_29 Depth=2
	v_subrev_u32_e32 v3, s39, v17
	v_mad_i32_i24 v3, v3, s41, v16
	v_lshl_add_u32 v3, v3, 3, 0
	ds_write_b32 v3, v11 offset:4
.LBB185_31:                             ;   in Loop: Header=BB185_29 Depth=2
	s_or_b64 exec, exec, s[10:11]
	s_waitcnt lgkmcnt(0)
	s_barrier
	s_and_saveexec_b64 s[10:11], vcc
	s_cbranch_execz .LBB185_33
; %bb.32:                               ;   in Loop: Header=BB185_29 Depth=2
	ds_read_b32 v3, v18 offset:4
	s_waitcnt lgkmcnt(0)
	v_add_f32_e32 v11, v11, v3
.LBB185_33:                             ;   in Loop: Header=BB185_29 Depth=2
	s_or_b64 exec, exec, s[10:11]
	s_cmp_lt_u32 s38, 4
	s_barrier
	s_cbranch_scc1 .LBB185_35
; %bb.34:                               ;   in Loop: Header=BB185_29 Depth=2
	s_mov_b32 s38, s39
	s_branch .LBB185_29
.LBB185_35:                             ;   in Loop: Header=BB185_4 Depth=1
	s_and_saveexec_b64 s[10:11], s[0:1]
	s_cbranch_execz .LBB185_37
; %bb.36:                               ;   in Loop: Header=BB185_4 Depth=1
	ds_write_b32 v19, v11 offset:4
.LBB185_37:                             ;   in Loop: Header=BB185_4 Depth=1
	s_or_b64 exec, exec, s[10:11]
	s_waitcnt lgkmcnt(0)
	s_barrier
	s_and_saveexec_b64 s[10:11], s[2:3]
	s_cbranch_execz .LBB185_39
; %bb.38:                               ;   in Loop: Header=BB185_4 Depth=1
	ds_read_b32 v11, v19 offset:4
.LBB185_39:                             ;   in Loop: Header=BB185_4 Depth=1
	s_or_b64 exec, exec, s[10:11]
.LBB185_40:                             ;   in Loop: Header=BB185_4 Depth=1
	s_add_u32 s38, s22, s36
	s_addc_u32 s39, s23, s37
	s_and_b64 vcc, exec, s[6:7]
	s_waitcnt lgkmcnt(0)
	v_mul_f32_e32 v24, s48, v20
	s_cbranch_vccnz .LBB185_45
; %bb.41:                               ;   in Loop: Header=BB185_4 Depth=1
	s_and_saveexec_b64 s[10:11], s[4:5]
	s_cbranch_execz .LBB185_44
; %bb.42:                               ;   in Loop: Header=BB185_4 Depth=1
	v_mov_b32_e32 v3, s48
	s_mov_b64 s[12:13], 0
	v_pk_mov_b32 v[12:13], v[0:1], v[0:1] op_sel:[0,1]
.LBB185_43:                             ;   Parent Loop BB185_4 Depth=1
                                        ; =>  This Inner Loop Header: Depth=2
	v_lshlrev_b64 v[14:15], 1, v[12:13]
	v_mov_b32_e32 v10, s45
	v_add_co_u32_e32 v26, vcc, s15, v14
	v_addc_co_u32_e32 v27, vcc, v10, v15, vcc
	v_mov_b32_e32 v13, s47
	v_add_co_u32_e32 v28, vcc, s46, v14
	v_addc_co_u32_e32 v29, vcc, v13, v15, vcc
	v_mov_b32_e32 v25, s21
	v_add_co_u32_e32 v30, vcc, s20, v14
	v_addc_co_u32_e32 v31, vcc, v25, v15, vcc
	global_load_ushort v25, v[28:29], off
	global_load_ushort v32, v[26:27], off
	global_load_ushort v10, v[30:31], off
	v_mov_b32_e32 v13, s39
	v_add_u32_e32 v12, s42, v12
	v_add_co_u32_e32 v14, vcc, s38, v14
	v_addc_co_u32_e32 v15, vcc, v13, v15, vcc
	v_ashrrev_i32_e32 v13, 31, v12
	v_cmp_le_i64_e32 vcc, s[18:19], v[12:13]
	s_or_b64 s[12:13], vcc, s[12:13]
	s_waitcnt vmcnt(2)
	v_lshlrev_b32_e32 v26, 16, v25
	s_waitcnt vmcnt(1)
	v_lshlrev_b32_e32 v27, 16, v32
	;; [unrolled: 2-line block ×3, first 2 shown]
	v_pk_mul_f32 v[26:27], v[2:3], v[26:27]
	v_pk_mul_f32 v[26:27], v[26:27], v[10:11]
	v_sub_f32_e32 v10, v26, v27
	v_mul_f32_e32 v10, v24, v10
	v_bfe_u32 v25, v10, 16, 1
	v_add3_u32 v25, v10, v25, s44
	v_lshrrev_b32_e32 v25, 16, v25
	v_cmp_o_f32_e32 vcc, v10, v10
	v_cndmask_b32_e32 v10, v23, v25, vcc
	global_store_short v[14:15], v10, off
	s_andn2_b64 exec, exec, s[12:13]
	s_cbranch_execnz .LBB185_43
.LBB185_44:                             ;   in Loop: Header=BB185_4 Depth=1
	s_or_b64 exec, exec, s[10:11]
	s_cbranch_execnz .LBB185_3
	s_branch .LBB185_46
.LBB185_45:                             ;   in Loop: Header=BB185_4 Depth=1
.LBB185_46:                             ;   in Loop: Header=BB185_4 Depth=1
	s_and_saveexec_b64 s[12:13], s[4:5]
	s_cbranch_execz .LBB185_2
; %bb.47:                               ;   in Loop: Header=BB185_4 Depth=1
	v_mov_b32_e32 v3, s48
	s_mov_b64 s[36:37], 0
	v_pk_mov_b32 v[12:13], v[4:5], v[4:5] op_sel:[0,1]
	v_pk_mov_b32 v[14:15], v[0:1], v[0:1] op_sel:[0,1]
.LBB185_48:                             ;   Parent Loop BB185_4 Depth=1
                                        ; =>  This Inner Loop Header: Depth=2
	v_lshlrev_b64 v[14:15], 1, v[14:15]
	v_mov_b32_e32 v10, s45
	v_add_co_u32_e32 v26, vcc, s15, v14
	v_addc_co_u32_e32 v27, vcc, v10, v15, vcc
	v_mov_b32_e32 v25, s47
	v_add_co_u32_e32 v28, vcc, s46, v14
	v_addc_co_u32_e32 v29, vcc, v25, v15, vcc
	global_load_ushort v10, v[26:27], off
	global_load_ushort v25, v[28:29], off
	v_mov_b32_e32 v28, s43
	v_add_co_u32_e32 v12, vcc, s42, v12
	v_addc_co_u32_e32 v13, vcc, v13, v28, vcc
	v_cmp_le_i64_e32 vcc, s[18:19], v[12:13]
	v_mov_b32_e32 v27, s39
	v_add_co_u32_e64 v26, s[10:11], s38, v14
	s_or_b64 s[36:37], vcc, s[36:37]
	v_addc_co_u32_e64 v27, s[10:11], v27, v15, s[10:11]
	v_ashrrev_i32_e32 v15, 31, v12
	v_mov_b32_e32 v14, v12
	s_waitcnt vmcnt(1)
	v_lshlrev_b32_e32 v29, 16, v10
	s_waitcnt vmcnt(0)
	v_lshlrev_b32_e32 v28, 16, v25
	v_pk_mul_f32 v[28:29], v[2:3], v[28:29]
	v_fma_f32 v10, -v11, v29, v28
	v_mul_f32_e32 v10, v24, v10
	v_bfe_u32 v25, v10, 16, 1
	v_add3_u32 v25, v10, v25, s44
	v_lshrrev_b32_e32 v25, 16, v25
	v_cmp_o_f32_e32 vcc, v10, v10
	v_cndmask_b32_e32 v10, v23, v25, vcc
	global_store_short v[26:27], v10, off
	s_andn2_b64 exec, exec, s[36:37]
	s_cbranch_execnz .LBB185_48
	s_branch .LBB185_2
.LBB185_49:
	s_endpgm
	.section	.rodata,"a",@progbits
	.p2align	6, 0x0
	.amdhsa_kernel _ZN2at6native12_GLOBAL__N_118cuComputeGradInputIN3c108BFloat16EfLb1EEEvPKT_S7_llPKT0_SA_S7_PS5_
		.amdhsa_group_segment_fixed_size 0
		.amdhsa_private_segment_fixed_size 0
		.amdhsa_kernarg_size 320
		.amdhsa_user_sgpr_count 6
		.amdhsa_user_sgpr_private_segment_buffer 1
		.amdhsa_user_sgpr_dispatch_ptr 0
		.amdhsa_user_sgpr_queue_ptr 0
		.amdhsa_user_sgpr_kernarg_segment_ptr 1
		.amdhsa_user_sgpr_dispatch_id 0
		.amdhsa_user_sgpr_flat_scratch_init 0
		.amdhsa_user_sgpr_kernarg_preload_length 0
		.amdhsa_user_sgpr_kernarg_preload_offset 0
		.amdhsa_user_sgpr_private_segment_size 0
		.amdhsa_uses_dynamic_stack 0
		.amdhsa_system_sgpr_private_segment_wavefront_offset 0
		.amdhsa_system_sgpr_workgroup_id_x 1
		.amdhsa_system_sgpr_workgroup_id_y 1
		.amdhsa_system_sgpr_workgroup_id_z 0
		.amdhsa_system_sgpr_workgroup_info 0
		.amdhsa_system_vgpr_workitem_id 1
		.amdhsa_next_free_vgpr 33
		.amdhsa_next_free_sgpr 49
		.amdhsa_accum_offset 36
		.amdhsa_reserve_vcc 1
		.amdhsa_reserve_flat_scratch 0
		.amdhsa_float_round_mode_32 0
		.amdhsa_float_round_mode_16_64 0
		.amdhsa_float_denorm_mode_32 3
		.amdhsa_float_denorm_mode_16_64 3
		.amdhsa_dx10_clamp 1
		.amdhsa_ieee_mode 1
		.amdhsa_fp16_overflow 0
		.amdhsa_tg_split 0
		.amdhsa_exception_fp_ieee_invalid_op 0
		.amdhsa_exception_fp_denorm_src 0
		.amdhsa_exception_fp_ieee_div_zero 0
		.amdhsa_exception_fp_ieee_overflow 0
		.amdhsa_exception_fp_ieee_underflow 0
		.amdhsa_exception_fp_ieee_inexact 0
		.amdhsa_exception_int_div_zero 0
	.end_amdhsa_kernel
	.section	.text._ZN2at6native12_GLOBAL__N_118cuComputeGradInputIN3c108BFloat16EfLb1EEEvPKT_S7_llPKT0_SA_S7_PS5_,"axG",@progbits,_ZN2at6native12_GLOBAL__N_118cuComputeGradInputIN3c108BFloat16EfLb1EEEvPKT_S7_llPKT0_SA_S7_PS5_,comdat
.Lfunc_end185:
	.size	_ZN2at6native12_GLOBAL__N_118cuComputeGradInputIN3c108BFloat16EfLb1EEEvPKT_S7_llPKT0_SA_S7_PS5_, .Lfunc_end185-_ZN2at6native12_GLOBAL__N_118cuComputeGradInputIN3c108BFloat16EfLb1EEEvPKT_S7_llPKT0_SA_S7_PS5_
                                        ; -- End function
	.section	.AMDGPU.csdata,"",@progbits
; Kernel info:
; codeLenInByte = 1648
; NumSgprs: 53
; NumVgprs: 33
; NumAgprs: 0
; TotalNumVgprs: 33
; ScratchSize: 0
; MemoryBound: 0
; FloatMode: 240
; IeeeMode: 1
; LDSByteSize: 0 bytes/workgroup (compile time only)
; SGPRBlocks: 6
; VGPRBlocks: 4
; NumSGPRsForWavesPerEU: 53
; NumVGPRsForWavesPerEU: 33
; AccumOffset: 36
; Occupancy: 8
; WaveLimiterHint : 0
; COMPUTE_PGM_RSRC2:SCRATCH_EN: 0
; COMPUTE_PGM_RSRC2:USER_SGPR: 6
; COMPUTE_PGM_RSRC2:TRAP_HANDLER: 0
; COMPUTE_PGM_RSRC2:TGID_X_EN: 1
; COMPUTE_PGM_RSRC2:TGID_Y_EN: 1
; COMPUTE_PGM_RSRC2:TGID_Z_EN: 0
; COMPUTE_PGM_RSRC2:TIDIG_COMP_CNT: 1
; COMPUTE_PGM_RSRC3_GFX90A:ACCUM_OFFSET: 8
; COMPUTE_PGM_RSRC3_GFX90A:TG_SPLIT: 0
	.section	.text._ZN2at6native12_GLOBAL__N_128layer_norm_grad_input_kernelIN3c108BFloat16EfLb1EEEvPKT_S7_PKT0_SA_S7_PS5_i,"axG",@progbits,_ZN2at6native12_GLOBAL__N_128layer_norm_grad_input_kernelIN3c108BFloat16EfLb1EEEvPKT_S7_PKT0_SA_S7_PS5_i,comdat
	.globl	_ZN2at6native12_GLOBAL__N_128layer_norm_grad_input_kernelIN3c108BFloat16EfLb1EEEvPKT_S7_PKT0_SA_S7_PS5_i ; -- Begin function _ZN2at6native12_GLOBAL__N_128layer_norm_grad_input_kernelIN3c108BFloat16EfLb1EEEvPKT_S7_PKT0_SA_S7_PS5_i
	.p2align	8
	.type	_ZN2at6native12_GLOBAL__N_128layer_norm_grad_input_kernelIN3c108BFloat16EfLb1EEEvPKT_S7_PKT0_SA_S7_PS5_i,@function
_ZN2at6native12_GLOBAL__N_128layer_norm_grad_input_kernelIN3c108BFloat16EfLb1EEEvPKT_S7_PKT0_SA_S7_PS5_i: ; @_ZN2at6native12_GLOBAL__N_128layer_norm_grad_input_kernelIN3c108BFloat16EfLb1EEEvPKT_S7_PKT0_SA_S7_PS5_i
; %bb.0:
	s_load_dword s18, s[4:5], 0x30
	s_load_dwordx4 s[8:11], s[4:5], 0x0
	s_load_dwordx4 s[0:3], s[4:5], 0x18
	s_mov_b32 s7, 0
	v_lshlrev_b32_e32 v2, 2, v0
	s_waitcnt lgkmcnt(0)
	s_ashr_i32 s12, s18, 31
	s_mul_hi_u32 s13, s18, s6
	s_mul_i32 s12, s12, s6
	s_add_i32 s13, s13, s12
	s_mul_i32 s12, s18, s6
	s_lshl_b64 s[6:7], s[6:7], 2
	s_add_u32 s0, s0, s6
	s_addc_u32 s1, s1, s7
	s_load_dword s19, s[0:1], 0x0
	s_lshl_b64 s[6:7], s[12:13], 1
	s_add_u32 s20, s10, s6
	s_addc_u32 s22, s11, s7
	s_add_u32 s21, s8, s6
	v_or_b32_e32 v1, 3, v2
	s_addc_u32 s23, s9, s7
	v_cmp_gt_u32_e32 vcc, s18, v1
	v_mov_b32_e32 v1, 0
	s_and_saveexec_b64 s[12:13], vcc
	s_cbranch_execz .LBB186_12
; %bb.1:
	s_load_dword s0, s[4:5], 0x44
	s_cmp_lg_u64 s[2:3], 0
	s_cselect_b64 s[16:17], -1, 0
	v_cndmask_b32_e64 v1, 0, 1, s[16:17]
	s_mov_b64 s[14:15], 0
	s_waitcnt lgkmcnt(0)
	s_and_b32 s0, s0, 0xffff
	s_lshl_b32 s24, s0, 2
	s_add_u32 s25, s2, 2
	s_addc_u32 s26, s3, 0
	s_add_u32 s27, s2, 4
	s_addc_u32 s28, s3, 0
	s_add_u32 s29, s2, 6
	v_mov_b32_e32 v3, 0
	s_addc_u32 s30, s3, 0
	v_mov_b32_e32 v10, s22
	v_mov_b32_e32 v11, s23
	v_cmp_ne_u32_e64 s[0:1], 1, v1
	v_mov_b32_e32 v1, 0
	s_branch .LBB186_3
.LBB186_2:                              ;   in Loop: Header=BB186_3 Depth=1
	global_load_ushort v8, v[4:5], off offset:6
	global_load_ushort v9, v[6:7], off offset:6
	s_waitcnt vmcnt(6)
	v_lshlrev_b32_e32 v5, 16, v15
	v_lshlrev_b32_e32 v4, 16, v14
	s_waitcnt vmcnt(4)
	v_lshlrev_b32_e32 v7, 16, v19
	v_mul_f32_e32 v5, v13, v5
	v_lshlrev_b32_e32 v6, 16, v18
	v_mul_f32_e32 v7, v12, v7
	v_mul_f32_e32 v4, v5, v4
	s_waitcnt vmcnt(2)
	v_lshlrev_b32_e32 v15, 16, v21
	v_mul_f32_e32 v5, v7, v6
	v_fmac_f32_e32 v1, s19, v4
	v_lshlrev_b32_e32 v14, 16, v20
	v_add_u32_e32 v2, s24, v2
	v_mul_f32_e32 v12, v17, v15
	v_fmac_f32_e32 v1, s19, v5
	v_add_u32_e32 v13, 3, v2
	v_mul_f32_e32 v6, v12, v14
	v_cmp_le_u32_e32 vcc, s18, v13
	v_fmac_f32_e32 v1, s19, v6
	s_or_b64 s[14:15], vcc, s[14:15]
	s_waitcnt vmcnt(1)
	v_lshlrev_b32_e32 v4, 16, v8
	s_waitcnt vmcnt(0)
	v_lshlrev_b32_e32 v5, 16, v9
	v_mul_f32_e32 v5, v16, v5
	v_mul_f32_e32 v4, v5, v4
	v_fmac_f32_e32 v1, s19, v4
	s_andn2_b64 exec, exec, s[14:15]
	s_cbranch_execz .LBB186_11
.LBB186_3:                              ; =>This Inner Loop Header: Depth=1
	s_and_b64 vcc, exec, s[16:17]
	v_mov_b32_e32 v12, 1.0
	v_lshlrev_b64 v[8:9], 1, v[2:3]
	v_mov_b32_e32 v13, 1.0
	s_cbranch_vccz .LBB186_5
; %bb.4:                                ;   in Loop: Header=BB186_3 Depth=1
	v_mov_b32_e32 v5, s3
	v_add_co_u32_e32 v4, vcc, s2, v8
	v_addc_co_u32_e32 v5, vcc, v5, v9, vcc
	global_load_ushort v4, v[4:5], off
	s_waitcnt vmcnt(0)
	v_lshlrev_b32_e32 v13, 16, v4
.LBB186_5:                              ;   in Loop: Header=BB186_3 Depth=1
	v_add_co_u32_e32 v4, vcc, s20, v8
	v_addc_co_u32_e32 v5, vcc, v10, v9, vcc
	v_add_co_u32_e32 v6, vcc, s21, v8
	v_addc_co_u32_e32 v7, vcc, v11, v9, vcc
	global_load_ushort v14, v[4:5], off
	global_load_ushort v15, v[6:7], off
	s_and_b64 vcc, exec, s[0:1]
	s_cbranch_vccnz .LBB186_7
; %bb.6:                                ;   in Loop: Header=BB186_3 Depth=1
	v_mov_b32_e32 v12, s26
	v_add_co_u32_e32 v16, vcc, s25, v8
	v_addc_co_u32_e32 v17, vcc, v12, v9, vcc
	global_load_ushort v12, v[16:17], off
	s_waitcnt vmcnt(0)
	v_lshlrev_b32_e32 v12, 16, v12
.LBB186_7:                              ;   in Loop: Header=BB186_3 Depth=1
	global_load_ushort v18, v[4:5], off offset:2
	global_load_ushort v19, v[6:7], off offset:2
	s_and_b64 vcc, exec, s[0:1]
	v_mov_b32_e32 v16, 1.0
	v_mov_b32_e32 v17, 1.0
	s_cbranch_vccnz .LBB186_9
; %bb.8:                                ;   in Loop: Header=BB186_3 Depth=1
	v_mov_b32_e32 v17, s28
	v_add_co_u32_e32 v20, vcc, s27, v8
	v_addc_co_u32_e32 v21, vcc, v17, v9, vcc
	global_load_ushort v17, v[20:21], off
	s_waitcnt vmcnt(0)
	v_lshlrev_b32_e32 v17, 16, v17
.LBB186_9:                              ;   in Loop: Header=BB186_3 Depth=1
	global_load_ushort v20, v[4:5], off offset:4
	global_load_ushort v21, v[6:7], off offset:4
	s_and_b64 vcc, exec, s[0:1]
	s_cbranch_vccnz .LBB186_2
; %bb.10:                               ;   in Loop: Header=BB186_3 Depth=1
	v_mov_b32_e32 v16, s30
	v_add_co_u32_e32 v8, vcc, s29, v8
	v_addc_co_u32_e32 v9, vcc, v16, v9, vcc
	global_load_ushort v8, v[8:9], off
	s_waitcnt vmcnt(0)
	v_lshlrev_b32_e32 v16, 16, v8
	s_branch .LBB186_2
.LBB186_11:
	s_or_b64 exec, exec, s[14:15]
.LBB186_12:
	s_or_b64 exec, exec, s[12:13]
	v_cmp_gt_u32_e32 vcc, s18, v2
	s_and_saveexec_b64 s[12:13], vcc
	s_cbranch_execz .LBB186_19
; %bb.13:
	v_mov_b32_e32 v3, 0
	v_lshlrev_b64 v[6:7], 1, v[2:3]
	v_mov_b32_e32 v3, s3
	v_add_co_u32_e32 v4, vcc, s2, v6
	v_addc_co_u32_e32 v5, vcc, v3, v7, vcc
	v_mov_b32_e32 v3, s7
	v_add_co_u32_e32 v8, vcc, s6, v6
	v_addc_co_u32_e32 v3, vcc, v3, v7, vcc
	v_mov_b32_e32 v7, s11
	v_add_co_u32_e32 v6, vcc, s10, v8
	s_cmp_lg_u64 s[2:3], 0
	v_addc_co_u32_e32 v7, vcc, v7, v3, vcc
	v_mov_b32_e32 v9, s9
	v_add_co_u32_e32 v8, vcc, s8, v8
	s_cselect_b64 s[0:1], -1, 0
	v_addc_co_u32_e32 v9, vcc, v9, v3, vcc
	v_cndmask_b32_e64 v3, 0, 1, s[0:1]
	s_mov_b64 s[14:15], 0
	v_cmp_ne_u32_e64 s[0:1], 1, v3
	s_branch .LBB186_16
.LBB186_14:                             ;   in Loop: Header=BB186_16 Depth=1
	global_load_ushort v3, v[4:5], off
	s_waitcnt vmcnt(0)
	v_lshlrev_b32_e32 v3, 16, v3
.LBB186_15:                             ;   in Loop: Header=BB186_16 Depth=1
	global_load_ushort v10, v[6:7], off
	global_load_ushort v11, v[8:9], off
	v_add_co_u32_e32 v4, vcc, 2, v4
	v_addc_co_u32_e32 v5, vcc, 0, v5, vcc
	v_add_co_u32_e32 v6, vcc, 2, v6
	v_add_u32_e32 v2, 1, v2
	v_addc_co_u32_e32 v7, vcc, 0, v7, vcc
	v_cmp_le_u32_e32 vcc, s18, v2
	s_or_b64 s[14:15], vcc, s[14:15]
	v_add_co_u32_e32 v8, vcc, 2, v8
	v_addc_co_u32_e32 v9, vcc, 0, v9, vcc
	s_waitcnt vmcnt(1)
	v_lshlrev_b32_e32 v10, 16, v10
	s_waitcnt vmcnt(0)
	v_lshlrev_b32_e32 v11, 16, v11
	v_mul_f32_e32 v3, v3, v11
	v_mul_f32_e32 v3, v3, v10
	s_waitcnt lgkmcnt(0)
	v_fmac_f32_e32 v1, s19, v3
	s_andn2_b64 exec, exec, s[14:15]
	s_cbranch_execz .LBB186_18
.LBB186_16:                             ; =>This Inner Loop Header: Depth=1
	s_and_b64 vcc, exec, s[0:1]
	s_cbranch_vccz .LBB186_14
; %bb.17:                               ;   in Loop: Header=BB186_16 Depth=1
	v_mov_b32_e32 v3, 1.0
	s_branch .LBB186_15
.LBB186_18:
	s_or_b64 exec, exec, s[14:15]
.LBB186_19:
	s_or_b64 exec, exec, s[12:13]
	v_mbcnt_lo_u32_b32 v2, -1, 0
	v_mbcnt_hi_u32_b32 v6, -1, v2
	v_and_b32_e32 v9, 63, v6
	v_cmp_gt_u32_e32 vcc, 32, v9
	v_cndmask_b32_e64 v2, 0, 1, vcc
	v_lshlrev_b32_e32 v2, 5, v2
	v_add_lshl_u32 v2, v2, v6, 2
	ds_bpermute_b32 v3, v2, v1
	v_cmp_gt_u32_e32 vcc, 48, v9
	v_cndmask_b32_e64 v4, 0, 1, vcc
	v_lshlrev_b32_e32 v4, 4, v4
	v_cmp_gt_u32_e32 vcc, 56, v9
	s_waitcnt lgkmcnt(0)
	v_add_f32_e32 v3, v1, v3
	v_add_lshl_u32 v1, v4, v6, 2
	ds_bpermute_b32 v4, v1, v3
	v_cndmask_b32_e64 v5, 0, 1, vcc
	v_lshlrev_b32_e32 v5, 3, v5
	v_cmp_gt_u32_e32 vcc, 60, v9
	v_cndmask_b32_e64 v7, 0, 1, vcc
	s_waitcnt lgkmcnt(0)
	v_add_f32_e32 v4, v3, v4
	v_add_lshl_u32 v3, v5, v6, 2
	ds_bpermute_b32 v5, v3, v4
	v_lshlrev_b32_e32 v7, 2, v7
	v_cmp_gt_u32_e32 vcc, 62, v9
	v_cndmask_b32_e64 v8, 0, 1, vcc
	v_lshlrev_b32_e32 v8, 1, v8
	s_waitcnt lgkmcnt(0)
	v_add_f32_e32 v5, v4, v5
	v_add_lshl_u32 v4, v7, v6, 2
	ds_bpermute_b32 v7, v4, v5
	v_cmp_ne_u32_e32 vcc, 63, v9
	s_waitcnt lgkmcnt(0)
	s_barrier
	v_add_f32_e32 v10, v5, v7
	v_add_lshl_u32 v5, v8, v6, 2
	ds_bpermute_b32 v8, v5, v10
	v_addc_co_u32_e32 v6, vcc, 0, v6, vcc
	v_lshlrev_b32_e32 v6, 2, v6
	v_and_b32_e32 v7, 63, v0
	s_waitcnt lgkmcnt(0)
	v_add_f32_e32 v8, v10, v8
	ds_bpermute_b32 v9, v6, v8
	v_cmp_eq_u32_e32 vcc, 0, v7
	s_and_saveexec_b64 s[0:1], vcc
	s_cbranch_execz .LBB186_21
; %bb.20:
	v_lshrrev_b32_e32 v10, 4, v0
	v_add_u32_e32 v10, 0, v10
	s_waitcnt lgkmcnt(0)
	v_add_f32_e32 v8, v8, v9
	ds_write_b32 v10, v8
.LBB186_21:
	s_or_b64 exec, exec, s[0:1]
	s_waitcnt lgkmcnt(0)
	s_barrier
	s_load_dword s8, s[4:5], 0x44
	v_mov_b32_e32 v8, 0
	s_waitcnt lgkmcnt(0)
	s_bfe_u32 s0, s8, 0xa0006
	v_cmp_gt_u32_e32 vcc, s0, v0
	s_and_saveexec_b64 s[0:1], vcc
	s_cbranch_execnz .LBB186_32
; %bb.22:
	s_or_b64 exec, exec, s[0:1]
	v_cmp_gt_u32_e32 vcc, 64, v0
	s_and_saveexec_b64 s[0:1], vcc
	s_cbranch_execnz .LBB186_33
.LBB186_23:
	s_or_b64 exec, exec, s[0:1]
	v_cmp_eq_u32_e32 vcc, 0, v0
	s_and_saveexec_b64 s[0:1], vcc
	s_cbranch_execz .LBB186_25
.LBB186_24:
	v_mov_b32_e32 v1, 0
	s_waitcnt lgkmcnt(0)
	ds_write_b32 v1, v8 offset:4
.LBB186_25:
	s_or_b64 exec, exec, s[0:1]
	v_cmp_gt_i32_e32 vcc, s18, v0
	s_waitcnt lgkmcnt(0)
	s_barrier
	s_and_saveexec_b64 s[0:1], vcc
	s_cbranch_execz .LBB186_31
; %bb.26:
	v_cvt_f32_i32_e32 v4, s18
	v_mov_b32_e32 v1, 0
	ds_read_b32 v5, v1 offset:4
	s_and_b32 s8, s8, 0xffff
	v_div_scale_f32 v2, s[0:1], v4, v4, 1.0
	v_rcp_f32_e32 v3, v2
	s_load_dwordx2 s[0:1], s[4:5], 0x28
	v_div_scale_f32 v1, vcc, 1.0, v4, 1.0
	v_fma_f32 v6, -v2, v3, 1.0
	v_fmac_f32_e32 v3, v6, v3
	v_mul_f32_e32 v6, v1, v3
	v_fma_f32 v7, -v2, v6, v1
	v_fmac_f32_e32 v6, v7, v3
	s_waitcnt lgkmcnt(0)
	s_add_u32 s6, s0, s6
	v_fma_f32 v1, -v2, v6, v1
	s_addc_u32 s9, s1, s7
	v_div_fmas_f32 v1, v1, v3, v6
	s_cmp_lg_u64 s[2:3], 0
	v_div_fixup_f32 v1, v1, v4, 1.0
	s_cselect_b64 s[0:1], -1, 0
	v_mul_f32_e32 v6, s19, v1
	v_cndmask_b32_e64 v1, 0, 1, s[0:1]
	s_mov_b64 s[4:5], 0
	v_mov_b32_e32 v7, s22
	v_mov_b32_e32 v8, s23
	v_cmp_ne_u32_e64 s[0:1], 1, v1
	s_movk_i32 s7, 0x7fff
	v_mov_b32_e32 v9, 0x7fc0
	v_mov_b32_e32 v10, s9
	s_branch .LBB186_29
.LBB186_27:                             ;   in Loop: Header=BB186_29 Depth=1
	v_mov_b32_e32 v13, s3
	v_add_co_u32_e32 v12, vcc, s2, v2
	v_addc_co_u32_e32 v13, vcc, v13, v3, vcc
	global_load_ushort v12, v[12:13], off
	s_waitcnt vmcnt(0)
	v_lshlrev_b32_e32 v12, 16, v12
.LBB186_28:                             ;   in Loop: Header=BB186_29 Depth=1
	s_waitcnt vmcnt(1)
	v_lshlrev_b32_e32 v1, 16, v1
	v_mul_f32_e32 v1, s19, v1
	v_mul_f32_e32 v12, v12, v4
	s_waitcnt vmcnt(0)
	v_lshlrev_b32_e32 v11, 16, v11
	v_mul_f32_e32 v1, v5, v1
	v_fma_f32 v1, v12, v11, -v1
	v_mul_f32_e32 v1, v6, v1
	v_bfe_u32 v11, v1, 16, 1
	v_add3_u32 v11, v1, v11, s7
	v_lshrrev_b32_e32 v11, 16, v11
	v_cmp_o_f32_e32 vcc, v1, v1
	v_cndmask_b32_e32 v1, v9, v11, vcc
	v_add_co_u32_e32 v2, vcc, s6, v2
	v_addc_co_u32_e32 v3, vcc, v10, v3, vcc
	v_add_u32_e32 v0, s8, v0
	v_cmp_le_i32_e32 vcc, s18, v0
	s_or_b64 s[4:5], vcc, s[4:5]
	global_store_short v[2:3], v1, off
	s_andn2_b64 exec, exec, s[4:5]
	s_cbranch_execz .LBB186_31
.LBB186_29:                             ; =>This Inner Loop Header: Depth=1
	v_ashrrev_i32_e32 v1, 31, v0
	v_lshlrev_b64 v[2:3], 1, v[0:1]
	v_add_co_u32_e32 v12, vcc, s20, v2
	v_addc_co_u32_e32 v13, vcc, v7, v3, vcc
	global_load_ushort v1, v[12:13], off
	v_add_co_u32_e32 v12, vcc, s21, v2
	v_addc_co_u32_e32 v13, vcc, v8, v3, vcc
	global_load_ushort v11, v[12:13], off
	s_and_b64 vcc, exec, s[0:1]
	s_cbranch_vccz .LBB186_27
; %bb.30:                               ;   in Loop: Header=BB186_29 Depth=1
	v_mov_b32_e32 v12, 1.0
	s_branch .LBB186_28
.LBB186_31:
	s_endpgm
.LBB186_32:
	v_lshl_add_u32 v7, v7, 2, 0
	ds_read_b32 v8, v7
	s_or_b64 exec, exec, s[0:1]
	v_cmp_gt_u32_e32 vcc, 64, v0
	s_and_saveexec_b64 s[0:1], vcc
	s_cbranch_execz .LBB186_23
.LBB186_33:
	s_waitcnt lgkmcnt(0)
	ds_bpermute_b32 v2, v2, v8
	s_waitcnt lgkmcnt(0)
	v_add_f32_e32 v2, v8, v2
	ds_bpermute_b32 v1, v1, v2
	s_waitcnt lgkmcnt(0)
	v_add_f32_e32 v1, v2, v1
	;; [unrolled: 3-line block ×6, first 2 shown]
	s_or_b64 exec, exec, s[0:1]
	v_cmp_eq_u32_e32 vcc, 0, v0
	s_and_saveexec_b64 s[0:1], vcc
	s_cbranch_execnz .LBB186_24
	s_branch .LBB186_25
	.section	.rodata,"a",@progbits
	.p2align	6, 0x0
	.amdhsa_kernel _ZN2at6native12_GLOBAL__N_128layer_norm_grad_input_kernelIN3c108BFloat16EfLb1EEEvPKT_S7_PKT0_SA_S7_PS5_i
		.amdhsa_group_segment_fixed_size 0
		.amdhsa_private_segment_fixed_size 0
		.amdhsa_kernarg_size 312
		.amdhsa_user_sgpr_count 6
		.amdhsa_user_sgpr_private_segment_buffer 1
		.amdhsa_user_sgpr_dispatch_ptr 0
		.amdhsa_user_sgpr_queue_ptr 0
		.amdhsa_user_sgpr_kernarg_segment_ptr 1
		.amdhsa_user_sgpr_dispatch_id 0
		.amdhsa_user_sgpr_flat_scratch_init 0
		.amdhsa_user_sgpr_kernarg_preload_length 0
		.amdhsa_user_sgpr_kernarg_preload_offset 0
		.amdhsa_user_sgpr_private_segment_size 0
		.amdhsa_uses_dynamic_stack 0
		.amdhsa_system_sgpr_private_segment_wavefront_offset 0
		.amdhsa_system_sgpr_workgroup_id_x 1
		.amdhsa_system_sgpr_workgroup_id_y 0
		.amdhsa_system_sgpr_workgroup_id_z 0
		.amdhsa_system_sgpr_workgroup_info 0
		.amdhsa_system_vgpr_workitem_id 0
		.amdhsa_next_free_vgpr 22
		.amdhsa_next_free_sgpr 31
		.amdhsa_accum_offset 24
		.amdhsa_reserve_vcc 1
		.amdhsa_reserve_flat_scratch 0
		.amdhsa_float_round_mode_32 0
		.amdhsa_float_round_mode_16_64 0
		.amdhsa_float_denorm_mode_32 3
		.amdhsa_float_denorm_mode_16_64 3
		.amdhsa_dx10_clamp 1
		.amdhsa_ieee_mode 1
		.amdhsa_fp16_overflow 0
		.amdhsa_tg_split 0
		.amdhsa_exception_fp_ieee_invalid_op 0
		.amdhsa_exception_fp_denorm_src 0
		.amdhsa_exception_fp_ieee_div_zero 0
		.amdhsa_exception_fp_ieee_overflow 0
		.amdhsa_exception_fp_ieee_underflow 0
		.amdhsa_exception_fp_ieee_inexact 0
		.amdhsa_exception_int_div_zero 0
	.end_amdhsa_kernel
	.section	.text._ZN2at6native12_GLOBAL__N_128layer_norm_grad_input_kernelIN3c108BFloat16EfLb1EEEvPKT_S7_PKT0_SA_S7_PS5_i,"axG",@progbits,_ZN2at6native12_GLOBAL__N_128layer_norm_grad_input_kernelIN3c108BFloat16EfLb1EEEvPKT_S7_PKT0_SA_S7_PS5_i,comdat
.Lfunc_end186:
	.size	_ZN2at6native12_GLOBAL__N_128layer_norm_grad_input_kernelIN3c108BFloat16EfLb1EEEvPKT_S7_PKT0_SA_S7_PS5_i, .Lfunc_end186-_ZN2at6native12_GLOBAL__N_128layer_norm_grad_input_kernelIN3c108BFloat16EfLb1EEEvPKT_S7_PKT0_SA_S7_PS5_i
                                        ; -- End function
	.section	.AMDGPU.csdata,"",@progbits
; Kernel info:
; codeLenInByte = 1760
; NumSgprs: 35
; NumVgprs: 22
; NumAgprs: 0
; TotalNumVgprs: 22
; ScratchSize: 0
; MemoryBound: 0
; FloatMode: 240
; IeeeMode: 1
; LDSByteSize: 0 bytes/workgroup (compile time only)
; SGPRBlocks: 4
; VGPRBlocks: 2
; NumSGPRsForWavesPerEU: 35
; NumVGPRsForWavesPerEU: 22
; AccumOffset: 24
; Occupancy: 8
; WaveLimiterHint : 0
; COMPUTE_PGM_RSRC2:SCRATCH_EN: 0
; COMPUTE_PGM_RSRC2:USER_SGPR: 6
; COMPUTE_PGM_RSRC2:TRAP_HANDLER: 0
; COMPUTE_PGM_RSRC2:TGID_X_EN: 1
; COMPUTE_PGM_RSRC2:TGID_Y_EN: 0
; COMPUTE_PGM_RSRC2:TGID_Z_EN: 0
; COMPUTE_PGM_RSRC2:TIDIG_COMP_CNT: 0
; COMPUTE_PGM_RSRC3_GFX90A:ACCUM_OFFSET: 5
; COMPUTE_PGM_RSRC3_GFX90A:TG_SPLIT: 0
	.section	.text._ZN2at6native12_GLOBAL__N_133GammaBetaBackwardSimpleCUDAKernelIN3c108BFloat16EfLb1EEEvllPKT_S7_PKT0_SA_PS5_SB_,"axG",@progbits,_ZN2at6native12_GLOBAL__N_133GammaBetaBackwardSimpleCUDAKernelIN3c108BFloat16EfLb1EEEvllPKT_S7_PKT0_SA_PS5_SB_,comdat
	.globl	_ZN2at6native12_GLOBAL__N_133GammaBetaBackwardSimpleCUDAKernelIN3c108BFloat16EfLb1EEEvllPKT_S7_PKT0_SA_PS5_SB_ ; -- Begin function _ZN2at6native12_GLOBAL__N_133GammaBetaBackwardSimpleCUDAKernelIN3c108BFloat16EfLb1EEEvllPKT_S7_PKT0_SA_PS5_SB_
	.p2align	8
	.type	_ZN2at6native12_GLOBAL__N_133GammaBetaBackwardSimpleCUDAKernelIN3c108BFloat16EfLb1EEEvllPKT_S7_PKT0_SA_PS5_SB_,@function
_ZN2at6native12_GLOBAL__N_133GammaBetaBackwardSimpleCUDAKernelIN3c108BFloat16EfLb1EEEvllPKT_S7_PKT0_SA_PS5_SB_: ; @_ZN2at6native12_GLOBAL__N_133GammaBetaBackwardSimpleCUDAKernelIN3c108BFloat16EfLb1EEEvllPKT_S7_PKT0_SA_PS5_SB_
; %bb.0:
	s_load_dword s0, s[4:5], 0x4c
	s_load_dwordx8 s[8:15], s[4:5], 0x0
	v_mov_b32_e32 v1, 0
	v_mov_b32_e32 v2, s6
	s_waitcnt lgkmcnt(0)
	s_and_b32 s0, s0, 0xffff
	v_mad_u64_u32 v[2:3], s[0:1], s0, v2, v[0:1]
	v_cmp_gt_i64_e32 vcc, s[10:11], v[2:3]
	s_and_saveexec_b64 s[0:1], vcc
	s_cbranch_execz .LBB187_8
; %bb.1:
	s_load_dwordx4 s[4:7], s[4:5], 0x28
	v_cmp_lt_i64_e64 s[0:1], s[8:9], 1
	s_and_b64 vcc, exec, s[0:1]
	v_lshlrev_b64 v[2:3], 1, v[2:3]
	s_cbranch_vccnz .LBB187_6
; %bb.2:
	s_waitcnt lgkmcnt(0)
	s_cmp_lg_u64 s[6:7], 0
	s_cselect_b64 s[0:1], -1, 0
	s_lshl_b64 s[2:3], s[10:11], 1
	v_cndmask_b32_e64 v0, 0, 1, s[0:1]
	v_mov_b32_e32 v1, 0
	v_cmp_ne_u32_e64 s[0:1], 1, v0
	v_mov_b32_e32 v0, s3
	v_pk_mov_b32 v[4:5], v[2:3], v[2:3] op_sel:[0,1]
	s_branch .LBB187_4
.LBB187_3:                              ;   in Loop: Header=BB187_4 Depth=1
	s_add_u32 s8, s8, -1
	s_addc_u32 s9, s9, -1
	s_add_u32 s4, s4, 4
	s_addc_u32 s5, s5, 0
	v_add_co_u32_e32 v4, vcc, s2, v4
	v_add_f32_e32 v1, v1, v6
	s_cmp_eq_u64 s[8:9], 0
	v_addc_co_u32_e32 v5, vcc, v5, v0, vcc
	s_cbranch_scc1 .LBB187_6
.LBB187_4:                              ; =>This Inner Loop Header: Depth=1
	s_and_b64 vcc, exec, s[0:1]
	v_mov_b32_e32 v6, 0
	s_cbranch_vccnz .LBB187_3
; %bb.5:                                ;   in Loop: Header=BB187_4 Depth=1
	v_mov_b32_e32 v7, s13
	v_add_co_u32_e32 v6, vcc, s12, v4
	v_addc_co_u32_e32 v7, vcc, v7, v5, vcc
	v_mov_b32_e32 v9, s15
	v_add_co_u32_e32 v8, vcc, s14, v4
	v_addc_co_u32_e32 v9, vcc, v9, v5, vcc
	global_load_ushort v10, v[6:7], off
	global_load_ushort v11, v[8:9], off
	s_load_dword s3, s[4:5], 0x0
	s_waitcnt vmcnt(1)
	v_lshlrev_b32_e32 v6, 16, v10
	s_waitcnt vmcnt(0)
	v_lshlrev_b32_e32 v7, 16, v11
	v_mul_f32_e32 v6, v7, v6
	s_waitcnt lgkmcnt(0)
	v_mul_f32_e32 v6, s3, v6
	s_branch .LBB187_3
.LBB187_6:
	s_waitcnt lgkmcnt(0)
	s_cmp_lg_u64 s[6:7], 0
	s_cbranch_scc0 .LBB187_8
; %bb.7:
	v_bfe_u32 v0, v1, 16, 1
	s_movk_i32 s0, 0x7fff
	v_add3_u32 v0, v1, v0, s0
	v_lshrrev_b32_e32 v0, 16, v0
	v_mov_b32_e32 v4, 0x7fc0
	v_cmp_o_f32_e32 vcc, v1, v1
	v_cndmask_b32_e32 v4, v4, v0, vcc
	v_mov_b32_e32 v1, s7
	v_add_co_u32_e32 v0, vcc, s6, v2
	v_addc_co_u32_e32 v1, vcc, v1, v3, vcc
	global_store_short v[0:1], v4, off
.LBB187_8:
	s_endpgm
	.section	.rodata,"a",@progbits
	.p2align	6, 0x0
	.amdhsa_kernel _ZN2at6native12_GLOBAL__N_133GammaBetaBackwardSimpleCUDAKernelIN3c108BFloat16EfLb1EEEvllPKT_S7_PKT0_SA_PS5_SB_
		.amdhsa_group_segment_fixed_size 0
		.amdhsa_private_segment_fixed_size 0
		.amdhsa_kernarg_size 320
		.amdhsa_user_sgpr_count 6
		.amdhsa_user_sgpr_private_segment_buffer 1
		.amdhsa_user_sgpr_dispatch_ptr 0
		.amdhsa_user_sgpr_queue_ptr 0
		.amdhsa_user_sgpr_kernarg_segment_ptr 1
		.amdhsa_user_sgpr_dispatch_id 0
		.amdhsa_user_sgpr_flat_scratch_init 0
		.amdhsa_user_sgpr_kernarg_preload_length 0
		.amdhsa_user_sgpr_kernarg_preload_offset 0
		.amdhsa_user_sgpr_private_segment_size 0
		.amdhsa_uses_dynamic_stack 0
		.amdhsa_system_sgpr_private_segment_wavefront_offset 0
		.amdhsa_system_sgpr_workgroup_id_x 1
		.amdhsa_system_sgpr_workgroup_id_y 0
		.amdhsa_system_sgpr_workgroup_id_z 0
		.amdhsa_system_sgpr_workgroup_info 0
		.amdhsa_system_vgpr_workitem_id 0
		.amdhsa_next_free_vgpr 12
		.amdhsa_next_free_sgpr 16
		.amdhsa_accum_offset 12
		.amdhsa_reserve_vcc 1
		.amdhsa_reserve_flat_scratch 0
		.amdhsa_float_round_mode_32 0
		.amdhsa_float_round_mode_16_64 0
		.amdhsa_float_denorm_mode_32 3
		.amdhsa_float_denorm_mode_16_64 3
		.amdhsa_dx10_clamp 1
		.amdhsa_ieee_mode 1
		.amdhsa_fp16_overflow 0
		.amdhsa_tg_split 0
		.amdhsa_exception_fp_ieee_invalid_op 0
		.amdhsa_exception_fp_denorm_src 0
		.amdhsa_exception_fp_ieee_div_zero 0
		.amdhsa_exception_fp_ieee_overflow 0
		.amdhsa_exception_fp_ieee_underflow 0
		.amdhsa_exception_fp_ieee_inexact 0
		.amdhsa_exception_int_div_zero 0
	.end_amdhsa_kernel
	.section	.text._ZN2at6native12_GLOBAL__N_133GammaBetaBackwardSimpleCUDAKernelIN3c108BFloat16EfLb1EEEvllPKT_S7_PKT0_SA_PS5_SB_,"axG",@progbits,_ZN2at6native12_GLOBAL__N_133GammaBetaBackwardSimpleCUDAKernelIN3c108BFloat16EfLb1EEEvllPKT_S7_PKT0_SA_PS5_SB_,comdat
.Lfunc_end187:
	.size	_ZN2at6native12_GLOBAL__N_133GammaBetaBackwardSimpleCUDAKernelIN3c108BFloat16EfLb1EEEvllPKT_S7_PKT0_SA_PS5_SB_, .Lfunc_end187-_ZN2at6native12_GLOBAL__N_133GammaBetaBackwardSimpleCUDAKernelIN3c108BFloat16EfLb1EEEvllPKT_S7_PKT0_SA_PS5_SB_
                                        ; -- End function
	.section	.AMDGPU.csdata,"",@progbits
; Kernel info:
; codeLenInByte = 344
; NumSgprs: 20
; NumVgprs: 12
; NumAgprs: 0
; TotalNumVgprs: 12
; ScratchSize: 0
; MemoryBound: 0
; FloatMode: 240
; IeeeMode: 1
; LDSByteSize: 0 bytes/workgroup (compile time only)
; SGPRBlocks: 2
; VGPRBlocks: 1
; NumSGPRsForWavesPerEU: 20
; NumVGPRsForWavesPerEU: 12
; AccumOffset: 12
; Occupancy: 8
; WaveLimiterHint : 0
; COMPUTE_PGM_RSRC2:SCRATCH_EN: 0
; COMPUTE_PGM_RSRC2:USER_SGPR: 6
; COMPUTE_PGM_RSRC2:TRAP_HANDLER: 0
; COMPUTE_PGM_RSRC2:TGID_X_EN: 1
; COMPUTE_PGM_RSRC2:TGID_Y_EN: 0
; COMPUTE_PGM_RSRC2:TGID_Z_EN: 0
; COMPUTE_PGM_RSRC2:TIDIG_COMP_CNT: 0
; COMPUTE_PGM_RSRC3_GFX90A:ACCUM_OFFSET: 2
; COMPUTE_PGM_RSRC3_GFX90A:TG_SPLIT: 0
	.section	.text._ZN2at6native12_GLOBAL__N_135GammaBetaBackwardCUDAKernelTemplateIN3c108BFloat16EfLj64ELj1ELj32ELb1ELb1ELb1EEEvllPKT_S7_PKT0_SA_PS5_SB_,"axG",@progbits,_ZN2at6native12_GLOBAL__N_135GammaBetaBackwardCUDAKernelTemplateIN3c108BFloat16EfLj64ELj1ELj32ELb1ELb1ELb1EEEvllPKT_S7_PKT0_SA_PS5_SB_,comdat
	.globl	_ZN2at6native12_GLOBAL__N_135GammaBetaBackwardCUDAKernelTemplateIN3c108BFloat16EfLj64ELj1ELj32ELb1ELb1ELb1EEEvllPKT_S7_PKT0_SA_PS5_SB_ ; -- Begin function _ZN2at6native12_GLOBAL__N_135GammaBetaBackwardCUDAKernelTemplateIN3c108BFloat16EfLj64ELj1ELj32ELb1ELb1ELb1EEEvllPKT_S7_PKT0_SA_PS5_SB_
	.p2align	8
	.type	_ZN2at6native12_GLOBAL__N_135GammaBetaBackwardCUDAKernelTemplateIN3c108BFloat16EfLj64ELj1ELj32ELb1ELb1ELb1EEEvllPKT_S7_PKT0_SA_PS5_SB_,@function
_ZN2at6native12_GLOBAL__N_135GammaBetaBackwardCUDAKernelTemplateIN3c108BFloat16EfLj64ELj1ELj32ELb1ELb1ELb1EEEvllPKT_S7_PKT0_SA_PS5_SB_: ; @_ZN2at6native12_GLOBAL__N_135GammaBetaBackwardCUDAKernelTemplateIN3c108BFloat16EfLj64ELj1ELj32ELb1ELb1ELb1EEEvllPKT_S7_PKT0_SA_PS5_SB_
; %bb.0:
	s_load_dwordx4 s[8:11], s[4:5], 0x0
	s_load_dwordx2 s[16:17], s[4:5], 0x30
	s_lshl_b32 s18, s7, 5
	s_mov_b32 s19, 0
	s_mov_b32 s2, s7
	s_waitcnt lgkmcnt(0)
	v_pk_mov_b32 v[2:3], s[8:9], s[8:9] op_sel:[0,1]
	v_cmp_ge_i64_e32 vcc, s[18:19], v[2:3]
	v_mov_b32_e32 v9, 0
	v_bfe_u32 v2, v0, 10, 10
	s_cbranch_vccnz .LBB188_7
; %bb.1:
	s_load_dword s0, s[4:5], 0x4c
	s_load_dword s3, s[4:5], 0x44
	s_load_dwordx4 s[12:15], s[4:5], 0x10
	s_load_dwordx2 s[22:23], s[4:5], 0x28
	v_and_b32_e32 v1, 0x3ff, v0
	s_waitcnt lgkmcnt(0)
	s_and_b32 s0, s0, 0xffff
	v_mad_u32_u24 v3, v2, s0, v1
	v_lshl_or_b32 v8, s6, 6, v1
	v_mbcnt_lo_u32_b32 v1, -1, 0
	v_mbcnt_hi_u32_b32 v1, -1, v1
	v_lshlrev_b32_e32 v5, 5, v2
	v_lshlrev_b32_e32 v1, 2, v1
	v_and_b32_e32 v4, 63, v3
	v_and_b32_e32 v3, 0x100, v1
	v_mov_b32_e32 v1, s19
	v_add_co_u32_e32 v10, vcc, s18, v5
	v_addc_co_u32_e32 v1, vcc, 0, v1, vcc
	v_cmp_gt_u32_e64 s[0:1], 32, v4
	v_add_co_u32_e32 v4, vcc, v10, v4
	v_addc_co_u32_e32 v5, vcc, 0, v1, vcc
	v_lshlrev_b64 v[6:7], 2, v[4:5]
	v_mov_b32_e32 v11, s23
	v_add_co_u32_e32 v6, vcc, s22, v6
	v_addc_co_u32_e32 v7, vcc, v11, v7, vcc
	v_mul_lo_u32 v12, s11, v10
	v_mul_lo_u32 v1, s10, v1
	v_mad_u64_u32 v[10:11], s[24:25], s10, v10, 0
	v_mov_b32_e32 v9, 0
	s_lshl_b32 s20, s3, 5
	v_add3_u32 v11, v11, v1, v12
	v_lshlrev_b64 v[10:11], 1, v[10:11]
	v_lshlrev_b64 v[12:13], 1, v[8:9]
	s_mul_i32 s3, s11, s20
	s_mul_hi_u32 s7, s10, s20
	s_mov_b32 s21, s19
	v_add_co_u32_e32 v8, vcc, v10, v12
	s_add_i32 s25, s7, s3
	s_mul_i32 s24, s10, s20
	v_or_b32_e32 v14, 4, v3
	v_or_b32_e32 v15, 8, v3
	;; [unrolled: 1-line block ×31, first 2 shown]
	s_lshl_b64 s[22:23], s[20:21], 2
	v_addc_co_u32_e32 v1, vcc, v11, v13, vcc
	s_lshl_b64 s[24:25], s[24:25], 1
	s_lshl_b64 s[26:27], s[10:11], 1
	s_branch .LBB188_4
.LBB188_2:                              ;   in Loop: Header=BB188_4 Depth=1
	s_or_b64 exec, exec, s[30:31]
.LBB188_3:                              ;   in Loop: Header=BB188_4 Depth=1
	s_or_b64 exec, exec, s[28:29]
	v_mov_b32_e32 v11, s13
	v_add_co_u32_e32 v10, vcc, s12, v8
	v_addc_co_u32_e32 v11, vcc, v11, v1, vcc
	v_mov_b32_e32 v13, s15
	v_add_co_u32_e32 v12, vcc, s14, v8
	v_addc_co_u32_e32 v13, vcc, v13, v1, vcc
	global_load_ushort v47, v[10:11], off
	global_load_ushort v52, v[12:13], off
	v_mov_b32_e32 v46, s27
	v_add_co_u32_e32 v10, vcc, s26, v10
	v_addc_co_u32_e32 v11, vcc, v11, v46, vcc
	v_add_co_u32_e32 v12, vcc, s26, v12
	v_addc_co_u32_e32 v13, vcc, v13, v46, vcc
	global_load_ushort v53, v[10:11], off
	global_load_ushort v54, v[12:13], off
	v_add_co_u32_e32 v10, vcc, s26, v10
	v_addc_co_u32_e32 v11, vcc, v11, v46, vcc
	v_add_co_u32_e32 v12, vcc, s26, v12
	v_addc_co_u32_e32 v13, vcc, v13, v46, vcc
	global_load_ushort v55, v[10:11], off
	global_load_ushort v56, v[12:13], off
	;; [unrolled: 6-line block ×4, first 2 shown]
	v_add_co_u32_e32 v48, vcc, s26, v10
	v_addc_co_u32_e32 v49, vcc, v11, v46, vcc
	v_add_co_u32_e32 v50, vcc, s26, v12
	v_addc_co_u32_e32 v51, vcc, v13, v46, vcc
	;; [unrolled: 2-line block ×3, first 2 shown]
	v_add_co_u32_e32 v12, vcc, s26, v50
	global_load_ushort v50, v[50:51], off
	v_addc_co_u32_e32 v13, vcc, v51, v46, vcc
	global_load_ushort v61, v[48:49], off
	global_load_ushort v51, v[12:13], off
	s_add_u32 s18, s18, s20
	s_addc_u32 s19, s19, 0
	s_waitcnt vmcnt(12)
	v_lshlrev_b32_e32 v47, 16, v47
	s_waitcnt vmcnt(11)
	v_lshlrev_b32_e32 v48, 16, v52
	v_mul_f32_e32 v47, v47, v48
	ds_bpermute_b32 v48, v3, v45
	s_waitcnt lgkmcnt(0)
	v_fmac_f32_e32 v9, v47, v48
	global_load_ushort v47, v[10:11], off
	v_add_co_u32_e32 v48, vcc, s26, v10
	v_addc_co_u32_e32 v49, vcc, v11, v46, vcc
	v_add_co_u32_e32 v10, vcc, s26, v12
	v_addc_co_u32_e32 v11, vcc, v13, v46, vcc
	s_waitcnt vmcnt(11)
	v_lshlrev_b32_e32 v12, 16, v53
	s_waitcnt vmcnt(10)
	v_lshlrev_b32_e32 v13, 16, v54
	v_mul_f32_e32 v12, v12, v13
	ds_bpermute_b32 v13, v14, v45
	global_load_ushort v52, v[48:49], off
	global_load_ushort v53, v[10:11], off
	s_waitcnt lgkmcnt(0)
	v_fmac_f32_e32 v9, v12, v13
	v_add_co_u32_e32 v12, vcc, s26, v48
	v_addc_co_u32_e32 v13, vcc, v49, v46, vcc
	v_add_co_u32_e32 v48, vcc, s26, v10
	v_addc_co_u32_e32 v49, vcc, v11, v46, vcc
	s_waitcnt vmcnt(11)
	v_lshlrev_b32_e32 v10, 16, v55
	s_waitcnt vmcnt(10)
	v_lshlrev_b32_e32 v11, 16, v56
	v_mul_f32_e32 v10, v10, v11
	ds_bpermute_b32 v11, v15, v45
	global_load_ushort v54, v[12:13], off
	global_load_ushort v55, v[48:49], off
	s_waitcnt lgkmcnt(0)
	v_fmac_f32_e32 v9, v10, v11
	;; [unrolled: 14-line block ×4, first 2 shown]
	v_add_co_u32_e32 v12, vcc, s26, v48
	v_addc_co_u32_e32 v13, vcc, v49, v46, vcc
	v_add_co_u32_e32 v48, vcc, s26, v10
	v_addc_co_u32_e32 v49, vcc, v11, v46, vcc
	s_waitcnt vmcnt(11)
	v_lshlrev_b32_e32 v11, 16, v50
	global_load_ushort v50, v[12:13], off
	global_load_ushort v60, v[48:49], off
	s_waitcnt vmcnt(12)
	v_lshlrev_b32_e32 v10, 16, v61
	v_mul_f32_e32 v10, v10, v11
	ds_bpermute_b32 v11, v18, v45
	s_waitcnt vmcnt(10)
	v_lshlrev_b32_e32 v47, 16, v47
	s_waitcnt lgkmcnt(0)
	v_fmac_f32_e32 v9, v10, v11
	v_add_co_u32_e32 v10, vcc, s26, v12
	v_addc_co_u32_e32 v11, vcc, v13, v46, vcc
	v_add_co_u32_e32 v12, vcc, s26, v48
	v_lshlrev_b32_e32 v48, 16, v51
	v_mul_f32_e32 v47, v47, v48
	ds_bpermute_b32 v48, v19, v45
	v_addc_co_u32_e32 v13, vcc, v49, v46, vcc
	global_load_ushort v51, v[12:13], off
	s_waitcnt lgkmcnt(0)
	v_fmac_f32_e32 v9, v47, v48
	v_add_co_u32_e32 v48, vcc, s26, v10
	v_addc_co_u32_e32 v49, vcc, v11, v46, vcc
	global_load_ushort v47, v[10:11], off
	v_add_co_u32_e32 v10, vcc, s26, v12
	v_addc_co_u32_e32 v11, vcc, v13, v46, vcc
	s_waitcnt vmcnt(11)
	v_lshlrev_b32_e32 v12, 16, v52
	s_waitcnt vmcnt(10)
	v_lshlrev_b32_e32 v13, 16, v53
	v_mul_f32_e32 v12, v12, v13
	ds_bpermute_b32 v13, v20, v45
	global_load_ushort v52, v[48:49], off
	global_load_ushort v53, v[10:11], off
	s_waitcnt lgkmcnt(0)
	v_fmac_f32_e32 v9, v12, v13
	v_add_co_u32_e32 v12, vcc, s26, v48
	v_addc_co_u32_e32 v13, vcc, v49, v46, vcc
	v_add_co_u32_e32 v48, vcc, s26, v10
	v_addc_co_u32_e32 v49, vcc, v11, v46, vcc
	s_waitcnt vmcnt(11)
	v_lshlrev_b32_e32 v10, 16, v54
	s_waitcnt vmcnt(10)
	v_lshlrev_b32_e32 v11, 16, v55
	v_mul_f32_e32 v10, v10, v11
	ds_bpermute_b32 v11, v21, v45
	global_load_ushort v54, v[12:13], off
	global_load_ushort v55, v[48:49], off
	s_waitcnt lgkmcnt(0)
	v_fmac_f32_e32 v9, v10, v11
	v_add_co_u32_e32 v10, vcc, s26, v12
	v_addc_co_u32_e32 v11, vcc, v13, v46, vcc
	;; [unrolled: 14-line block ×4, first 2 shown]
	v_add_co_u32_e32 v48, vcc, s26, v10
	s_waitcnt vmcnt(11)
	v_lshlrev_b32_e32 v10, 16, v50
	global_load_ushort v50, v[12:13], off
	v_addc_co_u32_e32 v49, vcc, v11, v46, vcc
	s_waitcnt vmcnt(11)
	v_lshlrev_b32_e32 v11, 16, v60
	global_load_ushort v60, v[48:49], off
	v_mul_f32_e32 v10, v10, v11
	ds_bpermute_b32 v11, v24, v45
	s_waitcnt vmcnt(10)
	v_lshlrev_b32_e32 v47, 16, v47
	s_waitcnt lgkmcnt(0)
	v_fmac_f32_e32 v9, v10, v11
	v_add_co_u32_e32 v10, vcc, s26, v12
	v_addc_co_u32_e32 v11, vcc, v13, v46, vcc
	v_add_co_u32_e32 v12, vcc, s26, v48
	v_lshlrev_b32_e32 v48, 16, v51
	v_mul_f32_e32 v47, v47, v48
	ds_bpermute_b32 v48, v25, v45
	v_addc_co_u32_e32 v13, vcc, v49, v46, vcc
	global_load_ushort v61, v[12:13], off
	s_waitcnt lgkmcnt(0)
	v_fmac_f32_e32 v9, v47, v48
	v_add_co_u32_e32 v48, vcc, s26, v10
	v_addc_co_u32_e32 v49, vcc, v11, v46, vcc
	global_load_ushort v47, v[10:11], off
	v_add_co_u32_e32 v10, vcc, s26, v12
	v_addc_co_u32_e32 v11, vcc, v13, v46, vcc
	s_waitcnt vmcnt(11)
	v_lshlrev_b32_e32 v12, 16, v52
	s_waitcnt vmcnt(10)
	v_lshlrev_b32_e32 v13, 16, v53
	v_mul_f32_e32 v12, v12, v13
	ds_bpermute_b32 v13, v26, v45
	global_load_ushort v62, v[48:49], off
	global_load_ushort v63, v[10:11], off
	s_waitcnt lgkmcnt(0)
	v_fmac_f32_e32 v9, v12, v13
	v_add_co_u32_e32 v12, vcc, s26, v48
	v_addc_co_u32_e32 v13, vcc, v49, v46, vcc
	v_add_co_u32_e32 v48, vcc, s26, v10
	v_addc_co_u32_e32 v49, vcc, v11, v46, vcc
	s_waitcnt vmcnt(11)
	v_lshlrev_b32_e32 v10, 16, v54
	s_waitcnt vmcnt(10)
	v_lshlrev_b32_e32 v11, 16, v55
	v_mul_f32_e32 v10, v10, v11
	ds_bpermute_b32 v11, v27, v45
	s_waitcnt vmcnt(9)
	v_lshlrev_b32_e32 v51, 16, v56
	s_waitcnt vmcnt(8)
	v_lshlrev_b32_e32 v52, 16, v57
	v_mul_f32_e32 v51, v51, v52
	ds_bpermute_b32 v52, v29, v45
	s_waitcnt lgkmcnt(1)
	v_fmac_f32_e32 v9, v10, v11
	v_add_co_u32_e32 v10, vcc, s26, v12
	v_addc_co_u32_e32 v11, vcc, v13, v46, vcc
	ds_bpermute_b32 v57, v30, v45
	s_waitcnt vmcnt(7)
	v_lshlrev_b32_e32 v53, 16, v58
	s_waitcnt vmcnt(6)
	v_lshlrev_b32_e32 v54, 16, v59
	v_mul_f32_e32 v53, v53, v54
	s_waitcnt vmcnt(5)
	v_lshlrev_b32_e32 v55, 16, v50
	ds_bpermute_b32 v50, v28, v45
	s_waitcnt vmcnt(4)
	v_lshlrev_b32_e32 v56, 16, v60
	v_mul_f32_e32 v54, v55, v56
	s_waitcnt lgkmcnt(0)
	v_fmac_f32_e32 v9, v51, v50
	v_add_co_u32_e32 v50, vcc, s26, v48
	v_addc_co_u32_e32 v51, vcc, v49, v46, vcc
	v_fmac_f32_e32 v9, v53, v52
	v_add_co_u32_e32 v52, vcc, s26, v10
	v_addc_co_u32_e32 v53, vcc, v11, v46, vcc
	global_load_ushort v55, v[10:11], off
	v_add_co_u32_e32 v10, vcc, s26, v50
	v_addc_co_u32_e32 v11, vcc, v51, v46, vcc
	global_load_ushort v56, v[12:13], off
	global_load_ushort v58, v[50:51], off
	;; [unrolled: 1-line block ×3, first 2 shown]
	v_add_co_u32_e32 v12, vcc, s26, v52
	v_addc_co_u32_e32 v13, vcc, v53, v46, vcc
	v_add_co_u32_e32 v48, vcc, s26, v12
	v_addc_co_u32_e32 v49, vcc, v13, v46, vcc
	v_fmac_f32_e32 v9, v54, v57
	global_load_ushort v57, v[12:13], off
	global_load_ushort v60, v[52:53], off
	v_add_co_u32_e32 v12, vcc, s26, v10
	v_addc_co_u32_e32 v13, vcc, v11, v46, vcc
	global_load_ushort v64, v[10:11], off
	global_load_ushort v65, v[12:13], off
	v_add_co_u32_e32 v10, vcc, s26, v12
	v_addc_co_u32_e32 v11, vcc, v13, v46, vcc
	s_waitcnt vmcnt(10)
	v_lshlrev_b32_e32 v12, 16, v47
	v_lshlrev_b32_e32 v13, 16, v61
	v_mul_f32_e32 v12, v12, v13
	ds_bpermute_b32 v13, v31, v45
	ds_bpermute_b32 v51, v32, v45
	s_waitcnt vmcnt(9)
	v_lshlrev_b32_e32 v47, 16, v62
	s_waitcnt vmcnt(8)
	v_lshlrev_b32_e32 v50, 16, v63
	v_mul_f32_e32 v47, v47, v50
	s_waitcnt lgkmcnt(1)
	v_fmac_f32_e32 v9, v12, v13
	s_waitcnt lgkmcnt(0)
	v_fmac_f32_e32 v9, v47, v51
	ds_bpermute_b32 v54, v33, v45
	v_add_co_u32_e32 v12, vcc, s26, v48
	v_addc_co_u32_e32 v13, vcc, v49, v46, vcc
	global_load_ushort v47, v[12:13], off
	s_waitcnt vmcnt(8)
	v_lshlrev_b32_e32 v51, 16, v55
	ds_bpermute_b32 v55, v34, v45
	s_waitcnt vmcnt(7)
	v_lshlrev_b32_e32 v50, 16, v56
	s_waitcnt vmcnt(5)
	v_lshlrev_b32_e32 v52, 16, v59
	v_lshlrev_b32_e32 v53, 16, v58
	v_pk_mul_f32 v[50:51], v[50:51], v[52:53]
	s_waitcnt lgkmcnt(0)
	v_pk_mul_f32 v[50:51], v[50:51], v[54:55]
	v_add_co_u32_e32 v52, vcc, s26, v10
	v_add_f32_e32 v9, v9, v50
	v_addc_co_u32_e32 v53, vcc, v11, v46, vcc
	v_add_f32_e32 v9, v9, v51
	ds_bpermute_b32 v50, v35, v45
	ds_bpermute_b32 v51, v36, v45
	v_add_co_u32_e32 v54, vcc, s26, v12
	v_addc_co_u32_e32 v55, vcc, v13, v46, vcc
	s_waitcnt vmcnt(3)
	v_lshlrev_b32_e32 v56, 16, v60
	v_lshlrev_b32_e32 v57, 16, v57
	s_waitcnt vmcnt(2)
	v_lshlrev_b32_e32 v58, 16, v64
	s_waitcnt vmcnt(1)
	v_lshlrev_b32_e32 v59, 16, v65
	v_pk_mul_f32 v[56:57], v[56:57], v[58:59]
	v_add_co_u32_e32 v58, vcc, s26, v52
	v_addc_co_u32_e32 v59, vcc, v53, v46, vcc
	s_waitcnt lgkmcnt(0)
	v_pk_mul_f32 v[50:51], v[56:57], v[50:51]
	v_add_co_u32_e32 v56, vcc, s26, v54
	global_load_ushort v60, v[48:49], off
	global_load_ushort v61, v[52:53], off
	v_addc_co_u32_e32 v57, vcc, v55, v46, vcc
	global_load_ushort v62, v[10:11], off
	global_load_ushort v63, v[56:57], off
	v_add_co_u32_e32 v12, vcc, s26, v58
	v_addc_co_u32_e32 v13, vcc, v59, v46, vcc
	v_add_co_u32_e32 v48, vcc, s26, v56
	v_addc_co_u32_e32 v49, vcc, v57, v46, vcc
	;; [unrolled: 2-line block ×3, first 2 shown]
	global_load_ushort v56, v[54:55], off
	global_load_ushort v57, v[12:13], off
	v_add_co_u32_e32 v12, vcc, s26, v48
	global_load_ushort v54, v[58:59], off
	v_addc_co_u32_e32 v13, vcc, v49, v46, vcc
	v_add_co_u32_e32 v52, vcc, s26, v12
	v_addc_co_u32_e32 v53, vcc, v13, v46, vcc
	global_load_ushort v55, v[12:13], off
	global_load_ushort v58, v[48:49], off
	v_add_co_u32_e32 v12, vcc, s26, v10
	v_addc_co_u32_e32 v13, vcc, v11, v46, vcc
	global_load_ushort v59, v[12:13], off
	global_load_ushort v64, v[10:11], off
	v_add_co_u32_e32 v48, vcc, s26, v12
	v_addc_co_u32_e32 v49, vcc, v13, v46, vcc
	v_add_co_u32_e32 v10, vcc, s26, v52
	v_addc_co_u32_e32 v11, vcc, v53, v46, vcc
	;; [unrolled: 2-line block ×3, first 2 shown]
	global_load_ushort v52, v[52:53], off
	s_nop 0
	global_load_ushort v53, v[10:11], off
	global_load_ushort v65, v[48:49], off
	;; [unrolled: 1-line block ×3, first 2 shown]
	s_waitcnt vmcnt(15)
	v_lshlrev_b32_e32 v11, 16, v47
	ds_bpermute_b32 v46, v37, v45
	ds_bpermute_b32 v47, v38, v45
	v_add_f32_e32 v9, v9, v50
	v_add_f32_e32 v9, v9, v51
	v_add_co_u32_e32 v6, vcc, s22, v6
	s_waitcnt vmcnt(14)
	v_lshlrev_b32_e32 v10, 16, v60
	s_waitcnt vmcnt(13)
	v_lshlrev_b32_e32 v13, 16, v61
	;; [unrolled: 2-line block ×3, first 2 shown]
	v_pk_mul_f32 v[10:11], v[10:11], v[12:13]
	s_waitcnt lgkmcnt(0)
	v_pk_mul_f32 v[10:11], v[10:11], v[46:47]
	v_add_f32_e32 v9, v9, v10
	v_add_f32_e32 v9, v9, v11
	ds_bpermute_b32 v10, v39, v45
	ds_bpermute_b32 v11, v40, v45
	s_waitcnt vmcnt(11)
	v_lshlrev_b32_e32 v13, 16, v63
	s_waitcnt vmcnt(10)
	v_lshlrev_b32_e32 v12, 16, v56
	;; [unrolled: 2-line block ×4, first 2 shown]
	v_pk_mul_f32 v[12:13], v[12:13], v[46:47]
	s_waitcnt lgkmcnt(0)
	v_pk_mul_f32 v[10:11], v[12:13], v[10:11]
	v_add_f32_e32 v9, v9, v10
	v_add_f32_e32 v9, v9, v11
	ds_bpermute_b32 v10, v41, v45
	ds_bpermute_b32 v11, v42, v45
	s_waitcnt vmcnt(6)
	v_lshlrev_b32_e32 v12, 16, v58
	v_lshlrev_b32_e32 v13, 16, v55
	s_waitcnt vmcnt(5)
	v_lshlrev_b32_e32 v47, 16, v59
	s_waitcnt vmcnt(4)
	v_lshlrev_b32_e32 v46, 16, v64
	v_pk_mul_f32 v[12:13], v[12:13], v[46:47]
	s_waitcnt lgkmcnt(0)
	v_pk_mul_f32 v[10:11], v[12:13], v[10:11]
	v_add_f32_e32 v9, v9, v10
	v_add_f32_e32 v9, v9, v11
	ds_bpermute_b32 v10, v43, v45
	ds_bpermute_b32 v11, v44, v45
	s_waitcnt vmcnt(3)
	v_lshlrev_b32_e32 v12, 16, v52
	s_waitcnt vmcnt(2)
	v_lshlrev_b32_e32 v13, 16, v53
	;; [unrolled: 2-line block ×4, first 2 shown]
	v_pk_mul_f32 v[12:13], v[12:13], v[46:47]
	s_waitcnt lgkmcnt(0)
	v_pk_mul_f32 v[10:11], v[12:13], v[10:11]
	v_add_f32_e32 v9, v9, v10
	v_mov_b32_e32 v10, s23
	v_addc_co_u32_e32 v7, vcc, v7, v10, vcc
	v_mov_b32_e32 v10, s21
	v_add_co_u32_e32 v4, vcc, s20, v4
	v_addc_co_u32_e32 v5, vcc, v5, v10, vcc
	v_mov_b32_e32 v10, s25
	v_add_co_u32_e32 v8, vcc, s24, v8
	v_add_f32_e32 v9, v9, v11
	v_addc_co_u32_e32 v1, vcc, v1, v10, vcc
	v_pk_mov_b32 v[10:11], s[8:9], s[8:9] op_sel:[0,1]
	v_cmp_lt_i64_e32 vcc, s[18:19], v[10:11]
	s_cbranch_vccz .LBB188_7
.LBB188_4:                              ; =>This Inner Loop Header: Depth=1
	v_mov_b32_e32 v45, 0
	s_and_saveexec_b64 s[28:29], s[0:1]
	s_cbranch_execz .LBB188_3
; %bb.5:                                ;   in Loop: Header=BB188_4 Depth=1
	v_cmp_gt_i64_e32 vcc, s[8:9], v[4:5]
	v_mov_b32_e32 v45, 0
	s_and_saveexec_b64 s[30:31], vcc
	s_cbranch_execz .LBB188_2
; %bb.6:                                ;   in Loop: Header=BB188_4 Depth=1
	global_load_dword v45, v[6:7], off
	s_branch .LBB188_2
.LBB188_7:
	s_cmp_eq_u64 s[16:17], 0
	s_cbranch_scc1 .LBB188_9
; %bb.8:
	s_load_dword s0, s[4:5], 0x4c
	v_mov_b32_e32 v3, 0
	v_mov_b32_e32 v1, s2
	;; [unrolled: 1-line block ×3, first 2 shown]
	v_cmp_o_f32_e32 vcc, v9, v9
	s_waitcnt lgkmcnt(0)
	s_lshr_b32 s0, s0, 16
	v_mad_u64_u32 v[2:3], s[0:1], s0, v1, v[2:3]
	v_bfe_u32 v1, v9, 16, 1
	s_movk_i32 s0, 0x7fff
	v_add3_u32 v1, v9, v1, s0
	v_lshrrev_b32_e32 v1, 16, v1
	s_mov_b32 s7, 0
	v_cndmask_b32_e32 v4, v4, v1, vcc
	v_mul_lo_u32 v1, v3, s10
	v_mul_lo_u32 v5, v2, s11
	v_mad_u64_u32 v[2:3], s[0:1], v2, s10, 0
	s_lshl_b64 s[0:1], s[6:7], 7
	v_add3_u32 v3, v3, v5, v1
	s_add_u32 s0, s0, s16
	v_lshlrev_b64 v[2:3], 1, v[2:3]
	s_addc_u32 s1, s1, s17
	v_mov_b32_e32 v1, s1
	v_add_co_u32_e32 v2, vcc, s0, v2
	v_and_b32_e32 v0, 0x3ff, v0
	v_addc_co_u32_e32 v1, vcc, v1, v3, vcc
	v_lshlrev_b32_e32 v0, 1, v0
	v_add_co_u32_e32 v0, vcc, v2, v0
	v_addc_co_u32_e32 v1, vcc, 0, v1, vcc
	global_store_short v[0:1], v4, off
.LBB188_9:
	s_endpgm
	.section	.rodata,"a",@progbits
	.p2align	6, 0x0
	.amdhsa_kernel _ZN2at6native12_GLOBAL__N_135GammaBetaBackwardCUDAKernelTemplateIN3c108BFloat16EfLj64ELj1ELj32ELb1ELb1ELb1EEEvllPKT_S7_PKT0_SA_PS5_SB_
		.amdhsa_group_segment_fixed_size 0
		.amdhsa_private_segment_fixed_size 0
		.amdhsa_kernarg_size 320
		.amdhsa_user_sgpr_count 6
		.amdhsa_user_sgpr_private_segment_buffer 1
		.amdhsa_user_sgpr_dispatch_ptr 0
		.amdhsa_user_sgpr_queue_ptr 0
		.amdhsa_user_sgpr_kernarg_segment_ptr 1
		.amdhsa_user_sgpr_dispatch_id 0
		.amdhsa_user_sgpr_flat_scratch_init 0
		.amdhsa_user_sgpr_kernarg_preload_length 0
		.amdhsa_user_sgpr_kernarg_preload_offset 0
		.amdhsa_user_sgpr_private_segment_size 0
		.amdhsa_uses_dynamic_stack 0
		.amdhsa_system_sgpr_private_segment_wavefront_offset 0
		.amdhsa_system_sgpr_workgroup_id_x 1
		.amdhsa_system_sgpr_workgroup_id_y 1
		.amdhsa_system_sgpr_workgroup_id_z 0
		.amdhsa_system_sgpr_workgroup_info 0
		.amdhsa_system_vgpr_workitem_id 1
		.amdhsa_next_free_vgpr 67
		.amdhsa_next_free_sgpr 32
		.amdhsa_accum_offset 68
		.amdhsa_reserve_vcc 1
		.amdhsa_reserve_flat_scratch 0
		.amdhsa_float_round_mode_32 0
		.amdhsa_float_round_mode_16_64 0
		.amdhsa_float_denorm_mode_32 3
		.amdhsa_float_denorm_mode_16_64 3
		.amdhsa_dx10_clamp 1
		.amdhsa_ieee_mode 1
		.amdhsa_fp16_overflow 0
		.amdhsa_tg_split 0
		.amdhsa_exception_fp_ieee_invalid_op 0
		.amdhsa_exception_fp_denorm_src 0
		.amdhsa_exception_fp_ieee_div_zero 0
		.amdhsa_exception_fp_ieee_overflow 0
		.amdhsa_exception_fp_ieee_underflow 0
		.amdhsa_exception_fp_ieee_inexact 0
		.amdhsa_exception_int_div_zero 0
	.end_amdhsa_kernel
	.section	.text._ZN2at6native12_GLOBAL__N_135GammaBetaBackwardCUDAKernelTemplateIN3c108BFloat16EfLj64ELj1ELj32ELb1ELb1ELb1EEEvllPKT_S7_PKT0_SA_PS5_SB_,"axG",@progbits,_ZN2at6native12_GLOBAL__N_135GammaBetaBackwardCUDAKernelTemplateIN3c108BFloat16EfLj64ELj1ELj32ELb1ELb1ELb1EEEvllPKT_S7_PKT0_SA_PS5_SB_,comdat
.Lfunc_end188:
	.size	_ZN2at6native12_GLOBAL__N_135GammaBetaBackwardCUDAKernelTemplateIN3c108BFloat16EfLj64ELj1ELj32ELb1ELb1ELb1EEEvllPKT_S7_PKT0_SA_PS5_SB_, .Lfunc_end188-_ZN2at6native12_GLOBAL__N_135GammaBetaBackwardCUDAKernelTemplateIN3c108BFloat16EfLj64ELj1ELj32ELb1ELb1ELb1EEEvllPKT_S7_PKT0_SA_PS5_SB_
                                        ; -- End function
	.section	.AMDGPU.csdata,"",@progbits
; Kernel info:
; codeLenInByte = 2968
; NumSgprs: 36
; NumVgprs: 67
; NumAgprs: 0
; TotalNumVgprs: 67
; ScratchSize: 0
; MemoryBound: 0
; FloatMode: 240
; IeeeMode: 1
; LDSByteSize: 0 bytes/workgroup (compile time only)
; SGPRBlocks: 4
; VGPRBlocks: 8
; NumSGPRsForWavesPerEU: 36
; NumVGPRsForWavesPerEU: 67
; AccumOffset: 68
; Occupancy: 7
; WaveLimiterHint : 0
; COMPUTE_PGM_RSRC2:SCRATCH_EN: 0
; COMPUTE_PGM_RSRC2:USER_SGPR: 6
; COMPUTE_PGM_RSRC2:TRAP_HANDLER: 0
; COMPUTE_PGM_RSRC2:TGID_X_EN: 1
; COMPUTE_PGM_RSRC2:TGID_Y_EN: 1
; COMPUTE_PGM_RSRC2:TGID_Z_EN: 0
; COMPUTE_PGM_RSRC2:TIDIG_COMP_CNT: 1
; COMPUTE_PGM_RSRC3_GFX90A:ACCUM_OFFSET: 16
; COMPUTE_PGM_RSRC3_GFX90A:TG_SPLIT: 0
	.section	.text._ZN2at6native12_GLOBAL__N_135GammaBetaBackwardCUDAKernelTemplateIN3c108BFloat16EfLj64ELj1ELj32ELb1ELb0ELb1EEEvllPKT_S7_PKT0_SA_PS5_SB_,"axG",@progbits,_ZN2at6native12_GLOBAL__N_135GammaBetaBackwardCUDAKernelTemplateIN3c108BFloat16EfLj64ELj1ELj32ELb1ELb0ELb1EEEvllPKT_S7_PKT0_SA_PS5_SB_,comdat
	.globl	_ZN2at6native12_GLOBAL__N_135GammaBetaBackwardCUDAKernelTemplateIN3c108BFloat16EfLj64ELj1ELj32ELb1ELb0ELb1EEEvllPKT_S7_PKT0_SA_PS5_SB_ ; -- Begin function _ZN2at6native12_GLOBAL__N_135GammaBetaBackwardCUDAKernelTemplateIN3c108BFloat16EfLj64ELj1ELj32ELb1ELb0ELb1EEEvllPKT_S7_PKT0_SA_PS5_SB_
	.p2align	8
	.type	_ZN2at6native12_GLOBAL__N_135GammaBetaBackwardCUDAKernelTemplateIN3c108BFloat16EfLj64ELj1ELj32ELb1ELb0ELb1EEEvllPKT_S7_PKT0_SA_PS5_SB_,@function
_ZN2at6native12_GLOBAL__N_135GammaBetaBackwardCUDAKernelTemplateIN3c108BFloat16EfLj64ELj1ELj32ELb1ELb0ELb1EEEvllPKT_S7_PKT0_SA_PS5_SB_: ; @_ZN2at6native12_GLOBAL__N_135GammaBetaBackwardCUDAKernelTemplateIN3c108BFloat16EfLj64ELj1ELj32ELb1ELb0ELb1EEEvllPKT_S7_PKT0_SA_PS5_SB_
; %bb.0:
	s_load_dwordx8 s[12:19], s[4:5], 0x0
	s_load_dwordx2 s[20:21], s[4:5], 0x28
	s_mov_b32 s8, s7
	s_lshl_b32 s7, s6, 6
	v_mov_b32_e32 v206, v0
	s_or_b32 s22, s7, 63
	s_mov_b32 s23, 0
	s_waitcnt lgkmcnt(0)
	v_pk_mov_b32 v[0:1], s[14:15], s[14:15] op_sel:[0,1]
	v_cmp_ge_i64_e32 vcc, s[22:23], v[0:1]
	s_lshl_b32 s22, s8, 5
	v_pk_mov_b32 v[0:1], s[12:13], s[12:13] op_sel:[0,1]
	v_cmp_lt_i64_e64 s[0:1], s[22:23], v[0:1]
	v_cndmask_b32_e64 v0, 0, 1, s[0:1]
	v_cmp_ne_u32_e64 s[0:1], 1, v0
	s_cbranch_vccz .LBB189_145
; %bb.1:
	s_and_b64 vcc, exec, s[0:1]
	v_mov_b32_e32 v139, 0
	s_cbranch_vccnz .LBB189_146
; %bb.2:
	v_bfe_u32 v0, v206, 10, 10
	v_lshlrev_b32_e32 v2, 5, v0
	v_mov_b32_e32 v1, s23
	v_add_co_u32_e32 v121, vcc, s22, v2
	v_addc_co_u32_e32 v123, vcc, 0, v1, vcc
	v_add_co_u32_e32 v1, vcc, 31, v121
	v_addc_co_u32_e32 v3, vcc, 0, v123, vcc
	v_mul_lo_u32 v6, s15, v1
	v_mul_lo_u32 v3, s14, v3
	v_mad_u64_u32 v[4:5], s[2:3], s14, v1, 0
	v_add3_u32 v5, v5, v3, v6
	v_lshlrev_b64 v[6:7], 1, v[4:5]
	v_mov_b32_e32 v125, s17
	v_add_co_u32_e32 v4, vcc, s16, v6
	v_addc_co_u32_e32 v1, vcc, v125, v7, vcc
	v_mov_b32_e32 v127, s19
	v_add_co_u32_e32 v6, vcc, s18, v6
	v_addc_co_u32_e32 v3, vcc, v127, v7, vcc
	v_add_co_u32_e32 v5, vcc, 30, v121
	v_addc_co_u32_e32 v7, vcc, 0, v123, vcc
	v_mul_lo_u32 v10, s15, v5
	v_mul_lo_u32 v7, s14, v7
	v_mad_u64_u32 v[8:9], s[2:3], s14, v5, 0
	v_add3_u32 v9, v9, v7, v10
	v_lshlrev_b64 v[10:11], 1, v[8:9]
	v_add_co_u32_e32 v8, vcc, s16, v10
	v_addc_co_u32_e32 v5, vcc, v125, v11, vcc
	v_add_co_u32_e32 v10, vcc, s18, v10
	v_addc_co_u32_e32 v7, vcc, v127, v11, vcc
	v_add_co_u32_e32 v9, vcc, 29, v121
	v_addc_co_u32_e32 v11, vcc, 0, v123, vcc
	v_mul_lo_u32 v14, s15, v9
	v_mul_lo_u32 v11, s14, v11
	v_mad_u64_u32 v[12:13], s[2:3], s14, v9, 0
	v_add3_u32 v13, v13, v11, v14
	v_lshlrev_b64 v[14:15], 1, v[12:13]
	v_add_co_u32_e32 v12, vcc, s16, v14
	v_addc_co_u32_e32 v9, vcc, v125, v15, vcc
	v_add_co_u32_e32 v14, vcc, s18, v14
	v_addc_co_u32_e32 v11, vcc, v127, v15, vcc
	v_add_co_u32_e32 v13, vcc, 28, v121
	v_addc_co_u32_e32 v15, vcc, 0, v123, vcc
	v_mul_lo_u32 v18, s15, v13
	v_mul_lo_u32 v15, s14, v15
	v_mad_u64_u32 v[16:17], s[2:3], s14, v13, 0
	v_add3_u32 v17, v17, v15, v18
	v_lshlrev_b64 v[18:19], 1, v[16:17]
	v_add_co_u32_e32 v16, vcc, s16, v18
	v_addc_co_u32_e32 v13, vcc, v125, v19, vcc
	v_add_co_u32_e32 v18, vcc, s18, v18
	v_addc_co_u32_e32 v15, vcc, v127, v19, vcc
	v_add_co_u32_e32 v17, vcc, 27, v121
	v_addc_co_u32_e32 v19, vcc, 0, v123, vcc
	v_mul_lo_u32 v22, s15, v17
	v_mul_lo_u32 v19, s14, v19
	v_mad_u64_u32 v[20:21], s[2:3], s14, v17, 0
	v_add3_u32 v21, v21, v19, v22
	v_lshlrev_b64 v[22:23], 1, v[20:21]
	v_add_co_u32_e32 v20, vcc, s16, v22
	v_addc_co_u32_e32 v17, vcc, v125, v23, vcc
	v_add_co_u32_e32 v22, vcc, s18, v22
	v_addc_co_u32_e32 v19, vcc, v127, v23, vcc
	v_add_co_u32_e32 v21, vcc, 26, v121
	v_addc_co_u32_e32 v23, vcc, 0, v123, vcc
	v_mul_lo_u32 v26, s15, v21
	v_mul_lo_u32 v23, s14, v23
	v_mad_u64_u32 v[24:25], s[2:3], s14, v21, 0
	v_add3_u32 v25, v25, v23, v26
	v_lshlrev_b64 v[26:27], 1, v[24:25]
	v_add_co_u32_e32 v24, vcc, s16, v26
	v_addc_co_u32_e32 v21, vcc, v125, v27, vcc
	v_add_co_u32_e32 v26, vcc, s18, v26
	v_addc_co_u32_e32 v23, vcc, v127, v27, vcc
	v_add_co_u32_e32 v25, vcc, 25, v121
	v_addc_co_u32_e32 v27, vcc, 0, v123, vcc
	v_mul_lo_u32 v30, s15, v25
	v_mul_lo_u32 v27, s14, v27
	v_mad_u64_u32 v[28:29], s[2:3], s14, v25, 0
	v_add3_u32 v29, v29, v27, v30
	v_lshlrev_b64 v[30:31], 1, v[28:29]
	v_add_co_u32_e32 v28, vcc, s16, v30
	v_addc_co_u32_e32 v25, vcc, v125, v31, vcc
	v_add_co_u32_e32 v30, vcc, s18, v30
	v_addc_co_u32_e32 v27, vcc, v127, v31, vcc
	v_add_co_u32_e32 v29, vcc, 24, v121
	v_addc_co_u32_e32 v31, vcc, 0, v123, vcc
	v_mul_lo_u32 v34, s15, v29
	v_mul_lo_u32 v31, s14, v31
	v_mad_u64_u32 v[32:33], s[2:3], s14, v29, 0
	v_add3_u32 v33, v33, v31, v34
	v_lshlrev_b64 v[34:35], 1, v[32:33]
	v_add_co_u32_e32 v32, vcc, s16, v34
	v_addc_co_u32_e32 v29, vcc, v125, v35, vcc
	v_add_co_u32_e32 v34, vcc, s18, v34
	v_addc_co_u32_e32 v31, vcc, v127, v35, vcc
	v_add_co_u32_e32 v33, vcc, 23, v121
	v_addc_co_u32_e32 v35, vcc, 0, v123, vcc
	v_mul_lo_u32 v38, s15, v33
	v_mul_lo_u32 v35, s14, v35
	v_mad_u64_u32 v[36:37], s[2:3], s14, v33, 0
	v_add3_u32 v37, v37, v35, v38
	v_lshlrev_b64 v[38:39], 1, v[36:37]
	v_add_co_u32_e32 v36, vcc, s16, v38
	v_addc_co_u32_e32 v33, vcc, v125, v39, vcc
	v_add_co_u32_e32 v38, vcc, s18, v38
	v_addc_co_u32_e32 v35, vcc, v127, v39, vcc
	v_add_co_u32_e32 v37, vcc, 22, v121
	v_addc_co_u32_e32 v39, vcc, 0, v123, vcc
	v_mul_lo_u32 v42, s15, v37
	v_mul_lo_u32 v39, s14, v39
	v_mad_u64_u32 v[40:41], s[2:3], s14, v37, 0
	v_add3_u32 v41, v41, v39, v42
	v_lshlrev_b64 v[42:43], 1, v[40:41]
	v_add_co_u32_e32 v40, vcc, s16, v42
	v_addc_co_u32_e32 v37, vcc, v125, v43, vcc
	v_add_co_u32_e32 v42, vcc, s18, v42
	v_addc_co_u32_e32 v39, vcc, v127, v43, vcc
	v_add_co_u32_e32 v41, vcc, 21, v121
	v_addc_co_u32_e32 v43, vcc, 0, v123, vcc
	v_mul_lo_u32 v46, s15, v41
	v_mul_lo_u32 v43, s14, v43
	v_mad_u64_u32 v[44:45], s[2:3], s14, v41, 0
	v_add3_u32 v45, v45, v43, v46
	v_lshlrev_b64 v[46:47], 1, v[44:45]
	v_add_co_u32_e32 v44, vcc, s16, v46
	v_addc_co_u32_e32 v41, vcc, v125, v47, vcc
	v_add_co_u32_e32 v46, vcc, s18, v46
	v_addc_co_u32_e32 v43, vcc, v127, v47, vcc
	v_add_co_u32_e32 v45, vcc, 20, v121
	v_addc_co_u32_e32 v47, vcc, 0, v123, vcc
	v_mul_lo_u32 v50, s15, v45
	v_mul_lo_u32 v47, s14, v47
	v_mad_u64_u32 v[48:49], s[2:3], s14, v45, 0
	v_add3_u32 v49, v49, v47, v50
	v_lshlrev_b64 v[50:51], 1, v[48:49]
	v_add_co_u32_e32 v48, vcc, s16, v50
	v_addc_co_u32_e32 v45, vcc, v125, v51, vcc
	v_add_co_u32_e32 v50, vcc, s18, v50
	v_addc_co_u32_e32 v47, vcc, v127, v51, vcc
	v_add_co_u32_e32 v49, vcc, 19, v121
	v_addc_co_u32_e32 v51, vcc, 0, v123, vcc
	v_mul_lo_u32 v54, s15, v49
	v_mul_lo_u32 v51, s14, v51
	v_mad_u64_u32 v[52:53], s[2:3], s14, v49, 0
	v_add3_u32 v53, v53, v51, v54
	v_lshlrev_b64 v[54:55], 1, v[52:53]
	v_add_co_u32_e32 v52, vcc, s16, v54
	v_addc_co_u32_e32 v49, vcc, v125, v55, vcc
	v_add_co_u32_e32 v54, vcc, s18, v54
	v_addc_co_u32_e32 v51, vcc, v127, v55, vcc
	v_add_co_u32_e32 v53, vcc, 18, v121
	v_addc_co_u32_e32 v55, vcc, 0, v123, vcc
	v_mul_lo_u32 v58, s15, v53
	v_mul_lo_u32 v55, s14, v55
	v_mad_u64_u32 v[56:57], s[2:3], s14, v53, 0
	v_add3_u32 v57, v57, v55, v58
	v_lshlrev_b64 v[58:59], 1, v[56:57]
	v_add_co_u32_e32 v56, vcc, s16, v58
	v_addc_co_u32_e32 v53, vcc, v125, v59, vcc
	v_add_co_u32_e32 v58, vcc, s18, v58
	v_addc_co_u32_e32 v55, vcc, v127, v59, vcc
	v_add_co_u32_e32 v57, vcc, 17, v121
	v_addc_co_u32_e32 v59, vcc, 0, v123, vcc
	v_mul_lo_u32 v62, s15, v57
	v_mul_lo_u32 v59, s14, v59
	v_mad_u64_u32 v[60:61], s[2:3], s14, v57, 0
	v_add3_u32 v61, v61, v59, v62
	v_lshlrev_b64 v[62:63], 1, v[60:61]
	v_add_co_u32_e32 v60, vcc, s16, v62
	v_addc_co_u32_e32 v57, vcc, v125, v63, vcc
	v_add_co_u32_e32 v62, vcc, s18, v62
	v_addc_co_u32_e32 v59, vcc, v127, v63, vcc
	v_add_co_u32_e32 v61, vcc, 16, v121
	v_addc_co_u32_e32 v63, vcc, 0, v123, vcc
	v_mul_lo_u32 v66, s15, v61
	v_mul_lo_u32 v63, s14, v63
	v_mad_u64_u32 v[64:65], s[2:3], s14, v61, 0
	v_add3_u32 v65, v65, v63, v66
	v_lshlrev_b64 v[66:67], 1, v[64:65]
	v_add_co_u32_e32 v64, vcc, s16, v66
	v_addc_co_u32_e32 v61, vcc, v125, v67, vcc
	v_add_co_u32_e32 v66, vcc, s18, v66
	v_addc_co_u32_e32 v63, vcc, v127, v67, vcc
	v_add_co_u32_e32 v65, vcc, 15, v121
	v_addc_co_u32_e32 v67, vcc, 0, v123, vcc
	v_mul_lo_u32 v70, s15, v65
	v_mul_lo_u32 v67, s14, v67
	v_mad_u64_u32 v[68:69], s[2:3], s14, v65, 0
	v_add3_u32 v69, v69, v67, v70
	v_lshlrev_b64 v[70:71], 1, v[68:69]
	v_add_co_u32_e32 v68, vcc, s16, v70
	v_addc_co_u32_e32 v65, vcc, v125, v71, vcc
	v_add_co_u32_e32 v70, vcc, s18, v70
	v_addc_co_u32_e32 v67, vcc, v127, v71, vcc
	v_add_co_u32_e32 v69, vcc, 14, v121
	v_addc_co_u32_e32 v71, vcc, 0, v123, vcc
	v_mul_lo_u32 v74, s15, v69
	v_mul_lo_u32 v71, s14, v71
	v_mad_u64_u32 v[72:73], s[2:3], s14, v69, 0
	v_add3_u32 v73, v73, v71, v74
	v_lshlrev_b64 v[74:75], 1, v[72:73]
	v_add_co_u32_e32 v72, vcc, s16, v74
	v_addc_co_u32_e32 v69, vcc, v125, v75, vcc
	v_add_co_u32_e32 v74, vcc, s18, v74
	v_addc_co_u32_e32 v71, vcc, v127, v75, vcc
	v_add_co_u32_e32 v73, vcc, 13, v121
	v_addc_co_u32_e32 v75, vcc, 0, v123, vcc
	v_mul_lo_u32 v78, s15, v73
	v_mul_lo_u32 v75, s14, v75
	v_mad_u64_u32 v[76:77], s[2:3], s14, v73, 0
	v_add3_u32 v77, v77, v75, v78
	v_lshlrev_b64 v[78:79], 1, v[76:77]
	v_add_co_u32_e32 v76, vcc, s16, v78
	v_addc_co_u32_e32 v73, vcc, v125, v79, vcc
	v_add_co_u32_e32 v78, vcc, s18, v78
	v_addc_co_u32_e32 v75, vcc, v127, v79, vcc
	v_add_co_u32_e32 v77, vcc, 12, v121
	v_addc_co_u32_e32 v79, vcc, 0, v123, vcc
	v_mul_lo_u32 v82, s15, v77
	v_mul_lo_u32 v79, s14, v79
	v_mad_u64_u32 v[80:81], s[2:3], s14, v77, 0
	v_add3_u32 v81, v81, v79, v82
	v_lshlrev_b64 v[82:83], 1, v[80:81]
	v_add_co_u32_e32 v80, vcc, s16, v82
	v_addc_co_u32_e32 v77, vcc, v125, v83, vcc
	v_add_co_u32_e32 v82, vcc, s18, v82
	v_addc_co_u32_e32 v79, vcc, v127, v83, vcc
	v_add_co_u32_e32 v81, vcc, 11, v121
	v_addc_co_u32_e32 v83, vcc, 0, v123, vcc
	v_mul_lo_u32 v86, s15, v81
	v_mul_lo_u32 v83, s14, v83
	v_mad_u64_u32 v[84:85], s[2:3], s14, v81, 0
	v_add3_u32 v85, v85, v83, v86
	v_lshlrev_b64 v[86:87], 1, v[84:85]
	v_add_co_u32_e32 v84, vcc, s16, v86
	v_addc_co_u32_e32 v81, vcc, v125, v87, vcc
	v_add_co_u32_e32 v86, vcc, s18, v86
	v_addc_co_u32_e32 v83, vcc, v127, v87, vcc
	v_add_co_u32_e32 v85, vcc, 10, v121
	v_addc_co_u32_e32 v87, vcc, 0, v123, vcc
	v_mul_lo_u32 v90, s15, v85
	v_mul_lo_u32 v87, s14, v87
	v_mad_u64_u32 v[88:89], s[2:3], s14, v85, 0
	v_add3_u32 v89, v89, v87, v90
	v_lshlrev_b64 v[90:91], 1, v[88:89]
	v_add_co_u32_e32 v88, vcc, s16, v90
	v_addc_co_u32_e32 v85, vcc, v125, v91, vcc
	v_add_co_u32_e32 v90, vcc, s18, v90
	v_addc_co_u32_e32 v87, vcc, v127, v91, vcc
	v_add_co_u32_e32 v89, vcc, 9, v121
	v_addc_co_u32_e32 v91, vcc, 0, v123, vcc
	v_mul_lo_u32 v94, s15, v89
	v_mul_lo_u32 v91, s14, v91
	v_mad_u64_u32 v[92:93], s[2:3], s14, v89, 0
	v_add3_u32 v93, v93, v91, v94
	v_lshlrev_b64 v[94:95], 1, v[92:93]
	v_add_co_u32_e32 v92, vcc, s16, v94
	v_addc_co_u32_e32 v89, vcc, v125, v95, vcc
	v_add_co_u32_e32 v94, vcc, s18, v94
	v_addc_co_u32_e32 v91, vcc, v127, v95, vcc
	v_add_co_u32_e32 v93, vcc, 8, v121
	v_addc_co_u32_e32 v95, vcc, 0, v123, vcc
	v_mul_lo_u32 v98, s15, v93
	v_mul_lo_u32 v95, s14, v95
	v_mad_u64_u32 v[96:97], s[2:3], s14, v93, 0
	v_add3_u32 v97, v97, v95, v98
	v_lshlrev_b64 v[98:99], 1, v[96:97]
	v_add_co_u32_e32 v96, vcc, s16, v98
	v_addc_co_u32_e32 v93, vcc, v125, v99, vcc
	v_add_co_u32_e32 v98, vcc, s18, v98
	v_addc_co_u32_e32 v95, vcc, v127, v99, vcc
	v_add_co_u32_e32 v97, vcc, 7, v121
	v_addc_co_u32_e32 v99, vcc, 0, v123, vcc
	v_mul_lo_u32 v102, s15, v97
	v_mul_lo_u32 v99, s14, v99
	v_mad_u64_u32 v[100:101], s[2:3], s14, v97, 0
	v_add3_u32 v101, v101, v99, v102
	v_lshlrev_b64 v[102:103], 1, v[100:101]
	v_add_co_u32_e32 v100, vcc, s16, v102
	v_addc_co_u32_e32 v97, vcc, v125, v103, vcc
	v_add_co_u32_e32 v102, vcc, s18, v102
	v_addc_co_u32_e32 v99, vcc, v127, v103, vcc
	v_add_co_u32_e32 v101, vcc, 6, v121
	v_addc_co_u32_e32 v103, vcc, 0, v123, vcc
	v_mul_lo_u32 v106, s15, v101
	v_mul_lo_u32 v103, s14, v103
	v_mad_u64_u32 v[104:105], s[2:3], s14, v101, 0
	v_add3_u32 v105, v105, v103, v106
	v_lshlrev_b64 v[106:107], 1, v[104:105]
	v_add_co_u32_e32 v104, vcc, s16, v106
	v_addc_co_u32_e32 v101, vcc, v125, v107, vcc
	v_add_co_u32_e32 v106, vcc, s18, v106
	v_addc_co_u32_e32 v103, vcc, v127, v107, vcc
	v_add_co_u32_e32 v105, vcc, 5, v121
	v_addc_co_u32_e32 v107, vcc, 0, v123, vcc
	v_mul_lo_u32 v110, s15, v105
	v_mul_lo_u32 v107, s14, v107
	v_mad_u64_u32 v[108:109], s[2:3], s14, v105, 0
	v_add3_u32 v109, v109, v107, v110
	v_lshlrev_b64 v[110:111], 1, v[108:109]
	v_add_co_u32_e32 v108, vcc, s16, v110
	v_addc_co_u32_e32 v105, vcc, v125, v111, vcc
	v_add_co_u32_e32 v110, vcc, s18, v110
	v_addc_co_u32_e32 v107, vcc, v127, v111, vcc
	v_add_co_u32_e32 v109, vcc, 4, v121
	v_addc_co_u32_e32 v111, vcc, 0, v123, vcc
	v_mul_lo_u32 v114, s15, v109
	v_mul_lo_u32 v111, s14, v111
	v_mad_u64_u32 v[112:113], s[2:3], s14, v109, 0
	v_add3_u32 v113, v113, v111, v114
	v_lshlrev_b64 v[114:115], 1, v[112:113]
	v_add_co_u32_e32 v112, vcc, s16, v114
	v_addc_co_u32_e32 v109, vcc, v125, v115, vcc
	v_add_co_u32_e32 v114, vcc, s18, v114
	v_addc_co_u32_e32 v111, vcc, v127, v115, vcc
	v_add_co_u32_e32 v113, vcc, 3, v121
	v_addc_co_u32_e32 v115, vcc, 0, v123, vcc
	v_mul_lo_u32 v118, s15, v113
	v_mul_lo_u32 v115, s14, v115
	v_mad_u64_u32 v[116:117], s[2:3], s14, v113, 0
	v_add3_u32 v117, v117, v115, v118
	v_lshlrev_b64 v[118:119], 1, v[116:117]
	v_add_co_u32_e32 v116, vcc, s16, v118
	v_addc_co_u32_e32 v113, vcc, v125, v119, vcc
	v_add_co_u32_e32 v118, vcc, s18, v118
	v_addc_co_u32_e32 v115, vcc, v127, v119, vcc
	v_add_co_u32_e32 v117, vcc, 2, v121
	v_addc_co_u32_e32 v119, vcc, 0, v123, vcc
	v_mul_lo_u32 v120, s15, v117
	v_mul_lo_u32 v119, s14, v119
	v_mad_u64_u32 v[128:129], s[2:3], s14, v117, 0
	v_add3_u32 v129, v129, v119, v120
	v_lshlrev_b64 v[128:129], 1, v[128:129]
	v_add_co_u32_e32 v120, vcc, s16, v128
	v_addc_co_u32_e32 v117, vcc, v125, v129, vcc
	v_add_co_u32_e32 v122, vcc, s18, v128
	v_addc_co_u32_e32 v119, vcc, v127, v129, vcc
	v_pk_mov_b32 v[128:129], s[14:15], s[14:15] op_sel:[0,1]
	v_mad_u64_u32 v[128:129], s[2:3], s14, v121, v[128:129]
	v_mul_lo_u32 v123, s14, v123
	v_mul_lo_u32 v124, s15, v121
	v_add3_u32 v129, v124, v129, v123
	v_lshlrev_b64 v[128:129], 1, v[128:129]
	v_mad_u64_u32 v[130:131], s[2:3], s14, v121, 0
	v_add3_u32 v131, v131, v123, v124
	v_add_co_u32_e32 v124, vcc, s16, v128
	v_addc_co_u32_e32 v121, vcc, v125, v129, vcc
	s_load_dword s10, s[4:5], 0x44
	v_add_co_u32_e32 v126, vcc, s18, v128
	v_addc_co_u32_e32 v123, vcc, v127, v129, vcc
	v_lshlrev_b64 v[130:131], 1, v[130:131]
	v_add_co_u32_e32 v128, vcc, s16, v130
	v_addc_co_u32_e32 v125, vcc, v125, v131, vcc
	s_add_u32 s24, s4, 64
	v_add_co_u32_e32 v130, vcc, s18, v130
	s_addc_u32 s25, s5, 0
	s_waitcnt lgkmcnt(0)
	s_lshl_b32 s33, s10, 5
	v_mbcnt_lo_u32_b32 v129, -1, 0
	v_addc_co_u32_e32 v127, vcc, v127, v131, vcc
	v_and_b32_e32 v131, 0x3ff, v206
	s_mul_i32 s10, s15, s33
	s_mul_hi_u32 s11, s14, s33
	v_mbcnt_hi_u32_b32 v129, -1, v129
	v_add_u32_e32 v132, s7, v131
	v_mov_b32_e32 v133, 0
	s_add_i32 s11, s11, s10
	s_mul_i32 s10, s14, s33
	v_lshlrev_b32_e32 v129, 2, v129
	s_mov_b32 s9, 0
	v_cmp_gt_i64_e64 s[2:3], s[14:15], v[132:133]
	s_mov_b64 s[26:27], 31
	s_lshl_b64 s[28:29], s[10:11], 1
	v_and_b32_e32 v162, 0x100, v129
	s_mov_b64 s[30:31], s[22:23]
	v_mov_b32_e32 v163, 0
	v_mov_b32_e32 v129, v133
	v_lshlrev_b64 v[134:135], 1, v[132:133]
.LBB189_3:                              ; =>This Inner Loop Header: Depth=1
	s_add_u32 s10, s22, s26
	s_addc_u32 s11, 0, s27
	v_pk_mov_b32 v[136:137], s[12:13], s[12:13] op_sel:[0,1]
	v_cmp_ge_i64_e32 vcc, s[10:11], v[136:137]
	v_mov_b32_e32 v132, s23
	v_add_co_u32_e64 v136, s[10:11], s22, v2
	v_addc_co_u32_e64 v137, s[10:11], v132, v129, s[10:11]
	s_cbranch_vccz .LBB189_73
; %bb.4:                                ;   in Loop: Header=BB189_3 Depth=1
	s_load_dword s10, s[24:25], 0xc
	v_mov_b32_e32 v164, 0
	s_waitcnt lgkmcnt(0)
	s_and_b32 s10, s10, 0xffff
	v_mad_u32_u24 v132, v0, s10, v131
	v_and_b32_e32 v138, 63, v132
	v_cmp_gt_u32_e32 vcc, 32, v138
	v_mov_b32_e32 v132, 0
	s_and_saveexec_b64 s[10:11], vcc
	s_cbranch_execz .LBB189_8
; %bb.5:                                ;   in Loop: Header=BB189_3 Depth=1
	v_add_co_u32_e32 v138, vcc, v136, v138
	v_addc_co_u32_e32 v139, vcc, 0, v137, vcc
	v_cmp_gt_i64_e32 vcc, s[12:13], v[138:139]
	v_mov_b32_e32 v132, 0
	s_and_saveexec_b64 s[34:35], vcc
	s_cbranch_execz .LBB189_7
; %bb.6:                                ;   in Loop: Header=BB189_3 Depth=1
	v_lshlrev_b64 v[138:139], 2, v[138:139]
	v_mov_b32_e32 v132, s21
	v_add_co_u32_e32 v138, vcc, s20, v138
	v_addc_co_u32_e32 v139, vcc, v132, v139, vcc
	global_load_dword v132, v[138:139], off
.LBB189_7:                              ;   in Loop: Header=BB189_3 Depth=1
	s_or_b64 exec, exec, s[34:35]
.LBB189_8:                              ;   in Loop: Header=BB189_3 Depth=1
	s_or_b64 exec, exec, s[10:11]
	v_cmp_gt_i64_e32 vcc, s[12:13], v[136:137]
	s_and_b64 s[34:35], s[2:3], vcc
	v_mov_b32_e32 v165, 0
	s_and_saveexec_b64 s[10:11], s[34:35]
	s_cbranch_execz .LBB189_10
; %bb.9:                                ;   in Loop: Header=BB189_3 Depth=1
	v_add_co_u32_e32 v138, vcc, v128, v134
	v_addc_co_u32_e32 v139, vcc, v125, v135, vcc
	v_add_co_u32_e32 v140, vcc, v130, v134
	v_addc_co_u32_e32 v141, vcc, v127, v135, vcc
	global_load_ushort v138, v[138:139], off
	s_nop 0
	global_load_ushort v139, v[140:141], off
	s_waitcnt vmcnt(1)
	v_lshlrev_b32_e32 v164, 16, v138
	s_waitcnt vmcnt(0)
	v_lshlrev_b32_e32 v165, 16, v139
.LBB189_10:                             ;   in Loop: Header=BB189_3 Depth=1
	s_or_b64 exec, exec, s[10:11]
	v_add_co_u32_e32 v138, vcc, 1, v136
	v_addc_co_u32_e32 v139, vcc, 0, v137, vcc
	v_cmp_gt_i64_e32 vcc, s[12:13], v[138:139]
	s_and_b64 s[34:35], s[2:3], vcc
	v_mov_b32_e32 v166, 0
	v_mov_b32_e32 v167, 0
	v_mov_b32_e32 v168, 0
	s_and_saveexec_b64 s[10:11], s[34:35]
	s_cbranch_execz .LBB189_12
; %bb.11:                               ;   in Loop: Header=BB189_3 Depth=1
	v_add_co_u32_e32 v138, vcc, v124, v134
	v_addc_co_u32_e32 v139, vcc, v121, v135, vcc
	v_add_co_u32_e32 v140, vcc, v126, v134
	v_addc_co_u32_e32 v141, vcc, v123, v135, vcc
	global_load_ushort v138, v[138:139], off
	s_nop 0
	global_load_ushort v139, v[140:141], off
	s_waitcnt vmcnt(1)
	v_lshlrev_b32_e32 v167, 16, v138
	s_waitcnt vmcnt(0)
	v_lshlrev_b32_e32 v168, 16, v139
.LBB189_12:                             ;   in Loop: Header=BB189_3 Depth=1
	s_or_b64 exec, exec, s[10:11]
	v_add_co_u32_e32 v138, vcc, 2, v136
	v_addc_co_u32_e32 v139, vcc, 0, v137, vcc
	v_cmp_gt_i64_e32 vcc, s[12:13], v[138:139]
	s_and_b64 s[34:35], s[2:3], vcc
	v_mov_b32_e32 v169, 0
	s_and_saveexec_b64 s[10:11], s[34:35]
	s_cbranch_execz .LBB189_14
; %bb.13:                               ;   in Loop: Header=BB189_3 Depth=1
	v_add_co_u32_e32 v138, vcc, v120, v134
	v_addc_co_u32_e32 v139, vcc, v117, v135, vcc
	v_add_co_u32_e32 v140, vcc, v122, v134
	v_addc_co_u32_e32 v141, vcc, v119, v135, vcc
	global_load_ushort v138, v[138:139], off
	s_nop 0
	global_load_ushort v139, v[140:141], off
	s_waitcnt vmcnt(1)
	v_lshlrev_b32_e32 v166, 16, v138
	s_waitcnt vmcnt(0)
	v_lshlrev_b32_e32 v169, 16, v139
.LBB189_14:                             ;   in Loop: Header=BB189_3 Depth=1
	s_or_b64 exec, exec, s[10:11]
	v_add_co_u32_e32 v138, vcc, 3, v136
	v_addc_co_u32_e32 v139, vcc, 0, v137, vcc
	v_cmp_gt_i64_e32 vcc, s[12:13], v[138:139]
	s_and_b64 s[34:35], s[2:3], vcc
	v_mov_b32_e32 v170, 0
	v_mov_b32_e32 v171, 0
	v_mov_b32_e32 v172, 0
	s_and_saveexec_b64 s[10:11], s[34:35]
	s_cbranch_execz .LBB189_16
; %bb.15:                               ;   in Loop: Header=BB189_3 Depth=1
	v_add_co_u32_e32 v138, vcc, v116, v134
	v_addc_co_u32_e32 v139, vcc, v113, v135, vcc
	v_add_co_u32_e32 v140, vcc, v118, v134
	v_addc_co_u32_e32 v141, vcc, v115, v135, vcc
	global_load_ushort v138, v[138:139], off
	s_nop 0
	global_load_ushort v139, v[140:141], off
	s_waitcnt vmcnt(1)
	v_lshlrev_b32_e32 v171, 16, v138
	s_waitcnt vmcnt(0)
	v_lshlrev_b32_e32 v172, 16, v139
.LBB189_16:                             ;   in Loop: Header=BB189_3 Depth=1
	s_or_b64 exec, exec, s[10:11]
	v_add_co_u32_e32 v138, vcc, 4, v136
	v_addc_co_u32_e32 v139, vcc, 0, v137, vcc
	v_cmp_gt_i64_e32 vcc, s[12:13], v[138:139]
	s_and_b64 s[34:35], s[2:3], vcc
	v_mov_b32_e32 v173, 0
	s_and_saveexec_b64 s[10:11], s[34:35]
	s_cbranch_execz .LBB189_18
; %bb.17:                               ;   in Loop: Header=BB189_3 Depth=1
	v_add_co_u32_e32 v138, vcc, v112, v134
	v_addc_co_u32_e32 v139, vcc, v109, v135, vcc
	v_add_co_u32_e32 v140, vcc, v114, v134
	v_addc_co_u32_e32 v141, vcc, v111, v135, vcc
	global_load_ushort v138, v[138:139], off
	s_nop 0
	global_load_ushort v139, v[140:141], off
	s_waitcnt vmcnt(1)
	v_lshlrev_b32_e32 v170, 16, v138
	s_waitcnt vmcnt(0)
	v_lshlrev_b32_e32 v173, 16, v139
.LBB189_18:                             ;   in Loop: Header=BB189_3 Depth=1
	s_or_b64 exec, exec, s[10:11]
	v_add_co_u32_e32 v138, vcc, 5, v136
	v_addc_co_u32_e32 v139, vcc, 0, v137, vcc
	v_cmp_gt_i64_e32 vcc, s[12:13], v[138:139]
	s_and_b64 s[34:35], s[2:3], vcc
	v_mov_b32_e32 v174, 0
	v_mov_b32_e32 v175, 0
	v_mov_b32_e32 v176, 0
	s_and_saveexec_b64 s[10:11], s[34:35]
	s_cbranch_execz .LBB189_20
; %bb.19:                               ;   in Loop: Header=BB189_3 Depth=1
	v_add_co_u32_e32 v138, vcc, v108, v134
	v_addc_co_u32_e32 v139, vcc, v105, v135, vcc
	v_add_co_u32_e32 v140, vcc, v110, v134
	v_addc_co_u32_e32 v141, vcc, v107, v135, vcc
	global_load_ushort v138, v[138:139], off
	s_nop 0
	global_load_ushort v139, v[140:141], off
	s_waitcnt vmcnt(1)
	v_lshlrev_b32_e32 v175, 16, v138
	s_waitcnt vmcnt(0)
	v_lshlrev_b32_e32 v176, 16, v139
.LBB189_20:                             ;   in Loop: Header=BB189_3 Depth=1
	s_or_b64 exec, exec, s[10:11]
	v_add_co_u32_e32 v138, vcc, 6, v136
	v_addc_co_u32_e32 v139, vcc, 0, v137, vcc
	v_cmp_gt_i64_e32 vcc, s[12:13], v[138:139]
	s_and_b64 s[34:35], s[2:3], vcc
	v_mov_b32_e32 v177, 0
	s_and_saveexec_b64 s[10:11], s[34:35]
	s_cbranch_execz .LBB189_22
; %bb.21:                               ;   in Loop: Header=BB189_3 Depth=1
	v_add_co_u32_e32 v138, vcc, v104, v134
	v_addc_co_u32_e32 v139, vcc, v101, v135, vcc
	v_add_co_u32_e32 v140, vcc, v106, v134
	v_addc_co_u32_e32 v141, vcc, v103, v135, vcc
	global_load_ushort v138, v[138:139], off
	s_nop 0
	global_load_ushort v139, v[140:141], off
	s_waitcnt vmcnt(1)
	v_lshlrev_b32_e32 v174, 16, v138
	s_waitcnt vmcnt(0)
	v_lshlrev_b32_e32 v177, 16, v139
.LBB189_22:                             ;   in Loop: Header=BB189_3 Depth=1
	s_or_b64 exec, exec, s[10:11]
	v_add_co_u32_e32 v138, vcc, 7, v136
	v_addc_co_u32_e32 v139, vcc, 0, v137, vcc
	v_cmp_gt_i64_e32 vcc, s[12:13], v[138:139]
	s_and_b64 s[34:35], s[2:3], vcc
	v_mov_b32_e32 v178, 0
	v_mov_b32_e32 v179, 0
	v_mov_b32_e32 v180, 0
	s_and_saveexec_b64 s[10:11], s[34:35]
	s_cbranch_execz .LBB189_24
; %bb.23:                               ;   in Loop: Header=BB189_3 Depth=1
	v_add_co_u32_e32 v138, vcc, v100, v134
	v_addc_co_u32_e32 v139, vcc, v97, v135, vcc
	v_add_co_u32_e32 v140, vcc, v102, v134
	v_addc_co_u32_e32 v141, vcc, v99, v135, vcc
	global_load_ushort v138, v[138:139], off
	s_nop 0
	global_load_ushort v139, v[140:141], off
	s_waitcnt vmcnt(1)
	v_lshlrev_b32_e32 v179, 16, v138
	s_waitcnt vmcnt(0)
	v_lshlrev_b32_e32 v180, 16, v139
.LBB189_24:                             ;   in Loop: Header=BB189_3 Depth=1
	s_or_b64 exec, exec, s[10:11]
	v_add_co_u32_e32 v138, vcc, 8, v136
	v_addc_co_u32_e32 v139, vcc, 0, v137, vcc
	v_cmp_gt_i64_e32 vcc, s[12:13], v[138:139]
	s_and_b64 s[34:35], s[2:3], vcc
	v_mov_b32_e32 v181, 0
	s_and_saveexec_b64 s[10:11], s[34:35]
	s_cbranch_execz .LBB189_26
; %bb.25:                               ;   in Loop: Header=BB189_3 Depth=1
	v_add_co_u32_e32 v138, vcc, v96, v134
	v_addc_co_u32_e32 v139, vcc, v93, v135, vcc
	v_add_co_u32_e32 v140, vcc, v98, v134
	v_addc_co_u32_e32 v141, vcc, v95, v135, vcc
	global_load_ushort v138, v[138:139], off
	s_nop 0
	global_load_ushort v139, v[140:141], off
	s_waitcnt vmcnt(1)
	v_lshlrev_b32_e32 v178, 16, v138
	s_waitcnt vmcnt(0)
	v_lshlrev_b32_e32 v181, 16, v139
.LBB189_26:                             ;   in Loop: Header=BB189_3 Depth=1
	s_or_b64 exec, exec, s[10:11]
	v_add_co_u32_e32 v138, vcc, 9, v136
	v_addc_co_u32_e32 v139, vcc, 0, v137, vcc
	v_cmp_gt_i64_e32 vcc, s[12:13], v[138:139]
	s_and_b64 s[34:35], s[2:3], vcc
	v_mov_b32_e32 v182, 0
	v_mov_b32_e32 v183, 0
	v_mov_b32_e32 v184, 0
	s_and_saveexec_b64 s[10:11], s[34:35]
	s_cbranch_execz .LBB189_28
; %bb.27:                               ;   in Loop: Header=BB189_3 Depth=1
	v_add_co_u32_e32 v138, vcc, v92, v134
	v_addc_co_u32_e32 v139, vcc, v89, v135, vcc
	v_add_co_u32_e32 v140, vcc, v94, v134
	v_addc_co_u32_e32 v141, vcc, v91, v135, vcc
	global_load_ushort v138, v[138:139], off
	s_nop 0
	global_load_ushort v139, v[140:141], off
	s_waitcnt vmcnt(1)
	v_lshlrev_b32_e32 v183, 16, v138
	s_waitcnt vmcnt(0)
	v_lshlrev_b32_e32 v184, 16, v139
.LBB189_28:                             ;   in Loop: Header=BB189_3 Depth=1
	s_or_b64 exec, exec, s[10:11]
	v_add_co_u32_e32 v138, vcc, 10, v136
	v_addc_co_u32_e32 v139, vcc, 0, v137, vcc
	v_cmp_gt_i64_e32 vcc, s[12:13], v[138:139]
	s_and_b64 s[34:35], s[2:3], vcc
	v_mov_b32_e32 v185, 0
	s_and_saveexec_b64 s[10:11], s[34:35]
	s_cbranch_execz .LBB189_30
; %bb.29:                               ;   in Loop: Header=BB189_3 Depth=1
	v_add_co_u32_e32 v138, vcc, v88, v134
	v_addc_co_u32_e32 v139, vcc, v85, v135, vcc
	v_add_co_u32_e32 v140, vcc, v90, v134
	v_addc_co_u32_e32 v141, vcc, v87, v135, vcc
	global_load_ushort v138, v[138:139], off
	s_nop 0
	global_load_ushort v139, v[140:141], off
	s_waitcnt vmcnt(1)
	v_lshlrev_b32_e32 v182, 16, v138
	s_waitcnt vmcnt(0)
	v_lshlrev_b32_e32 v185, 16, v139
.LBB189_30:                             ;   in Loop: Header=BB189_3 Depth=1
	s_or_b64 exec, exec, s[10:11]
	v_add_co_u32_e32 v138, vcc, 11, v136
	v_addc_co_u32_e32 v139, vcc, 0, v137, vcc
	v_cmp_gt_i64_e32 vcc, s[12:13], v[138:139]
	s_and_b64 s[34:35], s[2:3], vcc
	v_mov_b32_e32 v186, 0
	v_mov_b32_e32 v187, 0
	v_mov_b32_e32 v188, 0
	s_and_saveexec_b64 s[10:11], s[34:35]
	s_cbranch_execz .LBB189_32
; %bb.31:                               ;   in Loop: Header=BB189_3 Depth=1
	v_add_co_u32_e32 v138, vcc, v84, v134
	v_addc_co_u32_e32 v139, vcc, v81, v135, vcc
	v_add_co_u32_e32 v140, vcc, v86, v134
	v_addc_co_u32_e32 v141, vcc, v83, v135, vcc
	global_load_ushort v138, v[138:139], off
	s_nop 0
	global_load_ushort v139, v[140:141], off
	s_waitcnt vmcnt(1)
	v_lshlrev_b32_e32 v187, 16, v138
	s_waitcnt vmcnt(0)
	v_lshlrev_b32_e32 v188, 16, v139
.LBB189_32:                             ;   in Loop: Header=BB189_3 Depth=1
	s_or_b64 exec, exec, s[10:11]
	v_add_co_u32_e32 v138, vcc, 12, v136
	v_addc_co_u32_e32 v139, vcc, 0, v137, vcc
	v_cmp_gt_i64_e32 vcc, s[12:13], v[138:139]
	s_and_b64 s[34:35], s[2:3], vcc
	v_mov_b32_e32 v189, 0
	s_and_saveexec_b64 s[10:11], s[34:35]
	s_cbranch_execz .LBB189_34
; %bb.33:                               ;   in Loop: Header=BB189_3 Depth=1
	v_add_co_u32_e32 v138, vcc, v80, v134
	v_addc_co_u32_e32 v139, vcc, v77, v135, vcc
	v_add_co_u32_e32 v140, vcc, v82, v134
	v_addc_co_u32_e32 v141, vcc, v79, v135, vcc
	global_load_ushort v138, v[138:139], off
	s_nop 0
	global_load_ushort v139, v[140:141], off
	s_waitcnt vmcnt(1)
	v_lshlrev_b32_e32 v186, 16, v138
	s_waitcnt vmcnt(0)
	v_lshlrev_b32_e32 v189, 16, v139
.LBB189_34:                             ;   in Loop: Header=BB189_3 Depth=1
	s_or_b64 exec, exec, s[10:11]
	v_add_co_u32_e32 v138, vcc, 13, v136
	v_addc_co_u32_e32 v139, vcc, 0, v137, vcc
	v_cmp_gt_i64_e32 vcc, s[12:13], v[138:139]
	s_and_b64 s[34:35], s[2:3], vcc
	v_mov_b32_e32 v190, 0
	v_mov_b32_e32 v191, 0
	v_mov_b32_e32 v192, 0
	s_and_saveexec_b64 s[10:11], s[34:35]
	s_cbranch_execz .LBB189_36
; %bb.35:                               ;   in Loop: Header=BB189_3 Depth=1
	v_add_co_u32_e32 v138, vcc, v76, v134
	v_addc_co_u32_e32 v139, vcc, v73, v135, vcc
	v_add_co_u32_e32 v140, vcc, v78, v134
	v_addc_co_u32_e32 v141, vcc, v75, v135, vcc
	global_load_ushort v138, v[138:139], off
	s_nop 0
	global_load_ushort v139, v[140:141], off
	s_waitcnt vmcnt(1)
	v_lshlrev_b32_e32 v191, 16, v138
	s_waitcnt vmcnt(0)
	v_lshlrev_b32_e32 v192, 16, v139
.LBB189_36:                             ;   in Loop: Header=BB189_3 Depth=1
	s_or_b64 exec, exec, s[10:11]
	v_add_co_u32_e32 v138, vcc, 14, v136
	v_addc_co_u32_e32 v139, vcc, 0, v137, vcc
	v_cmp_gt_i64_e32 vcc, s[12:13], v[138:139]
	s_and_b64 s[34:35], s[2:3], vcc
	v_mov_b32_e32 v193, 0
	s_and_saveexec_b64 s[10:11], s[34:35]
	s_cbranch_execz .LBB189_38
; %bb.37:                               ;   in Loop: Header=BB189_3 Depth=1
	v_add_co_u32_e32 v138, vcc, v72, v134
	v_addc_co_u32_e32 v139, vcc, v69, v135, vcc
	v_add_co_u32_e32 v140, vcc, v74, v134
	v_addc_co_u32_e32 v141, vcc, v71, v135, vcc
	global_load_ushort v138, v[138:139], off
	s_nop 0
	global_load_ushort v139, v[140:141], off
	s_waitcnt vmcnt(1)
	v_lshlrev_b32_e32 v190, 16, v138
	s_waitcnt vmcnt(0)
	v_lshlrev_b32_e32 v193, 16, v139
.LBB189_38:                             ;   in Loop: Header=BB189_3 Depth=1
	s_or_b64 exec, exec, s[10:11]
	v_add_co_u32_e32 v138, vcc, 15, v136
	v_addc_co_u32_e32 v139, vcc, 0, v137, vcc
	v_cmp_gt_i64_e32 vcc, s[12:13], v[138:139]
	s_and_b64 s[34:35], s[2:3], vcc
	v_mov_b32_e32 v194, 0
	v_mov_b32_e32 v195, 0
	v_mov_b32_e32 v196, 0
	s_and_saveexec_b64 s[10:11], s[34:35]
	s_cbranch_execz .LBB189_40
; %bb.39:                               ;   in Loop: Header=BB189_3 Depth=1
	v_add_co_u32_e32 v138, vcc, v68, v134
	v_addc_co_u32_e32 v139, vcc, v65, v135, vcc
	v_add_co_u32_e32 v140, vcc, v70, v134
	v_addc_co_u32_e32 v141, vcc, v67, v135, vcc
	global_load_ushort v138, v[138:139], off
	s_nop 0
	global_load_ushort v139, v[140:141], off
	s_waitcnt vmcnt(1)
	v_lshlrev_b32_e32 v195, 16, v138
	s_waitcnt vmcnt(0)
	v_lshlrev_b32_e32 v196, 16, v139
.LBB189_40:                             ;   in Loop: Header=BB189_3 Depth=1
	s_or_b64 exec, exec, s[10:11]
	v_add_co_u32_e32 v138, vcc, 16, v136
	v_addc_co_u32_e32 v139, vcc, 0, v137, vcc
	v_cmp_gt_i64_e32 vcc, s[12:13], v[138:139]
	s_and_b64 s[34:35], s[2:3], vcc
	v_mov_b32_e32 v197, 0
	s_and_saveexec_b64 s[10:11], s[34:35]
	s_cbranch_execz .LBB189_42
; %bb.41:                               ;   in Loop: Header=BB189_3 Depth=1
	v_add_co_u32_e32 v138, vcc, v64, v134
	v_addc_co_u32_e32 v139, vcc, v61, v135, vcc
	v_add_co_u32_e32 v140, vcc, v66, v134
	v_addc_co_u32_e32 v141, vcc, v63, v135, vcc
	global_load_ushort v138, v[138:139], off
	s_nop 0
	global_load_ushort v139, v[140:141], off
	s_waitcnt vmcnt(1)
	v_lshlrev_b32_e32 v194, 16, v138
	s_waitcnt vmcnt(0)
	v_lshlrev_b32_e32 v197, 16, v139
.LBB189_42:                             ;   in Loop: Header=BB189_3 Depth=1
	s_or_b64 exec, exec, s[10:11]
	v_add_co_u32_e32 v138, vcc, 17, v136
	v_addc_co_u32_e32 v139, vcc, 0, v137, vcc
	v_cmp_gt_i64_e32 vcc, s[12:13], v[138:139]
	s_and_b64 s[34:35], s[2:3], vcc
	v_mov_b32_e32 v198, 0
	v_mov_b32_e32 v199, 0
	v_mov_b32_e32 v200, 0
	s_and_saveexec_b64 s[10:11], s[34:35]
	s_cbranch_execz .LBB189_44
; %bb.43:                               ;   in Loop: Header=BB189_3 Depth=1
	v_add_co_u32_e32 v138, vcc, v60, v134
	v_addc_co_u32_e32 v139, vcc, v57, v135, vcc
	v_add_co_u32_e32 v140, vcc, v62, v134
	v_addc_co_u32_e32 v141, vcc, v59, v135, vcc
	global_load_ushort v138, v[138:139], off
	s_nop 0
	global_load_ushort v139, v[140:141], off
	s_waitcnt vmcnt(1)
	v_lshlrev_b32_e32 v199, 16, v138
	s_waitcnt vmcnt(0)
	v_lshlrev_b32_e32 v200, 16, v139
.LBB189_44:                             ;   in Loop: Header=BB189_3 Depth=1
	s_or_b64 exec, exec, s[10:11]
	v_add_co_u32_e32 v138, vcc, 18, v136
	v_addc_co_u32_e32 v139, vcc, 0, v137, vcc
	v_cmp_gt_i64_e32 vcc, s[12:13], v[138:139]
	s_and_b64 s[34:35], s[2:3], vcc
	v_mov_b32_e32 v201, 0
	s_and_saveexec_b64 s[10:11], s[34:35]
	s_cbranch_execz .LBB189_46
; %bb.45:                               ;   in Loop: Header=BB189_3 Depth=1
	v_add_co_u32_e32 v138, vcc, v56, v134
	v_addc_co_u32_e32 v139, vcc, v53, v135, vcc
	v_add_co_u32_e32 v140, vcc, v58, v134
	v_addc_co_u32_e32 v141, vcc, v55, v135, vcc
	global_load_ushort v138, v[138:139], off
	s_nop 0
	global_load_ushort v139, v[140:141], off
	s_waitcnt vmcnt(1)
	v_lshlrev_b32_e32 v198, 16, v138
	s_waitcnt vmcnt(0)
	v_lshlrev_b32_e32 v201, 16, v139
.LBB189_46:                             ;   in Loop: Header=BB189_3 Depth=1
	s_or_b64 exec, exec, s[10:11]
	v_add_co_u32_e32 v138, vcc, 19, v136
	v_addc_co_u32_e32 v139, vcc, 0, v137, vcc
	v_cmp_gt_i64_e32 vcc, s[12:13], v[138:139]
	s_and_b64 s[34:35], s[2:3], vcc
	v_mov_b32_e32 v139, 0
	v_mov_b32_e32 v138, 0
	v_mov_b32_e32 v140, 0
	s_and_saveexec_b64 s[10:11], s[34:35]
	s_cbranch_execz .LBB189_48
; %bb.47:                               ;   in Loop: Header=BB189_3 Depth=1
	v_add_co_u32_e32 v140, vcc, v52, v134
	v_addc_co_u32_e32 v141, vcc, v49, v135, vcc
	v_add_co_u32_e32 v142, vcc, v54, v134
	v_addc_co_u32_e32 v143, vcc, v51, v135, vcc
	global_load_ushort v138, v[140:141], off
	s_nop 0
	global_load_ushort v140, v[142:143], off
	s_waitcnt vmcnt(1)
	v_lshlrev_b32_e32 v138, 16, v138
	s_waitcnt vmcnt(0)
	v_lshlrev_b32_e32 v140, 16, v140
.LBB189_48:                             ;   in Loop: Header=BB189_3 Depth=1
	s_or_b64 exec, exec, s[10:11]
	v_add_co_u32_e32 v142, vcc, 20, v136
	v_addc_co_u32_e32 v143, vcc, 0, v137, vcc
	v_cmp_gt_i64_e32 vcc, s[12:13], v[142:143]
	s_and_b64 s[34:35], s[2:3], vcc
	v_mov_b32_e32 v141, 0
	s_and_saveexec_b64 s[10:11], s[34:35]
	s_cbranch_execz .LBB189_50
; %bb.49:                               ;   in Loop: Header=BB189_3 Depth=1
	v_add_co_u32_e32 v142, vcc, v48, v134
	v_addc_co_u32_e32 v143, vcc, v45, v135, vcc
	v_add_co_u32_e32 v144, vcc, v50, v134
	v_addc_co_u32_e32 v145, vcc, v47, v135, vcc
	global_load_ushort v139, v[142:143], off
	global_load_ushort v141, v[144:145], off
	s_waitcnt vmcnt(1)
	v_lshlrev_b32_e32 v139, 16, v139
	s_waitcnt vmcnt(0)
	v_lshlrev_b32_e32 v141, 16, v141
.LBB189_50:                             ;   in Loop: Header=BB189_3 Depth=1
	s_or_b64 exec, exec, s[10:11]
	v_add_co_u32_e32 v142, vcc, 21, v136
	v_addc_co_u32_e32 v143, vcc, 0, v137, vcc
	v_cmp_gt_i64_e32 vcc, s[12:13], v[142:143]
	s_and_b64 s[34:35], s[2:3], vcc
	v_mov_b32_e32 v143, 0
	v_mov_b32_e32 v142, 0
	v_mov_b32_e32 v144, 0
	s_and_saveexec_b64 s[10:11], s[34:35]
	s_cbranch_execz .LBB189_52
; %bb.51:                               ;   in Loop: Header=BB189_3 Depth=1
	v_add_co_u32_e32 v144, vcc, v44, v134
	v_addc_co_u32_e32 v145, vcc, v41, v135, vcc
	v_add_co_u32_e32 v146, vcc, v46, v134
	v_addc_co_u32_e32 v147, vcc, v43, v135, vcc
	global_load_ushort v142, v[144:145], off
	s_nop 0
	global_load_ushort v144, v[146:147], off
	s_waitcnt vmcnt(1)
	v_lshlrev_b32_e32 v142, 16, v142
	s_waitcnt vmcnt(0)
	v_lshlrev_b32_e32 v144, 16, v144
.LBB189_52:                             ;   in Loop: Header=BB189_3 Depth=1
	s_or_b64 exec, exec, s[10:11]
	v_add_co_u32_e32 v146, vcc, 22, v136
	v_addc_co_u32_e32 v147, vcc, 0, v137, vcc
	v_cmp_gt_i64_e32 vcc, s[12:13], v[146:147]
	s_and_b64 s[34:35], s[2:3], vcc
	v_mov_b32_e32 v145, 0
	s_and_saveexec_b64 s[10:11], s[34:35]
	s_cbranch_execz .LBB189_54
; %bb.53:                               ;   in Loop: Header=BB189_3 Depth=1
	v_add_co_u32_e32 v146, vcc, v40, v134
	v_addc_co_u32_e32 v147, vcc, v37, v135, vcc
	v_add_co_u32_e32 v148, vcc, v42, v134
	v_addc_co_u32_e32 v149, vcc, v39, v135, vcc
	global_load_ushort v143, v[146:147], off
	global_load_ushort v145, v[148:149], off
	s_waitcnt vmcnt(1)
	v_lshlrev_b32_e32 v143, 16, v143
	s_waitcnt vmcnt(0)
	v_lshlrev_b32_e32 v145, 16, v145
.LBB189_54:                             ;   in Loop: Header=BB189_3 Depth=1
	;; [unrolled: 43-line block ×6, first 2 shown]
	s_or_b64 exec, exec, s[10:11]
	v_add_co_u32_e32 v202, vcc, 31, v136
	v_addc_co_u32_e32 v203, vcc, 0, v137, vcc
	v_cmp_gt_i64_e32 vcc, s[12:13], v[202:203]
	s_and_b64 s[34:35], s[2:3], vcc
	v_mov_b32_e32 v202, 0
	s_and_saveexec_b64 s[10:11], s[34:35]
	s_cbranch_execz .LBB189_72
; %bb.71:                               ;   in Loop: Header=BB189_3 Depth=1
	v_add_co_u32_e32 v202, vcc, v4, v134
	v_addc_co_u32_e32 v203, vcc, v1, v135, vcc
	v_add_co_u32_e32 v204, vcc, v6, v134
	v_addc_co_u32_e32 v205, vcc, v3, v135, vcc
	global_load_ushort v202, v[202:203], off
	s_nop 0
	global_load_ushort v203, v[204:205], off
	s_waitcnt vmcnt(1)
	v_lshlrev_b32_e32 v202, 16, v202
	s_waitcnt vmcnt(0)
	v_lshlrev_b32_e32 v203, 16, v203
	v_mul_f32_e32 v202, v203, v202
.LBB189_72:                             ;   in Loop: Header=BB189_3 Depth=1
	s_or_b64 exec, exec, s[10:11]
	s_waitcnt vmcnt(0)
	ds_bpermute_b32 v203, v162, v132
	ds_bpermute_b32 v204, v162, v132 offset:4
	v_mul_f32_e32 v164, v164, v165
	v_mul_f32_e32 v165, v167, v168
	ds_bpermute_b32 v167, v162, v132 offset:8
	s_waitcnt lgkmcnt(2)
	v_fma_f32 v168, v164, v203, v163
	ds_bpermute_b32 v164, v162, v132 offset:12
	s_waitcnt lgkmcnt(2)
	v_fmac_f32_e32 v168, v165, v204
	v_mul_f32_e32 v165, v166, v169
	s_waitcnt lgkmcnt(1)
	v_fmac_f32_e32 v168, v165, v167
	ds_bpermute_b32 v165, v162, v132 offset:16
	v_mul_f32_e32 v166, v171, v172
	s_waitcnt lgkmcnt(1)
	v_fmac_f32_e32 v168, v166, v164
	ds_bpermute_b32 v164, v162, v132 offset:20
	;; [unrolled: 4-line block ×10, first 2 shown]
	v_mul_f32_e32 v166, v186, v189
	s_waitcnt lgkmcnt(1)
	v_fmac_f32_e32 v168, v166, v165
	v_mul_f32_e32 v165, v191, v192
	ds_bpermute_b32 v166, v162, v132 offset:56
	s_waitcnt lgkmcnt(1)
	v_fmac_f32_e32 v168, v165, v164
	ds_bpermute_b32 v164, v162, v132 offset:60
	ds_bpermute_b32 v167, v162, v132 offset:64
	v_mul_f32_e32 v165, v190, v193
	s_waitcnt lgkmcnt(2)
	v_fmac_f32_e32 v168, v165, v166
	v_mul_f32_e32 v165, v195, v196
	s_waitcnt lgkmcnt(1)
	v_fmac_f32_e32 v168, v165, v164
	v_mul_f32_e32 v164, v194, v197
	ds_bpermute_b32 v166, v162, v132 offset:68
	s_waitcnt lgkmcnt(1)
	v_fmac_f32_e32 v168, v164, v167
	ds_bpermute_b32 v169, v162, v132 offset:72
	ds_bpermute_b32 v164, v162, v132 offset:76
	;; [unrolled: 1-line block ×3, first 2 shown]
	v_mul_f32_e32 v167, v199, v200
	s_waitcnt lgkmcnt(3)
	v_fmac_f32_e32 v168, v167, v166
	v_mul_f32_e32 v166, v198, v201
	v_pk_mul_f32 v[138:139], v[138:139], v[140:141]
	ds_bpermute_b32 v140, v162, v132 offset:84
	ds_bpermute_b32 v141, v162, v132 offset:88
	s_waitcnt lgkmcnt(4)
	v_fmac_f32_e32 v168, v166, v169
	s_waitcnt lgkmcnt(2)
	v_pk_mul_f32 v[138:139], v[138:139], v[164:165]
	v_add_f32_e32 v138, v168, v138
	v_add_f32_e32 v164, v138, v139
	v_pk_mul_f32 v[138:139], v[142:143], v[144:145]
	ds_bpermute_b32 v142, v162, v132 offset:92
	ds_bpermute_b32 v143, v162, v132 offset:96
	s_waitcnt lgkmcnt(2)
	v_pk_mul_f32 v[138:139], v[138:139], v[140:141]
	v_add_f32_e32 v138, v164, v138
	v_add_f32_e32 v140, v138, v139
	v_pk_mul_f32 v[138:139], v[146:147], v[148:149]
	s_waitcnt lgkmcnt(0)
	v_pk_mul_f32 v[138:139], v[138:139], v[142:143]
	v_add_f32_e32 v138, v140, v138
	ds_bpermute_b32 v140, v162, v132 offset:100
	ds_bpermute_b32 v141, v162, v132 offset:104
	;; [unrolled: 1-line block ×4, first 2 shown]
	v_add_f32_e32 v144, v138, v139
	v_pk_mul_f32 v[138:139], v[150:151], v[152:153]
	s_waitcnt lgkmcnt(2)
	v_pk_mul_f32 v[138:139], v[138:139], v[140:141]
	v_add_f32_e32 v138, v144, v138
	ds_bpermute_b32 v140, v162, v132 offset:116
	ds_bpermute_b32 v141, v162, v132 offset:120
	v_add_f32_e32 v144, v138, v139
	v_pk_mul_f32 v[138:139], v[154:155], v[156:157]
	s_waitcnt lgkmcnt(2)
	v_pk_mul_f32 v[138:139], v[138:139], v[142:143]
	v_add_f32_e32 v138, v144, v138
	ds_bpermute_b32 v132, v162, v132 offset:124
	v_add_f32_e32 v142, v138, v139
	v_pk_mul_f32 v[138:139], v[158:159], v[160:161]
	s_waitcnt lgkmcnt(1)
	v_pk_mul_f32 v[138:139], v[138:139], v[140:141]
	v_add_f32_e32 v138, v142, v138
	v_add_f32_e32 v139, v138, v139
	s_branch .LBB189_141
.LBB189_73:                             ;   in Loop: Header=BB189_3 Depth=1
                                        ; implicit-def: $vgpr139
                                        ; implicit-def: $vgpr202
                                        ; implicit-def: $vgpr132
	s_cbranch_execz .LBB189_141
; %bb.74:                               ;   in Loop: Header=BB189_3 Depth=1
	s_load_dword s10, s[24:25], 0x0
	v_mov_b32_e32 v160, 0
	s_waitcnt lgkmcnt(0)
	s_cmp_lt_u32 s6, s10
	s_cselect_b32 s10, 12, 18
	s_add_u32 s10, s24, s10
	s_addc_u32 s11, s25, 0
	global_load_ushort v132, v133, s[10:11]
	s_waitcnt vmcnt(0)
	v_mad_u32_u24 v132, v0, v132, v131
	v_and_b32_e32 v138, 63, v132
	v_cmp_gt_u32_e32 vcc, 32, v138
	v_mov_b32_e32 v132, 0
	s_and_saveexec_b64 s[10:11], vcc
	s_cbranch_execz .LBB189_78
; %bb.75:                               ;   in Loop: Header=BB189_3 Depth=1
	v_add_co_u32_e32 v136, vcc, v136, v138
	v_addc_co_u32_e32 v137, vcc, 0, v137, vcc
	v_cmp_gt_i64_e32 vcc, s[12:13], v[136:137]
	v_mov_b32_e32 v132, 0
	s_and_saveexec_b64 s[34:35], vcc
	s_cbranch_execz .LBB189_77
; %bb.76:                               ;   in Loop: Header=BB189_3 Depth=1
	v_lshlrev_b64 v[136:137], 2, v[136:137]
	v_mov_b32_e32 v132, s21
	v_add_co_u32_e32 v136, vcc, s20, v136
	v_addc_co_u32_e32 v137, vcc, v132, v137, vcc
	global_load_dword v132, v[136:137], off
.LBB189_77:                             ;   in Loop: Header=BB189_3 Depth=1
	s_or_b64 exec, exec, s[34:35]
.LBB189_78:                             ;   in Loop: Header=BB189_3 Depth=1
	s_or_b64 exec, exec, s[10:11]
	v_mov_b32_e32 v161, 0
	s_and_saveexec_b64 s[10:11], s[2:3]
	s_cbranch_execz .LBB189_80
; %bb.79:                               ;   in Loop: Header=BB189_3 Depth=1
	v_add_co_u32_e32 v136, vcc, v128, v134
	v_addc_co_u32_e32 v137, vcc, v125, v135, vcc
	v_add_co_u32_e32 v138, vcc, v130, v134
	v_addc_co_u32_e32 v139, vcc, v127, v135, vcc
	global_load_ushort v136, v[136:137], off
	s_nop 0
	global_load_ushort v137, v[138:139], off
	s_waitcnt vmcnt(1)
	v_lshlrev_b32_e32 v160, 16, v136
	s_waitcnt vmcnt(0)
	v_lshlrev_b32_e32 v161, 16, v137
.LBB189_80:                             ;   in Loop: Header=BB189_3 Depth=1
	s_or_b64 exec, exec, s[10:11]
	v_mov_b32_e32 v164, 0
	v_mov_b32_e32 v165, 0
	v_mov_b32_e32 v166, 0
	s_and_saveexec_b64 s[10:11], s[2:3]
	s_cbranch_execz .LBB189_82
; %bb.81:                               ;   in Loop: Header=BB189_3 Depth=1
	v_add_co_u32_e32 v136, vcc, v124, v134
	v_addc_co_u32_e32 v137, vcc, v121, v135, vcc
	v_add_co_u32_e32 v138, vcc, v126, v134
	v_addc_co_u32_e32 v139, vcc, v123, v135, vcc
	global_load_ushort v136, v[136:137], off
	s_nop 0
	global_load_ushort v137, v[138:139], off
	s_waitcnt vmcnt(1)
	v_lshlrev_b32_e32 v165, 16, v136
	s_waitcnt vmcnt(0)
	v_lshlrev_b32_e32 v166, 16, v137
.LBB189_82:                             ;   in Loop: Header=BB189_3 Depth=1
	s_or_b64 exec, exec, s[10:11]
	v_mov_b32_e32 v167, 0
	s_and_saveexec_b64 s[10:11], s[2:3]
	s_cbranch_execz .LBB189_84
; %bb.83:                               ;   in Loop: Header=BB189_3 Depth=1
	v_add_co_u32_e32 v136, vcc, v120, v134
	v_addc_co_u32_e32 v137, vcc, v117, v135, vcc
	v_add_co_u32_e32 v138, vcc, v122, v134
	v_addc_co_u32_e32 v139, vcc, v119, v135, vcc
	global_load_ushort v136, v[136:137], off
	s_nop 0
	global_load_ushort v137, v[138:139], off
	s_waitcnt vmcnt(1)
	v_lshlrev_b32_e32 v164, 16, v136
	s_waitcnt vmcnt(0)
	v_lshlrev_b32_e32 v167, 16, v137
.LBB189_84:                             ;   in Loop: Header=BB189_3 Depth=1
	s_or_b64 exec, exec, s[10:11]
	v_mov_b32_e32 v168, 0
	v_mov_b32_e32 v169, 0
	v_mov_b32_e32 v170, 0
	s_and_saveexec_b64 s[10:11], s[2:3]
	s_cbranch_execz .LBB189_86
; %bb.85:                               ;   in Loop: Header=BB189_3 Depth=1
	v_add_co_u32_e32 v136, vcc, v116, v134
	v_addc_co_u32_e32 v137, vcc, v113, v135, vcc
	v_add_co_u32_e32 v138, vcc, v118, v134
	v_addc_co_u32_e32 v139, vcc, v115, v135, vcc
	global_load_ushort v136, v[136:137], off
	s_nop 0
	global_load_ushort v137, v[138:139], off
	s_waitcnt vmcnt(1)
	v_lshlrev_b32_e32 v169, 16, v136
	s_waitcnt vmcnt(0)
	v_lshlrev_b32_e32 v170, 16, v137
.LBB189_86:                             ;   in Loop: Header=BB189_3 Depth=1
	;; [unrolled: 36-line block ×5, first 2 shown]
	s_or_b64 exec, exec, s[10:11]
	v_mov_b32_e32 v183, 0
	s_and_saveexec_b64 s[10:11], s[2:3]
	s_cbranch_execz .LBB189_100
; %bb.99:                               ;   in Loop: Header=BB189_3 Depth=1
	v_add_co_u32_e32 v136, vcc, v88, v134
	v_addc_co_u32_e32 v137, vcc, v85, v135, vcc
	v_add_co_u32_e32 v138, vcc, v90, v134
	v_addc_co_u32_e32 v139, vcc, v87, v135, vcc
	global_load_ushort v136, v[136:137], off
	s_nop 0
	global_load_ushort v137, v[138:139], off
	s_waitcnt vmcnt(1)
	v_lshlrev_b32_e32 v180, 16, v136
	s_waitcnt vmcnt(0)
	v_lshlrev_b32_e32 v183, 16, v137
.LBB189_100:                            ;   in Loop: Header=BB189_3 Depth=1
	s_or_b64 exec, exec, s[10:11]
	v_mov_b32_e32 v184, 0
	v_mov_b32_e32 v185, 0
	v_mov_b32_e32 v186, 0
	s_and_saveexec_b64 s[10:11], s[2:3]
	s_cbranch_execz .LBB189_102
; %bb.101:                              ;   in Loop: Header=BB189_3 Depth=1
	v_add_co_u32_e32 v136, vcc, v84, v134
	v_addc_co_u32_e32 v137, vcc, v81, v135, vcc
	v_add_co_u32_e32 v138, vcc, v86, v134
	v_addc_co_u32_e32 v139, vcc, v83, v135, vcc
	global_load_ushort v136, v[136:137], off
	s_nop 0
	global_load_ushort v137, v[138:139], off
	s_waitcnt vmcnt(1)
	v_lshlrev_b32_e32 v185, 16, v136
	s_waitcnt vmcnt(0)
	v_lshlrev_b32_e32 v186, 16, v137
.LBB189_102:                            ;   in Loop: Header=BB189_3 Depth=1
	s_or_b64 exec, exec, s[10:11]
	v_mov_b32_e32 v187, 0
	s_and_saveexec_b64 s[10:11], s[2:3]
	s_cbranch_execz .LBB189_104
; %bb.103:                              ;   in Loop: Header=BB189_3 Depth=1
	v_add_co_u32_e32 v136, vcc, v80, v134
	v_addc_co_u32_e32 v137, vcc, v77, v135, vcc
	v_add_co_u32_e32 v138, vcc, v82, v134
	v_addc_co_u32_e32 v139, vcc, v79, v135, vcc
	global_load_ushort v136, v[136:137], off
	s_nop 0
	global_load_ushort v137, v[138:139], off
	s_waitcnt vmcnt(1)
	v_lshlrev_b32_e32 v184, 16, v136
	s_waitcnt vmcnt(0)
	v_lshlrev_b32_e32 v187, 16, v137
.LBB189_104:                            ;   in Loop: Header=BB189_3 Depth=1
	s_or_b64 exec, exec, s[10:11]
	v_mov_b32_e32 v188, 0
	v_mov_b32_e32 v189, 0
	v_mov_b32_e32 v190, 0
	s_and_saveexec_b64 s[10:11], s[2:3]
	s_cbranch_execz .LBB189_106
; %bb.105:                              ;   in Loop: Header=BB189_3 Depth=1
	v_add_co_u32_e32 v136, vcc, v76, v134
	v_addc_co_u32_e32 v137, vcc, v73, v135, vcc
	v_add_co_u32_e32 v138, vcc, v78, v134
	v_addc_co_u32_e32 v139, vcc, v75, v135, vcc
	global_load_ushort v136, v[136:137], off
	s_nop 0
	global_load_ushort v137, v[138:139], off
	s_waitcnt vmcnt(1)
	v_lshlrev_b32_e32 v189, 16, v136
	s_waitcnt vmcnt(0)
	v_lshlrev_b32_e32 v190, 16, v137
.LBB189_106:                            ;   in Loop: Header=BB189_3 Depth=1
	s_or_b64 exec, exec, s[10:11]
	v_mov_b32_e32 v191, 0
	s_and_saveexec_b64 s[10:11], s[2:3]
	s_cbranch_execz .LBB189_108
; %bb.107:                              ;   in Loop: Header=BB189_3 Depth=1
	v_add_co_u32_e32 v136, vcc, v72, v134
	v_addc_co_u32_e32 v137, vcc, v69, v135, vcc
	v_add_co_u32_e32 v138, vcc, v74, v134
	v_addc_co_u32_e32 v139, vcc, v71, v135, vcc
	global_load_ushort v136, v[136:137], off
	s_nop 0
	global_load_ushort v137, v[138:139], off
	s_waitcnt vmcnt(1)
	v_lshlrev_b32_e32 v188, 16, v136
	s_waitcnt vmcnt(0)
	v_lshlrev_b32_e32 v191, 16, v137
.LBB189_108:                            ;   in Loop: Header=BB189_3 Depth=1
	;; [unrolled: 36-line block ×4, first 2 shown]
	s_or_b64 exec, exec, s[10:11]
	v_mov_b32_e32 v137, 0
	v_mov_b32_e32 v136, 0
	v_mov_b32_e32 v138, 0
	s_and_saveexec_b64 s[10:11], s[2:3]
	s_cbranch_execz .LBB189_118
; %bb.117:                              ;   in Loop: Header=BB189_3 Depth=1
	v_add_co_u32_e32 v138, vcc, v52, v134
	v_addc_co_u32_e32 v139, vcc, v49, v135, vcc
	v_add_co_u32_e32 v140, vcc, v54, v134
	v_addc_co_u32_e32 v141, vcc, v51, v135, vcc
	global_load_ushort v136, v[138:139], off
	s_nop 0
	global_load_ushort v138, v[140:141], off
	s_waitcnt vmcnt(1)
	v_lshlrev_b32_e32 v136, 16, v136
	s_waitcnt vmcnt(0)
	v_lshlrev_b32_e32 v138, 16, v138
.LBB189_118:                            ;   in Loop: Header=BB189_3 Depth=1
	s_or_b64 exec, exec, s[10:11]
	v_mov_b32_e32 v139, 0
	s_and_saveexec_b64 s[10:11], s[2:3]
	s_cbranch_execz .LBB189_120
; %bb.119:                              ;   in Loop: Header=BB189_3 Depth=1
	v_add_co_u32_e32 v140, vcc, v48, v134
	v_addc_co_u32_e32 v141, vcc, v45, v135, vcc
	v_add_co_u32_e32 v142, vcc, v50, v134
	v_addc_co_u32_e32 v143, vcc, v47, v135, vcc
	global_load_ushort v137, v[140:141], off
	global_load_ushort v139, v[142:143], off
	s_waitcnt vmcnt(1)
	v_lshlrev_b32_e32 v137, 16, v137
	s_waitcnt vmcnt(0)
	v_lshlrev_b32_e32 v139, 16, v139
.LBB189_120:                            ;   in Loop: Header=BB189_3 Depth=1
	s_or_b64 exec, exec, s[10:11]
	v_mov_b32_e32 v141, 0
	v_mov_b32_e32 v140, 0
	v_mov_b32_e32 v142, 0
	s_and_saveexec_b64 s[10:11], s[2:3]
	s_cbranch_execz .LBB189_122
; %bb.121:                              ;   in Loop: Header=BB189_3 Depth=1
	v_add_co_u32_e32 v142, vcc, v44, v134
	v_addc_co_u32_e32 v143, vcc, v41, v135, vcc
	v_add_co_u32_e32 v144, vcc, v46, v134
	v_addc_co_u32_e32 v145, vcc, v43, v135, vcc
	global_load_ushort v140, v[142:143], off
	s_nop 0
	global_load_ushort v142, v[144:145], off
	s_waitcnt vmcnt(1)
	v_lshlrev_b32_e32 v140, 16, v140
	s_waitcnt vmcnt(0)
	v_lshlrev_b32_e32 v142, 16, v142
.LBB189_122:                            ;   in Loop: Header=BB189_3 Depth=1
	s_or_b64 exec, exec, s[10:11]
	v_mov_b32_e32 v143, 0
	s_and_saveexec_b64 s[10:11], s[2:3]
	s_cbranch_execz .LBB189_124
; %bb.123:                              ;   in Loop: Header=BB189_3 Depth=1
	v_add_co_u32_e32 v144, vcc, v40, v134
	v_addc_co_u32_e32 v145, vcc, v37, v135, vcc
	v_add_co_u32_e32 v146, vcc, v42, v134
	v_addc_co_u32_e32 v147, vcc, v39, v135, vcc
	global_load_ushort v141, v[144:145], off
	global_load_ushort v143, v[146:147], off
	s_waitcnt vmcnt(1)
	v_lshlrev_b32_e32 v141, 16, v141
	s_waitcnt vmcnt(0)
	v_lshlrev_b32_e32 v143, 16, v143
.LBB189_124:                            ;   in Loop: Header=BB189_3 Depth=1
	;; [unrolled: 35-line block ×5, first 2 shown]
	s_or_b64 exec, exec, s[10:11]
	v_mov_b32_e32 v157, 0
	v_mov_b32_e32 v156, 0
	;; [unrolled: 1-line block ×3, first 2 shown]
	s_and_saveexec_b64 s[10:11], s[2:3]
	s_cbranch_execnz .LBB189_143
; %bb.137:                              ;   in Loop: Header=BB189_3 Depth=1
	s_or_b64 exec, exec, s[10:11]
	v_mov_b32_e32 v159, 0
	s_and_saveexec_b64 s[10:11], s[2:3]
	s_cbranch_execnz .LBB189_144
.LBB189_138:                            ;   in Loop: Header=BB189_3 Depth=1
	s_or_b64 exec, exec, s[10:11]
	v_mov_b32_e32 v202, 0
	s_and_saveexec_b64 s[10:11], s[2:3]
	s_cbranch_execz .LBB189_140
.LBB189_139:                            ;   in Loop: Header=BB189_3 Depth=1
	v_add_co_u32_e32 v200, vcc, v4, v134
	v_addc_co_u32_e32 v201, vcc, v1, v135, vcc
	v_add_co_u32_e32 v202, vcc, v6, v134
	v_addc_co_u32_e32 v203, vcc, v3, v135, vcc
	global_load_ushort v200, v[200:201], off
	s_nop 0
	global_load_ushort v201, v[202:203], off
	s_waitcnt vmcnt(1)
	v_lshlrev_b32_e32 v200, 16, v200
	s_waitcnt vmcnt(0)
	v_lshlrev_b32_e32 v201, 16, v201
	v_mul_f32_e32 v202, v201, v200
.LBB189_140:                            ;   in Loop: Header=BB189_3 Depth=1
	s_or_b64 exec, exec, s[10:11]
	s_waitcnt vmcnt(0)
	ds_bpermute_b32 v200, v162, v132
	ds_bpermute_b32 v201, v162, v132 offset:4
	v_mul_f32_e32 v160, v160, v161
	v_mul_f32_e32 v161, v165, v166
	ds_bpermute_b32 v165, v162, v132 offset:8
	s_waitcnt lgkmcnt(2)
	v_fmac_f32_e32 v163, v160, v200
	ds_bpermute_b32 v160, v162, v132 offset:12
	s_waitcnt lgkmcnt(2)
	v_fmac_f32_e32 v163, v161, v201
	v_mul_f32_e32 v161, v164, v167
	s_waitcnt lgkmcnt(1)
	v_fmac_f32_e32 v163, v161, v165
	ds_bpermute_b32 v161, v162, v132 offset:16
	v_mul_f32_e32 v164, v169, v170
	s_waitcnt lgkmcnt(1)
	v_fmac_f32_e32 v163, v164, v160
	ds_bpermute_b32 v160, v162, v132 offset:20
	;; [unrolled: 4-line block ×10, first 2 shown]
	v_mul_f32_e32 v164, v184, v187
	s_waitcnt lgkmcnt(1)
	v_fmac_f32_e32 v163, v164, v161
	v_mul_f32_e32 v161, v189, v190
	ds_bpermute_b32 v164, v162, v132 offset:56
	s_waitcnt lgkmcnt(1)
	v_fmac_f32_e32 v163, v161, v160
	ds_bpermute_b32 v160, v162, v132 offset:60
	ds_bpermute_b32 v165, v162, v132 offset:64
	v_mul_f32_e32 v161, v188, v191
	s_waitcnt lgkmcnt(2)
	v_fmac_f32_e32 v163, v161, v164
	v_mul_f32_e32 v161, v193, v194
	s_waitcnt lgkmcnt(1)
	v_fmac_f32_e32 v163, v161, v160
	v_mul_f32_e32 v160, v192, v195
	ds_bpermute_b32 v164, v162, v132 offset:68
	s_waitcnt lgkmcnt(1)
	v_fmac_f32_e32 v163, v160, v165
	ds_bpermute_b32 v166, v162, v132 offset:72
	ds_bpermute_b32 v160, v162, v132 offset:76
	;; [unrolled: 1-line block ×3, first 2 shown]
	v_mul_f32_e32 v165, v197, v198
	s_waitcnt lgkmcnt(3)
	v_fmac_f32_e32 v163, v165, v164
	v_mul_f32_e32 v164, v196, v199
	v_pk_mul_f32 v[136:137], v[136:137], v[138:139]
	ds_bpermute_b32 v138, v162, v132 offset:84
	ds_bpermute_b32 v139, v162, v132 offset:88
	s_waitcnt lgkmcnt(4)
	v_fmac_f32_e32 v163, v164, v166
	s_waitcnt lgkmcnt(2)
	v_pk_mul_f32 v[136:137], v[136:137], v[160:161]
	v_add_f32_e32 v136, v163, v136
	v_add_f32_e32 v160, v136, v137
	v_pk_mul_f32 v[136:137], v[140:141], v[142:143]
	ds_bpermute_b32 v140, v162, v132 offset:92
	ds_bpermute_b32 v141, v162, v132 offset:96
	s_waitcnt lgkmcnt(2)
	v_pk_mul_f32 v[136:137], v[136:137], v[138:139]
	v_add_f32_e32 v136, v160, v136
	v_add_f32_e32 v138, v136, v137
	v_pk_mul_f32 v[136:137], v[144:145], v[146:147]
	s_waitcnt lgkmcnt(0)
	v_pk_mul_f32 v[136:137], v[136:137], v[140:141]
	v_add_f32_e32 v136, v138, v136
	ds_bpermute_b32 v138, v162, v132 offset:100
	ds_bpermute_b32 v139, v162, v132 offset:104
	;; [unrolled: 1-line block ×4, first 2 shown]
	v_add_f32_e32 v142, v136, v137
	v_pk_mul_f32 v[136:137], v[148:149], v[150:151]
	s_waitcnt lgkmcnt(2)
	v_pk_mul_f32 v[136:137], v[136:137], v[138:139]
	v_add_f32_e32 v136, v142, v136
	ds_bpermute_b32 v138, v162, v132 offset:116
	ds_bpermute_b32 v139, v162, v132 offset:120
	v_add_f32_e32 v142, v136, v137
	v_pk_mul_f32 v[136:137], v[152:153], v[154:155]
	s_waitcnt lgkmcnt(2)
	v_pk_mul_f32 v[136:137], v[136:137], v[140:141]
	v_add_f32_e32 v136, v142, v136
	v_add_f32_e32 v140, v136, v137
	v_pk_mul_f32 v[136:137], v[156:157], v[158:159]
	s_waitcnt lgkmcnt(0)
	v_pk_mul_f32 v[136:137], v[136:137], v[138:139]
	v_add_f32_e32 v136, v140, v136
	ds_bpermute_b32 v132, v162, v132 offset:124
	v_add_f32_e32 v139, v136, v137
.LBB189_141:                            ;   in Loop: Header=BB189_3 Depth=1
	s_waitcnt lgkmcnt(0)
	v_fmac_f32_e32 v139, v202, v132
	v_mov_b32_e32 v132, s9
	v_add_co_u32_e64 v2, s[10:11], s33, v2
	v_addc_co_u32_e64 v129, s[10:11], v129, v132, s[10:11]
	v_mov_b32_e32 v132, s29
	v_add_co_u32_e64 v4, s[10:11], s28, v4
	v_addc_co_u32_e64 v1, s[10:11], v1, v132, s[10:11]
	v_add_co_u32_e64 v6, s[10:11], s28, v6
	v_addc_co_u32_e64 v3, s[10:11], v3, v132, s[10:11]
	;; [unrolled: 2-line block ×62, first 2 shown]
	s_add_u32 s30, s30, s33
	v_add_co_u32_e64 v128, s[10:11], s28, v128
	s_addc_u32 s31, s31, 0
	v_pk_mov_b32 v[136:137], s[12:13], s[12:13] op_sel:[0,1]
	v_addc_co_u32_e64 v125, s[10:11], v125, v132, s[10:11]
	v_cmp_lt_i64_e32 vcc, s[30:31], v[136:137]
	v_add_co_u32_e64 v130, s[10:11], s28, v130
	s_add_u32 s26, s26, s33
	v_addc_co_u32_e64 v127, s[10:11], v127, v132, s[10:11]
	s_addc_u32 s27, s27, 0
	s_cbranch_vccz .LBB189_146
; %bb.142:                              ;   in Loop: Header=BB189_3 Depth=1
	v_mov_b32_e32 v163, v139
	s_branch .LBB189_3
.LBB189_143:                            ;   in Loop: Header=BB189_3 Depth=1
	v_add_co_u32_e32 v158, vcc, v12, v134
	v_addc_co_u32_e32 v159, vcc, v9, v135, vcc
	v_add_co_u32_e32 v200, vcc, v14, v134
	v_addc_co_u32_e32 v201, vcc, v11, v135, vcc
	global_load_ushort v156, v[158:159], off
	s_nop 0
	global_load_ushort v158, v[200:201], off
	s_waitcnt vmcnt(1)
	v_lshlrev_b32_e32 v156, 16, v156
	s_waitcnt vmcnt(0)
	v_lshlrev_b32_e32 v158, 16, v158
	s_or_b64 exec, exec, s[10:11]
	v_mov_b32_e32 v159, 0
	s_and_saveexec_b64 s[10:11], s[2:3]
	s_cbranch_execz .LBB189_138
.LBB189_144:                            ;   in Loop: Header=BB189_3 Depth=1
	v_add_co_u32_e32 v200, vcc, v8, v134
	v_addc_co_u32_e32 v201, vcc, v5, v135, vcc
	v_add_co_u32_e32 v202, vcc, v10, v134
	v_addc_co_u32_e32 v203, vcc, v7, v135, vcc
	global_load_ushort v157, v[200:201], off
	global_load_ushort v159, v[202:203], off
	s_waitcnt vmcnt(1)
	v_lshlrev_b32_e32 v157, 16, v157
	s_waitcnt vmcnt(0)
	v_lshlrev_b32_e32 v159, 16, v159
	s_or_b64 exec, exec, s[10:11]
	v_mov_b32_e32 v202, 0
	s_and_saveexec_b64 s[10:11], s[2:3]
	s_cbranch_execnz .LBB189_139
	s_branch .LBB189_140
.LBB189_145:
                                        ; implicit-def: $vgpr139
	s_load_dwordx2 s[2:3], s[4:5], 0x30
	s_branch .LBB189_147
.LBB189_146:
	s_load_dwordx2 s[2:3], s[4:5], 0x30
	s_cbranch_execnz .LBB189_228
.LBB189_147:
	s_and_b64 vcc, exec, s[0:1]
	v_mov_b32_e32 v139, 0
	s_cbranch_vccnz .LBB189_228
; %bb.148:
	v_bfe_u32 v128, v206, 10, 10
	s_add_u32 s10, s4, 64
	s_addc_u32 s11, s5, 0
	v_lshlrev_b32_e32 v0, 6, v128
	s_lshl_b64 s[0:1], s[22:23], 1
	v_mov_b32_e32 v1, s1
	v_add_co_u32_e32 v0, vcc, s0, v0
	v_addc_co_u32_e32 v1, vcc, 0, v1, vcc
	v_add_co_u32_e32 v22, vcc, 2, v0
	v_addc_co_u32_e32 v4, vcc, 0, v1, vcc
	;; [unrolled: 2-line block ×10, first 2 shown]
	v_add_co_u32_e32 v50, vcc, 20, v0
	v_pk_mov_b32 v[122:123], s[16:17], s[16:17] op_sel:[0,1]
	v_addc_co_u32_e32 v23, vcc, 0, v1, vcc
	v_pk_mov_b32 v[124:125], s[18:19], s[18:19] op_sel:[0,1]
	v_mad_u64_u32 v[2:3], s[0:1], s14, v22, v[122:123]
	v_mul_lo_u32 v24, s14, v4
	v_mul_lo_u32 v25, s15, v22
	v_mul_lo_u32 v51, s14, v23
	v_mad_u64_u32 v[22:23], s[0:1], s14, v22, v[124:125]
	v_add3_u32 v3, v25, v3, v24
	v_mad_u64_u32 v[4:5], s[0:1], s14, v26, v[122:123]
	v_mul_lo_u32 v27, s14, v6
	v_mul_lo_u32 v28, s15, v26
	v_add3_u32 v23, v25, v23, v24
	v_mad_u64_u32 v[24:25], s[0:1], s14, v26, v[124:125]
	v_add3_u32 v5, v28, v5, v27
	v_mad_u64_u32 v[6:7], s[0:1], s14, v29, v[122:123]
	v_mul_lo_u32 v30, s14, v8
	v_mul_lo_u32 v31, s15, v29
	v_add3_u32 v25, v28, v25, v27
	v_mad_u64_u32 v[26:27], s[0:1], s14, v29, v[124:125]
	v_add3_u32 v7, v31, v7, v30
	v_mad_u64_u32 v[8:9], s[0:1], s14, v32, v[122:123]
	v_mul_lo_u32 v33, s14, v10
	v_mul_lo_u32 v34, s15, v32
	v_add_co_u32_e32 v53, vcc, 22, v0
	v_add3_u32 v27, v31, v27, v30
	v_mad_u64_u32 v[30:31], s[0:1], s14, v32, v[124:125]
	v_add3_u32 v9, v34, v9, v33
	v_mad_u64_u32 v[10:11], s[0:1], s14, v35, v[122:123]
	v_mul_lo_u32 v36, s14, v12
	v_mul_lo_u32 v37, s15, v35
	v_mad_u64_u32 v[12:13], s[0:1], s14, v38, v[122:123]
	v_mul_lo_u32 v39, s14, v14
	v_mul_lo_u32 v40, s15, v38
	v_addc_co_u32_e32 v54, vcc, 0, v1, vcc
	v_add3_u32 v31, v34, v31, v33
	v_mad_u64_u32 v[32:33], s[0:1], s14, v35, v[124:125]
	v_mad_u64_u32 v[34:35], s[0:1], s14, v38, v[124:125]
	v_add3_u32 v13, v40, v13, v39
	v_mul_lo_u32 v42, s14, v16
	v_mad_u64_u32 v[16:17], s[0:1], s14, v44, v[122:123]
	v_mul_lo_u32 v45, s14, v18
	v_mul_lo_u32 v46, s15, v44
	v_add3_u32 v35, v40, v35, v39
	v_add_co_u32_e32 v56, vcc, 24, v0
	v_mad_u64_u32 v[38:39], s[0:1], s14, v44, v[124:125]
	v_add3_u32 v17, v46, v17, v45
	v_mul_lo_u32 v48, s14, v20
	v_mad_u64_u32 v[20:21], s[0:1], s14, v50, v[122:123]
	v_mul_lo_u32 v52, s15, v50
	v_addc_co_u32_e32 v57, vcc, 0, v1, vcc
	v_add3_u32 v39, v46, v39, v45
	v_mad_u64_u32 v[44:45], s[0:1], s14, v50, v[124:125]
	v_add3_u32 v11, v37, v11, v36
	v_mad_u64_u32 v[14:15], s[0:1], s14, v41, v[122:123]
	v_mul_lo_u32 v43, s15, v41
	v_add3_u32 v21, v52, v21, v51
	v_add3_u32 v33, v37, v33, v36
	v_mad_u64_u32 v[36:37], s[0:1], s14, v41, v[124:125]
	v_add3_u32 v45, v52, v45, v51
	v_add_co_u32_e32 v52, vcc, 26, v0
	v_add3_u32 v15, v43, v15, v42
	v_mad_u64_u32 v[18:19], s[0:1], s14, v47, v[122:123]
	v_mul_lo_u32 v49, s15, v47
	v_mad_u64_u32 v[28:29], s[0:1], s14, v53, v[122:123]
	v_mul_lo_u32 v54, s14, v54
	v_mul_lo_u32 v55, s15, v53
	v_add3_u32 v37, v43, v37, v42
	v_mad_u64_u32 v[42:43], s[0:1], s14, v47, v[124:125]
	v_mad_u64_u32 v[46:47], s[0:1], s14, v53, v[124:125]
	v_addc_co_u32_e32 v53, vcc, 0, v1, vcc
	v_add3_u32 v19, v49, v19, v48
	v_add3_u32 v29, v55, v29, v54
	v_mad_u64_u32 v[40:41], s[0:1], s14, v56, v[122:123]
	v_add3_u32 v43, v49, v43, v48
	v_mul_lo_u32 v58, s15, v56
	v_add3_u32 v47, v55, v47, v54
	v_mad_u64_u32 v[48:49], s[0:1], s14, v56, v[124:125]
	v_mad_u64_u32 v[50:51], s[0:1], s14, v52, v[122:123]
	v_mul_lo_u32 v54, s14, v53
	v_mul_lo_u32 v55, s15, v52
	v_mad_u64_u32 v[52:53], s[0:1], s14, v52, v[124:125]
	v_add_co_u32_e32 v56, vcc, 28, v0
	v_mul_lo_u32 v57, s14, v57
	v_add3_u32 v51, v55, v51, v54
	v_add3_u32 v53, v55, v53, v54
	v_addc_co_u32_e32 v54, vcc, 0, v1, vcc
	v_add3_u32 v41, v58, v41, v57
	v_add3_u32 v49, v58, v49, v57
	v_mul_lo_u32 v58, s14, v54
	v_mul_lo_u32 v59, s15, v56
	v_mad_u64_u32 v[54:55], s[0:1], s14, v56, v[122:123]
	v_mad_u64_u32 v[56:57], s[0:1], s14, v56, v[124:125]
	v_add_co_u32_e32 v60, vcc, 30, v0
	v_add3_u32 v55, v59, v55, v58
	v_add3_u32 v57, v59, v57, v58
	v_addc_co_u32_e32 v58, vcc, 0, v1, vcc
	v_mul_lo_u32 v62, s14, v58
	v_mul_lo_u32 v63, s15, v60
	v_mad_u64_u32 v[58:59], s[0:1], s14, v60, v[122:123]
	v_mad_u64_u32 v[60:61], s[0:1], s14, v60, v[124:125]
	v_add_co_u32_e32 v64, vcc, 32, v0
	v_add3_u32 v59, v63, v59, v62
	v_add3_u32 v61, v63, v61, v62
	v_addc_co_u32_e32 v62, vcc, 0, v1, vcc
	;; [unrolled: 8-line block ×16, first 2 shown]
	v_add_co_u32_e32 v0, vcc, 62, v0
	v_addc_co_u32_e32 v1, vcc, 0, v1, vcc
	v_mul_lo_u32 v126, s14, v118
	v_mul_lo_u32 v127, s15, v120
	v_mad_u64_u32 v[118:119], s[0:1], s14, v120, v[122:123]
	v_mad_u64_u32 v[120:121], s[0:1], s14, v120, v[124:125]
	;; [unrolled: 1-line block ×3, first 2 shown]
	v_mul_lo_u32 v1, s14, v1
	v_mad_u64_u32 v[124:125], s[0:1], s14, v0, v[124:125]
	v_mul_lo_u32 v0, s15, v0
	v_add3_u32 v123, v0, v123, v1
	v_add3_u32 v125, v0, v125, v1
	v_lshlrev_b32_e32 v0, 5, v128
	v_mov_b32_e32 v1, s23
	v_accvgpr_write_b32 a2, v0
	v_add_co_u32_e32 v0, vcc, s22, v0
	v_addc_co_u32_e32 v1, vcc, 0, v1, vcc
	v_add3_u32 v119, v127, v119, v126
	v_add3_u32 v121, v127, v121, v126
	v_add_co_u32_e32 v126, vcc, 31, v0
	v_addc_co_u32_e32 v127, vcc, 0, v1, vcc
	v_accvgpr_write_b32 a1, v128
	v_mul_lo_u32 v127, s14, v127
	v_mul_lo_u32 v128, s15, v126
	v_mad_u64_u32 v[132:133], s[0:1], s14, v126, 0
	v_add_co_u32_e32 v126, vcc, 30, v0
	v_add3_u32 v133, v133, v127, v128
	v_addc_co_u32_e32 v127, vcc, 0, v1, vcc
	v_mul_lo_u32 v127, s14, v127
	v_mul_lo_u32 v128, s15, v126
	v_mad_u64_u32 v[134:135], s[0:1], s14, v126, 0
	v_add_co_u32_e32 v126, vcc, 29, v0
	v_add3_u32 v135, v135, v127, v128
	v_addc_co_u32_e32 v127, vcc, 0, v1, vcc
	;; [unrolled: 6-line block ×29, first 2 shown]
	v_mul_lo_u32 v127, s14, v127
	v_mul_lo_u32 v128, s15, v126
	v_mad_u64_u32 v[168:169], s[0:1], s14, v126, 0
	v_add3_u32 v169, v169, v127, v128
	v_pk_mov_b32 v[126:127], s[14:15], s[14:15] op_sel:[0,1]
	v_mul_lo_u32 v128, s14, v1
	v_mad_u64_u32 v[170:171], s[0:1], s14, v0, v[126:127]
	v_mul_lo_u32 v126, s15, v0
	v_mad_u64_u32 v[0:1], s[0:1], s14, v0, 0
	v_add3_u32 v1, v1, v128, v126
	v_add3_u32 v171, v126, v171, v128
	v_lshlrev_b64 v[126:127], 1, v[0:1]
	v_mov_b32_e32 v0, s17
	v_add_co_u32_e32 v128, vcc, s16, v126
	v_addc_co_u32_e32 v1, vcc, v0, v127, vcc
	v_mov_b32_e32 v129, s19
	v_add_co_u32_e32 v130, vcc, s18, v126
	v_addc_co_u32_e32 v127, vcc, v129, v127, vcc
	v_lshlrev_b64 v[132:133], 1, v[132:133]
	v_add_co_u32_e32 v126, vcc, s16, v132
	v_addc_co_u32_e32 v131, vcc, v0, v133, vcc
	v_accvgpr_write_b32 a4, v126
	v_add_co_u32_e32 v126, vcc, s18, v132
	v_accvgpr_write_b32 a3, v131
	v_addc_co_u32_e32 v131, vcc, v129, v133, vcc
	v_lshlrev_b64 v[132:133], 1, v[134:135]
	v_accvgpr_write_b32 a6, v126
	v_add_co_u32_e32 v126, vcc, s16, v132
	v_accvgpr_write_b32 a5, v131
	v_addc_co_u32_e32 v131, vcc, v0, v133, vcc
	v_accvgpr_write_b32 a8, v126
	v_add_co_u32_e32 v126, vcc, s18, v132
	v_accvgpr_write_b32 a7, v131
	v_addc_co_u32_e32 v131, vcc, v129, v133, vcc
	v_lshlrev_b64 v[132:133], 1, v[136:137]
	v_accvgpr_write_b32 a10, v126
	v_add_co_u32_e32 v126, vcc, s16, v132
	v_accvgpr_write_b32 a9, v131
	;; [unrolled: 9-line block ×22, first 2 shown]
	v_addc_co_u32_e32 v131, vcc, v0, v133, vcc
	v_accvgpr_write_b32 a92, v126
	v_add_co_u32_e32 v126, vcc, s18, v132
	v_addc_co_u32_e32 v219, vcc, v129, v133, vcc
	v_lshlrev_b64 v[132:133], 1, v[154:155]
	v_add_co_u32_e32 v224, vcc, s16, v132
	v_addc_co_u32_e32 v221, vcc, v0, v133, vcc
	v_add_co_u32_e32 v226, vcc, s18, v132
	v_addc_co_u32_e32 v223, vcc, v129, v133, vcc
	v_lshlrev_b64 v[132:133], 1, v[158:159]
	v_add_co_u32_e32 v228, vcc, s16, v132
	v_addc_co_u32_e32 v225, vcc, v0, v133, vcc
	v_add_co_u32_e32 v230, vcc, s18, v132
	v_addc_co_u32_e32 v227, vcc, v129, v133, vcc
	v_lshlrev_b64 v[132:133], 1, v[160:161]
	v_add_co_u32_e32 v232, vcc, s16, v132
	v_addc_co_u32_e32 v229, vcc, v0, v133, vcc
	v_add_co_u32_e32 v234, vcc, s18, v132
	v_addc_co_u32_e32 v231, vcc, v129, v133, vcc
	v_lshlrev_b64 v[132:133], 1, v[162:163]
	v_add_co_u32_e32 v236, vcc, s16, v132
	v_addc_co_u32_e32 v233, vcc, v0, v133, vcc
	v_add_co_u32_e32 v238, vcc, s18, v132
	v_addc_co_u32_e32 v235, vcc, v129, v133, vcc
	v_lshlrev_b64 v[132:133], 1, v[164:165]
	v_add_co_u32_e32 v240, vcc, s16, v132
	v_addc_co_u32_e32 v237, vcc, v0, v133, vcc
	v_add_co_u32_e32 v242, vcc, s18, v132
	v_addc_co_u32_e32 v239, vcc, v129, v133, vcc
	v_lshlrev_b64 v[132:133], 1, v[166:167]
	v_add_co_u32_e32 v244, vcc, s16, v132
	v_addc_co_u32_e32 v241, vcc, v0, v133, vcc
	v_add_co_u32_e32 v246, vcc, s18, v132
	v_addc_co_u32_e32 v243, vcc, v129, v133, vcc
	v_lshlrev_b64 v[132:133], 1, v[168:169]
	v_add_co_u32_e32 v248, vcc, s16, v132
	v_addc_co_u32_e32 v245, vcc, v0, v133, vcc
	s_load_dword s0, s[4:5], 0x44
	v_add_co_u32_e32 v250, vcc, s18, v132
	v_addc_co_u32_e32 v247, vcc, v129, v133, vcc
	v_lshlrev_b64 v[132:133], 1, v[170:171]
	v_add_co_u32_e32 v252, vcc, s16, v132
	v_addc_co_u32_e32 v249, vcc, v0, v133, vcc
	v_and_b32_e32 v0, 0x3ff, v206
	v_add_co_u32_e32 v254, vcc, s18, v132
	v_accvgpr_write_b32 a93, v0
	v_add_u32_e32 v132, s7, v0
	s_waitcnt lgkmcnt(0)
	s_lshl_b32 s7, s0, 5
	v_mbcnt_lo_u32_b32 v0, -1, 0
	s_mul_i32 s0, s15, s7
	s_mul_hi_u32 s1, s14, s7
	v_mbcnt_hi_u32_b32 v0, -1, v0
	v_addc_co_u32_e32 v251, vcc, v129, v133, vcc
	v_mov_b32_e32 v133, 0
	s_add_i32 s1, s1, s0
	s_mul_i32 s0, s14, s7
	v_lshlrev_b32_e32 v0, 2, v0
	v_accvgpr_write_b32 a91, v131
	v_accvgpr_write_b32 a94, v126
	s_mov_b32 s9, 0
	v_accvgpr_write_b32 a0, v206
	s_lshl_b64 s[16:17], s[0:1], 1
	s_mov_b64 s[18:19], 31
	v_and_b32_e32 v0, 0x100, v0
	s_mov_b64 s[24:25], s[22:23]
	v_mov_b32_e32 v138, 0
	v_mov_b32_e32 v253, v133
	v_accvgpr_write_b32 a95, v133
	v_lshlrev_b64 v[132:133], 1, v[132:133]
.LBB189_149:                            ; =>This Inner Loop Header: Depth=1
	s_add_u32 s0, s22, s18
	s_addc_u32 s1, 0, s19
	v_pk_mov_b32 v[134:135], s[12:13], s[12:13] op_sel:[0,1]
	v_cmp_ge_i64_e32 vcc, s[0:1], v[134:135]
	v_accvgpr_read_b32 v134, a2
	v_mov_b32_e32 v126, s23
	v_add_co_u32_e64 v134, s[0:1], s22, v134
	v_addc_co_u32_e64 v135, s[0:1], v126, v253, s[0:1]
	s_cbranch_vccz .LBB189_219
; %bb.150:                              ;   in Loop: Header=BB189_149 Depth=1
	s_load_dword s0, s[10:11], 0xc
	v_accvgpr_read_b32 v126, a1
	v_accvgpr_read_b32 v129, a93
	v_mov_b32_e32 v189, 0
	v_mov_b32_e32 v139, 0
	s_waitcnt lgkmcnt(0)
	s_and_b32 s0, s0, 0xffff
	v_mad_u32_u24 v126, v126, s0, v129
	v_and_b32_e32 v126, 63, v126
	v_cmp_gt_u32_e32 vcc, 32, v126
	s_and_saveexec_b64 s[0:1], vcc
	s_cbranch_execz .LBB189_154
; %bb.151:                              ;   in Loop: Header=BB189_149 Depth=1
	v_add_co_u32_e32 v136, vcc, v134, v126
	v_addc_co_u32_e32 v137, vcc, 0, v135, vcc
	v_cmp_gt_i64_e32 vcc, s[12:13], v[136:137]
	v_mov_b32_e32 v139, 0
	s_and_saveexec_b64 s[26:27], vcc
	s_cbranch_execz .LBB189_153
; %bb.152:                              ;   in Loop: Header=BB189_149 Depth=1
	v_lshlrev_b64 v[136:137], 2, v[136:137]
	v_mov_b32_e32 v126, s21
	v_add_co_u32_e32 v136, vcc, s20, v136
	v_addc_co_u32_e32 v137, vcc, v126, v137, vcc
	global_load_dword v139, v[136:137], off
.LBB189_153:                            ;   in Loop: Header=BB189_149 Depth=1
	s_or_b64 exec, exec, s[26:27]
.LBB189_154:                            ;   in Loop: Header=BB189_149 Depth=1
	s_or_b64 exec, exec, s[0:1]
	v_cmp_gt_i64_e32 vcc, s[12:13], v[134:135]
	v_mov_b32_e32 v194, 0
	s_and_saveexec_b64 s[0:1], vcc
	s_cbranch_execz .LBB189_156
; %bb.155:                              ;   in Loop: Header=BB189_149 Depth=1
	v_add_co_u32_e32 v136, vcc, v128, v132
	v_addc_co_u32_e32 v137, vcc, v1, v133, vcc
	v_add_co_u32_e32 v140, vcc, v130, v132
	v_addc_co_u32_e32 v141, vcc, v127, v133, vcc
	global_load_ushort v126, v[136:137], off
	global_load_ushort v129, v[140:141], off
	s_waitcnt vmcnt(1)
	v_lshlrev_b32_e32 v189, 16, v126
	s_waitcnt vmcnt(0)
	v_lshlrev_b32_e32 v194, 16, v129
.LBB189_156:                            ;   in Loop: Header=BB189_149 Depth=1
	s_or_b64 exec, exec, s[0:1]
	v_add_co_u32_e32 v136, vcc, 1, v134
	v_addc_co_u32_e32 v137, vcc, 0, v135, vcc
	v_cmp_gt_i64_e32 vcc, s[12:13], v[136:137]
	v_mov_b32_e32 v195, 0
	v_mov_b32_e32 v196, 0
	v_mov_b32_e32 v197, 0
	s_and_saveexec_b64 s[0:1], vcc
	s_cbranch_execz .LBB189_158
; %bb.157:                              ;   in Loop: Header=BB189_149 Depth=1
	v_add_co_u32_e32 v136, vcc, v252, v132
	v_addc_co_u32_e32 v137, vcc, v249, v133, vcc
	v_add_co_u32_e32 v140, vcc, v254, v132
	v_addc_co_u32_e32 v141, vcc, v251, v133, vcc
	global_load_ushort v126, v[136:137], off
	global_load_ushort v129, v[140:141], off
	s_waitcnt vmcnt(1)
	v_lshlrev_b32_e32 v196, 16, v126
	s_waitcnt vmcnt(0)
	v_lshlrev_b32_e32 v197, 16, v129
.LBB189_158:                            ;   in Loop: Header=BB189_149 Depth=1
	s_or_b64 exec, exec, s[0:1]
	v_add_co_u32_e32 v136, vcc, 2, v134
	v_addc_co_u32_e32 v137, vcc, 0, v135, vcc
	v_cmp_gt_i64_e32 vcc, s[12:13], v[136:137]
	v_mov_b32_e32 v199, 0
	s_and_saveexec_b64 s[0:1], vcc
	s_cbranch_execz .LBB189_160
; %bb.159:                              ;   in Loop: Header=BB189_149 Depth=1
	v_add_co_u32_e32 v136, vcc, v248, v132
	v_addc_co_u32_e32 v137, vcc, v245, v133, vcc
	v_add_co_u32_e32 v140, vcc, v250, v132
	v_addc_co_u32_e32 v141, vcc, v247, v133, vcc
	global_load_ushort v126, v[136:137], off
	global_load_ushort v129, v[140:141], off
	s_waitcnt vmcnt(1)
	v_lshlrev_b32_e32 v195, 16, v126
	s_waitcnt vmcnt(0)
	v_lshlrev_b32_e32 v199, 16, v129
.LBB189_160:                            ;   in Loop: Header=BB189_149 Depth=1
	s_or_b64 exec, exec, s[0:1]
	v_add_co_u32_e32 v136, vcc, 3, v134
	v_addc_co_u32_e32 v137, vcc, 0, v135, vcc
	v_cmp_gt_i64_e32 vcc, s[12:13], v[136:137]
	v_mov_b32_e32 v198, 0
	v_mov_b32_e32 v200, 0
	v_mov_b32_e32 v201, 0
	s_and_saveexec_b64 s[0:1], vcc
	s_cbranch_execz .LBB189_162
; %bb.161:                              ;   in Loop: Header=BB189_149 Depth=1
	v_add_co_u32_e32 v136, vcc, v244, v132
	v_addc_co_u32_e32 v137, vcc, v241, v133, vcc
	v_add_co_u32_e32 v140, vcc, v246, v132
	v_addc_co_u32_e32 v141, vcc, v243, v133, vcc
	global_load_ushort v126, v[136:137], off
	global_load_ushort v129, v[140:141], off
	s_waitcnt vmcnt(1)
	v_lshlrev_b32_e32 v200, 16, v126
	s_waitcnt vmcnt(0)
	v_lshlrev_b32_e32 v201, 16, v129
.LBB189_162:                            ;   in Loop: Header=BB189_149 Depth=1
	s_or_b64 exec, exec, s[0:1]
	v_add_co_u32_e32 v136, vcc, 4, v134
	v_addc_co_u32_e32 v137, vcc, 0, v135, vcc
	v_cmp_gt_i64_e32 vcc, s[12:13], v[136:137]
	v_mov_b32_e32 v155, 0
	s_and_saveexec_b64 s[0:1], vcc
	s_cbranch_execz .LBB189_164
; %bb.163:                              ;   in Loop: Header=BB189_149 Depth=1
	v_add_co_u32_e32 v136, vcc, v240, v132
	v_addc_co_u32_e32 v137, vcc, v237, v133, vcc
	v_add_co_u32_e32 v140, vcc, v242, v132
	v_addc_co_u32_e32 v141, vcc, v239, v133, vcc
	global_load_ushort v126, v[136:137], off
	global_load_ushort v129, v[140:141], off
	s_waitcnt vmcnt(1)
	v_lshlrev_b32_e32 v198, 16, v126
	s_waitcnt vmcnt(0)
	v_lshlrev_b32_e32 v155, 16, v129
.LBB189_164:                            ;   in Loop: Header=BB189_149 Depth=1
	s_or_b64 exec, exec, s[0:1]
	v_add_co_u32_e32 v136, vcc, 5, v134
	v_addc_co_u32_e32 v137, vcc, 0, v135, vcc
	v_cmp_gt_i64_e32 vcc, s[12:13], v[136:137]
	v_mov_b32_e32 v255, 0
	v_mov_b32_e32 v162, 0
	v_mov_b32_e32 v159, 0
	s_and_saveexec_b64 s[0:1], vcc
	s_cbranch_execz .LBB189_166
; %bb.165:                              ;   in Loop: Header=BB189_149 Depth=1
	v_add_co_u32_e32 v136, vcc, v236, v132
	v_addc_co_u32_e32 v137, vcc, v233, v133, vcc
	v_add_co_u32_e32 v140, vcc, v238, v132
	v_addc_co_u32_e32 v141, vcc, v235, v133, vcc
	global_load_ushort v126, v[136:137], off
	global_load_ushort v129, v[140:141], off
	s_waitcnt vmcnt(1)
	v_lshlrev_b32_e32 v162, 16, v126
	s_waitcnt vmcnt(0)
	v_lshlrev_b32_e32 v159, 16, v129
.LBB189_166:                            ;   in Loop: Header=BB189_149 Depth=1
	s_or_b64 exec, exec, s[0:1]
	v_add_co_u32_e32 v136, vcc, 6, v134
	v_addc_co_u32_e32 v137, vcc, 0, v135, vcc
	v_cmp_gt_i64_e32 vcc, s[12:13], v[136:137]
	v_mov_b32_e32 v166, 0
	s_and_saveexec_b64 s[0:1], vcc
	s_cbranch_execz .LBB189_168
; %bb.167:                              ;   in Loop: Header=BB189_149 Depth=1
	v_add_co_u32_e32 v136, vcc, v232, v132
	v_addc_co_u32_e32 v137, vcc, v229, v133, vcc
	v_add_co_u32_e32 v140, vcc, v234, v132
	v_addc_co_u32_e32 v141, vcc, v231, v133, vcc
	global_load_ushort v126, v[136:137], off
	global_load_ushort v129, v[140:141], off
	s_waitcnt vmcnt(1)
	v_lshlrev_b32_e32 v255, 16, v126
	s_waitcnt vmcnt(0)
	v_lshlrev_b32_e32 v166, 16, v129
.LBB189_168:                            ;   in Loop: Header=BB189_149 Depth=1
	s_or_b64 exec, exec, s[0:1]
	v_add_co_u32_e32 v136, vcc, 7, v134
	v_addc_co_u32_e32 v137, vcc, 0, v135, vcc
	v_cmp_gt_i64_e32 vcc, s[12:13], v[136:137]
	v_mov_b32_e32 v164, 0
	v_mov_b32_e32 v129, 0
	v_mov_b32_e32 v163, 0
	s_and_saveexec_b64 s[0:1], vcc
	s_cbranch_execz .LBB189_170
; %bb.169:                              ;   in Loop: Header=BB189_149 Depth=1
	v_add_co_u32_e32 v136, vcc, v228, v132
	v_addc_co_u32_e32 v137, vcc, v225, v133, vcc
	v_add_co_u32_e32 v140, vcc, v230, v132
	v_addc_co_u32_e32 v141, vcc, v227, v133, vcc
	global_load_ushort v126, v[136:137], off
	global_load_ushort v131, v[140:141], off
	s_waitcnt vmcnt(1)
	v_lshlrev_b32_e32 v129, 16, v126
	s_waitcnt vmcnt(0)
	v_lshlrev_b32_e32 v163, 16, v131
.LBB189_170:                            ;   in Loop: Header=BB189_149 Depth=1
	s_or_b64 exec, exec, s[0:1]
	v_add_co_u32_e32 v136, vcc, 8, v134
	v_addc_co_u32_e32 v137, vcc, 0, v135, vcc
	v_cmp_gt_i64_e32 vcc, s[12:13], v[136:137]
	v_mov_b32_e32 v165, 0
	s_and_saveexec_b64 s[0:1], vcc
	s_cbranch_execz .LBB189_172
; %bb.171:                              ;   in Loop: Header=BB189_149 Depth=1
	v_add_co_u32_e32 v136, vcc, v224, v132
	v_addc_co_u32_e32 v137, vcc, v221, v133, vcc
	v_add_co_u32_e32 v140, vcc, v226, v132
	v_addc_co_u32_e32 v141, vcc, v223, v133, vcc
	global_load_ushort v126, v[136:137], off
	global_load_ushort v131, v[140:141], off
	s_waitcnt vmcnt(1)
	v_lshlrev_b32_e32 v164, 16, v126
	s_waitcnt vmcnt(0)
	v_lshlrev_b32_e32 v165, 16, v131
.LBB189_172:                            ;   in Loop: Header=BB189_149 Depth=1
	s_or_b64 exec, exec, s[0:1]
	v_add_co_u32_e32 v136, vcc, 9, v134
	v_addc_co_u32_e32 v137, vcc, 0, v135, vcc
	v_cmp_gt_i64_e32 vcc, s[12:13], v[136:137]
	v_mov_b32_e32 v168, 0
	v_mov_b32_e32 v170, 0
	;; [unrolled: 1-line block ×3, first 2 shown]
	s_and_saveexec_b64 s[0:1], vcc
	s_cbranch_execz .LBB189_174
; %bb.173:                              ;   in Loop: Header=BB189_149 Depth=1
	v_accvgpr_read_b32 v126, a92
	v_add_co_u32_e32 v136, vcc, v126, v132
	v_accvgpr_read_b32 v131, a91
	v_addc_co_u32_e32 v137, vcc, v131, v133, vcc
	v_accvgpr_read_b32 v126, a94
	v_add_co_u32_e32 v140, vcc, v126, v132
	v_addc_co_u32_e32 v141, vcc, v219, v133, vcc
	global_load_ushort v126, v[136:137], off
	global_load_ushort v131, v[140:141], off
	s_waitcnt vmcnt(1)
	v_lshlrev_b32_e32 v170, 16, v126
	s_waitcnt vmcnt(0)
	v_lshlrev_b32_e32 v126, 16, v131
.LBB189_174:                            ;   in Loop: Header=BB189_149 Depth=1
	s_or_b64 exec, exec, s[0:1]
	v_add_co_u32_e32 v136, vcc, 10, v134
	v_addc_co_u32_e32 v137, vcc, 0, v135, vcc
	v_cmp_gt_i64_e32 vcc, s[12:13], v[136:137]
	v_mov_b32_e32 v172, 0
	s_and_saveexec_b64 s[0:1], vcc
	s_cbranch_execz .LBB189_176
; %bb.175:                              ;   in Loop: Header=BB189_149 Depth=1
	v_accvgpr_read_b32 v136, a88
	v_add_co_u32_e32 v136, vcc, v136, v132
	v_accvgpr_read_b32 v131, a87
	v_addc_co_u32_e32 v137, vcc, v131, v133, vcc
	v_accvgpr_read_b32 v140, a90
	v_add_co_u32_e32 v140, vcc, v140, v132
	v_accvgpr_read_b32 v131, a89
	v_addc_co_u32_e32 v141, vcc, v131, v133, vcc
	global_load_ushort v131, v[136:137], off
	s_nop 0
	global_load_ushort v136, v[140:141], off
	s_waitcnt vmcnt(1)
	v_lshlrev_b32_e32 v168, 16, v131
	s_waitcnt vmcnt(0)
	v_lshlrev_b32_e32 v172, 16, v136
.LBB189_176:                            ;   in Loop: Header=BB189_149 Depth=1
	s_or_b64 exec, exec, s[0:1]
	v_add_co_u32_e32 v136, vcc, 11, v134
	v_addc_co_u32_e32 v137, vcc, 0, v135, vcc
	v_cmp_gt_i64_e32 vcc, s[12:13], v[136:137]
	v_mov_b32_e32 v167, 0
	v_mov_b32_e32 v169, 0
	v_mov_b32_e32 v174, 0
	s_and_saveexec_b64 s[0:1], vcc
	s_cbranch_execz .LBB189_178
; %bb.177:                              ;   in Loop: Header=BB189_149 Depth=1
	v_accvgpr_read_b32 v136, a84
	v_add_co_u32_e32 v136, vcc, v136, v132
	v_accvgpr_read_b32 v131, a83
	v_addc_co_u32_e32 v137, vcc, v131, v133, vcc
	v_accvgpr_read_b32 v140, a86
	v_add_co_u32_e32 v140, vcc, v140, v132
	v_accvgpr_read_b32 v131, a85
	v_addc_co_u32_e32 v141, vcc, v131, v133, vcc
	global_load_ushort v131, v[136:137], off
	s_nop 0
	global_load_ushort v136, v[140:141], off
	s_waitcnt vmcnt(1)
	v_lshlrev_b32_e32 v169, 16, v131
	s_waitcnt vmcnt(0)
	v_lshlrev_b32_e32 v174, 16, v136
.LBB189_178:                            ;   in Loop: Header=BB189_149 Depth=1
	s_or_b64 exec, exec, s[0:1]
	v_add_co_u32_e32 v136, vcc, 12, v134
	v_addc_co_u32_e32 v137, vcc, 0, v135, vcc
	v_cmp_gt_i64_e32 vcc, s[12:13], v[136:137]
	v_mov_b32_e32 v171, 0
	s_and_saveexec_b64 s[0:1], vcc
	s_cbranch_execz .LBB189_180
; %bb.179:                              ;   in Loop: Header=BB189_149 Depth=1
	v_accvgpr_read_b32 v136, a80
	v_add_co_u32_e32 v136, vcc, v136, v132
	v_accvgpr_read_b32 v131, a79
	v_addc_co_u32_e32 v137, vcc, v131, v133, vcc
	v_accvgpr_read_b32 v140, a82
	v_add_co_u32_e32 v140, vcc, v140, v132
	v_accvgpr_read_b32 v131, a81
	v_addc_co_u32_e32 v141, vcc, v131, v133, vcc
	global_load_ushort v131, v[136:137], off
	s_nop 0
	global_load_ushort v136, v[140:141], off
	s_waitcnt vmcnt(1)
	v_lshlrev_b32_e32 v167, 16, v131
	s_waitcnt vmcnt(0)
	v_lshlrev_b32_e32 v171, 16, v136
.LBB189_180:                            ;   in Loop: Header=BB189_149 Depth=1
	s_or_b64 exec, exec, s[0:1]
	v_add_co_u32_e32 v136, vcc, 13, v134
	v_addc_co_u32_e32 v137, vcc, 0, v135, vcc
	v_cmp_gt_i64_e32 vcc, s[12:13], v[136:137]
	v_mov_b32_e32 v131, 0
	v_mov_b32_e32 v176, 0
	v_mov_b32_e32 v173, 0
	s_and_saveexec_b64 s[0:1], vcc
	s_cbranch_execz .LBB189_182
; %bb.181:                              ;   in Loop: Header=BB189_149 Depth=1
	v_accvgpr_read_b32 v136, a76
	v_add_co_u32_e32 v136, vcc, v136, v132
	v_accvgpr_read_b32 v137, a75
	v_addc_co_u32_e32 v137, vcc, v137, v133, vcc
	v_accvgpr_read_b32 v140, a78
	v_add_co_u32_e32 v140, vcc, v140, v132
	v_accvgpr_read_b32 v141, a77
	v_addc_co_u32_e32 v141, vcc, v141, v133, vcc
	global_load_ushort v136, v[136:137], off
	s_nop 0
	global_load_ushort v137, v[140:141], off
	s_waitcnt vmcnt(1)
	v_lshlrev_b32_e32 v176, 16, v136
	s_waitcnt vmcnt(0)
	v_lshlrev_b32_e32 v173, 16, v137
.LBB189_182:                            ;   in Loop: Header=BB189_149 Depth=1
	;; [unrolled: 50-line block ×5, first 2 shown]
	s_or_b64 exec, exec, s[0:1]
	v_add_co_u32_e32 v140, vcc, 20, v134
	v_addc_co_u32_e32 v141, vcc, 0, v135, vcc
	v_cmp_gt_i64_e32 vcc, s[12:13], v[140:141]
	v_mov_b32_e32 v140, 0
	s_and_saveexec_b64 s[0:1], vcc
	s_cbranch_execz .LBB189_196
; %bb.195:                              ;   in Loop: Header=BB189_149 Depth=1
	v_accvgpr_read_b32 v136, a48
	v_add_co_u32_e32 v136, vcc, v136, v132
	v_accvgpr_read_b32 v137, a47
	v_addc_co_u32_e32 v137, vcc, v137, v133, vcc
	v_accvgpr_read_b32 v140, a50
	v_add_co_u32_e32 v140, vcc, v140, v132
	v_accvgpr_read_b32 v141, a49
	v_addc_co_u32_e32 v141, vcc, v141, v133, vcc
	global_load_ushort v136, v[136:137], off
	s_nop 0
	global_load_ushort v137, v[140:141], off
	s_waitcnt vmcnt(1)
	v_lshlrev_b32_e32 v136, 16, v136
	s_waitcnt vmcnt(0)
	v_lshlrev_b32_e32 v140, 16, v137
.LBB189_196:                            ;   in Loop: Header=BB189_149 Depth=1
	s_or_b64 exec, exec, s[0:1]
	v_add_co_u32_e32 v142, vcc, 21, v134
	v_addc_co_u32_e32 v143, vcc, 0, v135, vcc
	v_cmp_gt_i64_e32 vcc, s[12:13], v[142:143]
	v_mov_b32_e32 v160, 0
	v_mov_b32_e32 v137, 0
	v_mov_b32_e32 v141, 0
	s_and_saveexec_b64 s[0:1], vcc
	s_cbranch_execz .LBB189_198
; %bb.197:                              ;   in Loop: Header=BB189_149 Depth=1
	v_accvgpr_read_b32 v142, a44
	v_add_co_u32_e32 v142, vcc, v142, v132
	v_accvgpr_read_b32 v137, a43
	v_addc_co_u32_e32 v143, vcc, v137, v133, vcc
	v_accvgpr_read_b32 v144, a46
	v_add_co_u32_e32 v144, vcc, v144, v132
	v_accvgpr_read_b32 v137, a45
	v_addc_co_u32_e32 v145, vcc, v137, v133, vcc
	global_load_ushort v137, v[142:143], off
	global_load_ushort v141, v[144:145], off
	s_waitcnt vmcnt(1)
	v_lshlrev_b32_e32 v137, 16, v137
	s_waitcnt vmcnt(0)
	v_lshlrev_b32_e32 v141, 16, v141
.LBB189_198:                            ;   in Loop: Header=BB189_149 Depth=1
	s_or_b64 exec, exec, s[0:1]
	v_add_co_u32_e32 v142, vcc, 22, v134
	v_addc_co_u32_e32 v143, vcc, 0, v135, vcc
	v_cmp_gt_i64_e32 vcc, s[12:13], v[142:143]
	v_mov_b32_e32 v144, 0
	s_and_saveexec_b64 s[0:1], vcc
	s_cbranch_execz .LBB189_200
; %bb.199:                              ;   in Loop: Header=BB189_149 Depth=1
	v_accvgpr_read_b32 v142, a40
	v_add_co_u32_e32 v142, vcc, v142, v132
	v_accvgpr_read_b32 v143, a39
	v_addc_co_u32_e32 v143, vcc, v143, v133, vcc
	v_accvgpr_read_b32 v144, a42
	v_add_co_u32_e32 v144, vcc, v144, v132
	v_accvgpr_read_b32 v145, a41
	v_addc_co_u32_e32 v145, vcc, v145, v133, vcc
	global_load_ushort v142, v[142:143], off
	s_nop 0
	global_load_ushort v143, v[144:145], off
	s_waitcnt vmcnt(1)
	v_lshlrev_b32_e32 v160, 16, v142
	s_waitcnt vmcnt(0)
	v_lshlrev_b32_e32 v144, 16, v143
.LBB189_200:                            ;   in Loop: Header=BB189_149 Depth=1
	s_or_b64 exec, exec, s[0:1]
	v_add_co_u32_e32 v142, vcc, 23, v134
	v_addc_co_u32_e32 v143, vcc, 0, v135, vcc
	v_cmp_gt_i64_e32 vcc, s[12:13], v[142:143]
	v_mov_b32_e32 v142, 0
	v_mov_b32_e32 v161, 0
	v_mov_b32_e32 v145, 0
	s_and_saveexec_b64 s[0:1], vcc
	s_cbranch_execz .LBB189_202
; %bb.201:                              ;   in Loop: Header=BB189_149 Depth=1
	v_accvgpr_read_b32 v146, a36
	v_add_co_u32_e32 v146, vcc, v146, v132
	v_accvgpr_read_b32 v143, a35
	v_addc_co_u32_e32 v147, vcc, v143, v133, vcc
	v_accvgpr_read_b32 v148, a38
	v_add_co_u32_e32 v148, vcc, v148, v132
	v_accvgpr_read_b32 v143, a37
	v_addc_co_u32_e32 v149, vcc, v143, v133, vcc
	global_load_ushort v143, v[146:147], off
	global_load_ushort v145, v[148:149], off
	s_waitcnt vmcnt(1)
	v_lshlrev_b32_e32 v161, 16, v143
	s_waitcnt vmcnt(0)
	v_lshlrev_b32_e32 v145, 16, v145
.LBB189_202:                            ;   in Loop: Header=BB189_149 Depth=1
	;; [unrolled: 49-line block ×5, first 2 shown]
	s_or_b64 exec, exec, s[0:1]
	v_add_co_u32_e32 v190, vcc, 30, v134
	v_addc_co_u32_e32 v191, vcc, 0, v135, vcc
	v_cmp_gt_i64_e32 vcc, s[12:13], v[190:191]
	v_mov_b32_e32 v158, 0
	s_and_saveexec_b64 s[0:1], vcc
	s_cbranch_execz .LBB189_216
; %bb.215:                              ;   in Loop: Header=BB189_149 Depth=1
	v_accvgpr_read_b32 v154, a8
	v_add_co_u32_e32 v190, vcc, v154, v132
	v_accvgpr_read_b32 v185, a7
	v_addc_co_u32_e32 v191, vcc, v185, v133, vcc
	v_accvgpr_read_b32 v154, a10
	v_add_co_u32_e32 v192, vcc, v154, v132
	v_accvgpr_read_b32 v185, a9
	v_addc_co_u32_e32 v193, vcc, v185, v133, vcc
	global_load_ushort v154, v[190:191], off
	global_load_ushort v158, v[192:193], off
	s_waitcnt vmcnt(1)
	v_lshlrev_b32_e32 v154, 16, v154
	s_waitcnt vmcnt(0)
	v_lshlrev_b32_e32 v158, 16, v158
.LBB189_216:                            ;   in Loop: Header=BB189_149 Depth=1
	s_or_b64 exec, exec, s[0:1]
	v_add_co_u32_e32 v190, vcc, 31, v134
	v_addc_co_u32_e32 v191, vcc, 0, v135, vcc
	v_cmp_gt_i64_e32 vcc, s[12:13], v[190:191]
	v_mov_b32_e32 v185, 0
	s_and_saveexec_b64 s[0:1], vcc
	s_cbranch_execz .LBB189_218
; %bb.217:                              ;   in Loop: Header=BB189_149 Depth=1
	v_accvgpr_read_b32 v190, a4
	v_add_co_u32_e32 v190, vcc, v190, v132
	v_accvgpr_read_b32 v185, a3
	v_addc_co_u32_e32 v191, vcc, v185, v133, vcc
	v_accvgpr_read_b32 v192, a6
	v_add_co_u32_e32 v192, vcc, v192, v132
	v_accvgpr_read_b32 v185, a5
	v_addc_co_u32_e32 v193, vcc, v185, v133, vcc
	global_load_ushort v185, v[190:191], off
	global_load_ushort v187, v[192:193], off
	s_waitcnt vmcnt(1)
	v_lshlrev_b32_e32 v185, 16, v185
	s_waitcnt vmcnt(0)
	v_lshlrev_b32_e32 v187, 16, v187
	v_mul_f32_e32 v185, v187, v185
.LBB189_218:                            ;   in Loop: Header=BB189_149 Depth=1
	s_or_b64 exec, exec, s[0:1]
	s_waitcnt vmcnt(0)
	ds_bpermute_b32 v187, v0, v139
	v_mul_f32_e32 v189, v189, v194
	v_mul_f32_e32 v190, v196, v197
	v_mul_f32_e32 v155, v198, v155
	v_mul_f32_e32 v159, v162, v159
	s_waitcnt lgkmcnt(0)
	v_fma_f32 v187, v189, v187, v138
	ds_bpermute_b32 v189, v0, v139 offset:4
	v_mul_f32_e32 v129, v129, v163
	v_mul_f32_e32 v126, v170, v126
	ds_bpermute_b32 v162, v0, v139 offset:80
	ds_bpermute_b32 v163, v0, v139 offset:84
	s_waitcnt lgkmcnt(2)
	v_fmac_f32_e32 v187, v190, v189
	ds_bpermute_b32 v189, v0, v139 offset:8
	v_mul_f32_e32 v190, v195, v199
	v_pk_mul_f32 v[136:137], v[136:137], v[140:141]
	s_waitcnt lgkmcnt(1)
	v_pk_mul_f32 v[136:137], v[136:137], v[162:163]
	v_pk_mul_f32 v[140:141], v[160:161], v[144:145]
	s_waitcnt lgkmcnt(0)
	v_fmac_f32_e32 v187, v190, v189
	ds_bpermute_b32 v189, v0, v139 offset:12
	v_mul_f32_e32 v190, v200, v201
	s_waitcnt lgkmcnt(0)
	v_fmac_f32_e32 v187, v190, v189
	ds_bpermute_b32 v189, v0, v139 offset:16
	s_waitcnt lgkmcnt(0)
	v_fmac_f32_e32 v187, v155, v189
	ds_bpermute_b32 v155, v0, v139 offset:20
	;; [unrolled: 3-line block ×3, first 2 shown]
	v_mul_f32_e32 v159, v255, v166
	s_waitcnt lgkmcnt(0)
	v_fmac_f32_e32 v187, v159, v155
	ds_bpermute_b32 v155, v0, v139 offset:28
	s_waitcnt lgkmcnt(0)
	v_fmac_f32_e32 v187, v129, v155
	ds_bpermute_b32 v129, v0, v139 offset:32
	v_mul_f32_e32 v155, v164, v165
	s_waitcnt lgkmcnt(0)
	v_fmac_f32_e32 v187, v155, v129
	ds_bpermute_b32 v129, v0, v139 offset:36
	s_waitcnt lgkmcnt(0)
	v_fmac_f32_e32 v187, v126, v129
	ds_bpermute_b32 v126, v0, v139 offset:40
	v_mul_f32_e32 v129, v168, v172
	s_waitcnt lgkmcnt(0)
	v_fmac_f32_e32 v187, v129, v126
	ds_bpermute_b32 v126, v0, v139 offset:44
	v_mul_f32_e32 v129, v169, v174
	;; [unrolled: 4-line block ×10, first 2 shown]
	s_waitcnt lgkmcnt(0)
	v_fmac_f32_e32 v187, v129, v126
	v_add_f32_e32 v126, v187, v136
	v_add_f32_e32 v126, v126, v137
	ds_bpermute_b32 v136, v0, v139 offset:88
	ds_bpermute_b32 v137, v0, v139 offset:92
	s_waitcnt lgkmcnt(0)
	v_pk_mul_f32 v[136:137], v[140:141], v[136:137]
	v_add_f32_e32 v126, v126, v136
	v_add_f32_e32 v126, v126, v137
	ds_bpermute_b32 v136, v0, v139 offset:96
	ds_bpermute_b32 v137, v0, v139 offset:100
	v_pk_mul_f32 v[140:141], v[142:143], v[148:149]
	s_waitcnt lgkmcnt(0)
	v_pk_mul_f32 v[136:137], v[140:141], v[136:137]
	v_add_f32_e32 v126, v126, v136
	v_add_f32_e32 v126, v126, v137
	ds_bpermute_b32 v136, v0, v139 offset:104
	ds_bpermute_b32 v137, v0, v139 offset:108
	v_pk_mul_f32 v[140:141], v[146:147], v[152:153]
	;; [unrolled: 7-line block ×3, first 2 shown]
	s_waitcnt lgkmcnt(0)
	v_pk_mul_f32 v[136:137], v[140:141], v[136:137]
	v_add_f32_e32 v126, v126, v136
	v_add_f32_e32 v126, v126, v137
	ds_bpermute_b32 v136, v0, v139 offset:120
	ds_bpermute_b32 v137, v0, v139 offset:124
	v_pk_mul_f32 v[140:141], v[154:155], v[158:159] op_sel_hi:[1,0]
	v_mov_b32_e32 v141, v185
	s_waitcnt lgkmcnt(0)
	v_pk_mul_f32 v[136:137], v[140:141], v[136:137]
	v_add_f32_e32 v126, v126, v136
	v_add_f32_e32 v139, v126, v137
	s_branch .LBB189_225
.LBB189_219:                            ;   in Loop: Header=BB189_149 Depth=1
                                        ; implicit-def: $vgpr139
	s_cbranch_execz .LBB189_225
; %bb.220:                              ;   in Loop: Header=BB189_149 Depth=1
	s_load_dword s0, s[10:11], 0x0
	v_accvgpr_read_b32 v129, a95
	v_accvgpr_read_b32 v131, a93
	s_waitcnt lgkmcnt(0)
	s_cmp_lt_u32 s6, s0
	s_cselect_b32 s0, 12, 18
	s_add_u32 s0, s10, s0
	s_addc_u32 s1, s11, 0
	global_load_ushort v126, v129, s[0:1]
	v_accvgpr_read_b32 v129, a1
	s_waitcnt vmcnt(0)
	v_mad_u32_u24 v126, v129, v126, v131
	v_and_b32_e32 v129, 63, v126
	v_cmp_gt_u32_e32 vcc, 32, v129
	v_mov_b32_e32 v126, 0
	s_and_saveexec_b64 s[0:1], vcc
	s_cbranch_execz .LBB189_224
; %bb.221:                              ;   in Loop: Header=BB189_149 Depth=1
	v_add_co_u32_e32 v134, vcc, v134, v129
	v_addc_co_u32_e32 v135, vcc, 0, v135, vcc
	v_cmp_gt_i64_e32 vcc, s[12:13], v[134:135]
	v_mov_b32_e32 v126, 0
	s_and_saveexec_b64 s[26:27], vcc
	s_cbranch_execz .LBB189_223
; %bb.222:                              ;   in Loop: Header=BB189_149 Depth=1
	v_lshlrev_b64 v[134:135], 2, v[134:135]
	v_mov_b32_e32 v126, s21
	v_add_co_u32_e32 v134, vcc, s20, v134
	v_addc_co_u32_e32 v135, vcc, v126, v135, vcc
	global_load_dword v126, v[134:135], off
.LBB189_223:                            ;   in Loop: Header=BB189_149 Depth=1
	s_or_b64 exec, exec, s[26:27]
.LBB189_224:                            ;   in Loop: Header=BB189_149 Depth=1
	s_or_b64 exec, exec, s[0:1]
	v_add_co_u32_e32 v134, vcc, v128, v132
	v_addc_co_u32_e32 v135, vcc, v1, v133, vcc
	global_load_ushort v129, v[134:135], off
	v_add_co_u32_e32 v134, vcc, v130, v132
	v_addc_co_u32_e32 v135, vcc, v127, v133, vcc
	global_load_ushort v131, v[134:135], off
	;; [unrolled: 3-line block ×40, first 2 shown]
	s_waitcnt vmcnt(37)
	v_lshlrev_b32_e32 v184, 16, v136
	s_waitcnt vmcnt(36)
	v_lshlrev_b32_e32 v185, 16, v137
	;; [unrolled: 2-line block ×8, first 2 shown]
	ds_bpermute_b32 v222, v0, v126
	s_waitcnt vmcnt(28)
	v_lshlrev_b32_e32 v255, 16, v146
	s_waitcnt vmcnt(27)
	v_lshlrev_b32_e32 v187, 16, v147
	v_lshlrev_b32_e32 v129, 16, v129
	;; [unrolled: 1-line block ×3, first 2 shown]
	s_waitcnt vmcnt(26)
	v_lshlrev_b32_e32 v189, 16, v148
	s_waitcnt vmcnt(25)
	v_lshlrev_b32_e32 v194, 16, v149
	v_mul_f32_e32 v129, v129, v131
	s_waitcnt vmcnt(24)
	v_lshlrev_b32_e32 v196, 16, v150
	s_waitcnt lgkmcnt(0)
	v_fmac_f32_e32 v138, v129, v222
	ds_bpermute_b32 v129, v0, v126 offset:4
	s_waitcnt vmcnt(23)
	v_lshlrev_b32_e32 v198, 16, v151
	s_waitcnt vmcnt(22)
	v_lshlrev_b32_e32 v195, 16, v152
	;; [unrolled: 2-line block ×3, first 2 shown]
	v_lshlrev_b32_e32 v139, 16, v139
	s_waitcnt vmcnt(20)
	v_lshlrev_b32_e32 v197, 16, v154
	v_mul_f32_e32 v131, v184, v185
	s_waitcnt vmcnt(19)
	v_lshlrev_b32_e32 v202, 16, v155
	s_waitcnt lgkmcnt(0)
	v_fmac_f32_e32 v138, v131, v129
	v_mul_f32_e32 v129, v139, v186
	s_waitcnt vmcnt(18)
	v_lshlrev_b32_e32 v199, 16, v156
	s_waitcnt vmcnt(17)
	v_lshlrev_b32_e32 v204, 16, v157
	;; [unrolled: 2-line block ×10, first 2 shown]
	ds_bpermute_b32 v184, v0, v126 offset:8
	s_waitcnt vmcnt(8)
	v_lshlrev_b32_e32 v209, 16, v166
	v_mul_f32_e32 v131, v188, v190
	s_waitcnt lgkmcnt(0)
	v_fmac_f32_e32 v138, v129, v184
	s_waitcnt vmcnt(7)
	v_lshlrev_b32_e32 v214, 16, v167
	ds_bpermute_b32 v129, v0, v126 offset:12
	s_waitcnt vmcnt(6)
	v_lshlrev_b32_e32 v211, 16, v168
	s_waitcnt lgkmcnt(0)
	v_fmac_f32_e32 v138, v131, v129
	v_mul_f32_e32 v129, v191, v192
	v_mul_f32_e32 v131, v193, v255
	s_waitcnt vmcnt(5)
	v_lshlrev_b32_e32 v216, 16, v169
	s_waitcnt vmcnt(4)
	v_lshlrev_b32_e32 v213, 16, v170
	;; [unrolled: 2-line block ×6, first 2 shown]
	v_add_co_u32_e32 v134, vcc, v78, v132
	v_addc_co_u32_e32 v135, vcc, v79, v133, vcc
	v_add_co_u32_e32 v136, vcc, v80, v132
	v_addc_co_u32_e32 v137, vcc, v81, v133, vcc
	;; [unrolled: 2-line block ×6, first 2 shown]
	v_add_co_u32_e32 v148, vcc, v90, v132
	global_load_ushort v140, v[140:141], off
	s_nop 0
	global_load_ushort v141, v[134:135], off
	s_nop 0
	;; [unrolled: 2-line block ×3, first 2 shown]
	global_load_ushort v143, v[136:137], off
	v_addc_co_u32_e32 v149, vcc, v91, v133, vcc
	v_add_co_u32_e32 v150, vcc, v92, v132
	v_addc_co_u32_e32 v151, vcc, v93, v133, vcc
	v_add_co_u32_e32 v152, vcc, v94, v132
	;; [unrolled: 2-line block ×3, first 2 shown]
	v_addc_co_u32_e32 v155, vcc, v97, v133, vcc
	global_load_ushort v139, v[148:149], off
	s_nop 0
	global_load_ushort v144, v[144:145], off
	s_nop 0
	;; [unrolled: 2-line block ×3, first 2 shown]
	global_load_ushort v146, v[146:147], off
	v_add_co_u32_e32 v156, vcc, v98, v132
	v_addc_co_u32_e32 v157, vcc, v99, v133, vcc
	v_add_co_u32_e32 v158, vcc, v100, v132
	v_addc_co_u32_e32 v159, vcc, v101, v133, vcc
	;; [unrolled: 2-line block ×3, first 2 shown]
	v_add_co_u32_e32 v162, vcc, v104, v132
	global_load_ushort v147, v[156:157], off
	global_load_ushort v148, v[152:153], off
	;; [unrolled: 1-line block ×4, first 2 shown]
	v_addc_co_u32_e32 v163, vcc, v105, v133, vcc
	v_add_co_u32_e32 v164, vcc, v106, v132
	v_addc_co_u32_e32 v165, vcc, v107, v133, vcc
	v_add_co_u32_e32 v166, vcc, v108, v132
	;; [unrolled: 2-line block ×3, first 2 shown]
	v_addc_co_u32_e32 v169, vcc, v111, v133, vcc
	global_load_ushort v151, v[164:165], off
	global_load_ushort v152, v[160:161], off
	;; [unrolled: 1-line block ×4, first 2 shown]
	v_add_co_u32_e32 v170, vcc, v112, v132
	v_addc_co_u32_e32 v171, vcc, v113, v133, vcc
	v_add_co_u32_e32 v172, vcc, v114, v132
	v_addc_co_u32_e32 v173, vcc, v115, v133, vcc
	;; [unrolled: 2-line block ×3, first 2 shown]
	v_add_co_u32_e32 v176, vcc, v118, v132
	global_load_ushort v155, v[172:173], off
	global_load_ushort v156, v[168:169], off
	;; [unrolled: 1-line block ×4, first 2 shown]
	v_addc_co_u32_e32 v177, vcc, v119, v133, vcc
	v_add_co_u32_e32 v178, vcc, v120, v132
	v_addc_co_u32_e32 v179, vcc, v121, v133, vcc
	v_add_co_u32_e32 v180, vcc, v122, v132
	ds_bpermute_b32 v134, v0, v126 offset:16
	v_addc_co_u32_e32 v181, vcc, v123, v133, vcc
	v_add_co_u32_e32 v182, vcc, v124, v132
	v_addc_co_u32_e32 v183, vcc, v125, v133, vcc
	global_load_ushort v159, v[180:181], off
	global_load_ushort v160, v[176:177], off
	;; [unrolled: 1-line block ×4, first 2 shown]
	s_waitcnt lgkmcnt(0)
	v_fmac_f32_e32 v138, v129, v134
	ds_bpermute_b32 v129, v0, v126 offset:20
	ds_bpermute_b32 v134, v0, v126 offset:24
	;; [unrolled: 1-line block ×3, first 2 shown]
	s_waitcnt vmcnt(23)
	v_lshlrev_b32_e32 v137, 16, v140
	s_waitcnt vmcnt(22)
	v_lshlrev_b32_e32 v136, 16, v141
	s_waitcnt lgkmcnt(2)
	v_fmac_f32_e32 v138, v131, v129
	v_mul_f32_e32 v129, v187, v189
	s_waitcnt lgkmcnt(1)
	v_fmac_f32_e32 v138, v129, v134
	ds_bpermute_b32 v129, v0, v126 offset:28
	ds_bpermute_b32 v134, v0, v126 offset:32
	v_mul_f32_e32 v131, v194, v196
	s_waitcnt vmcnt(21)
	v_lshlrev_b32_e32 v141, 16, v142
	s_waitcnt vmcnt(20)
	v_lshlrev_b32_e32 v140, 16, v143
	s_waitcnt lgkmcnt(1)
	v_fmac_f32_e32 v138, v131, v129
	v_mul_f32_e32 v129, v198, v195
	s_waitcnt lgkmcnt(0)
	v_fmac_f32_e32 v138, v129, v134
	ds_bpermute_b32 v129, v0, v126 offset:36
	ds_bpermute_b32 v134, v0, v126 offset:40
	v_mul_f32_e32 v131, v200, v197
	v_pk_mul_f32 v[136:137], v[136:137], v[140:141]
	s_waitcnt lgkmcnt(1)
	v_fmac_f32_e32 v138, v131, v129
	v_mul_f32_e32 v129, v202, v199
	s_waitcnt lgkmcnt(0)
	v_fmac_f32_e32 v138, v129, v134
	ds_bpermute_b32 v129, v0, v126 offset:44
	ds_bpermute_b32 v134, v0, v126 offset:48
	v_mul_f32_e32 v131, v204, v201
	s_waitcnt lgkmcnt(1)
	v_fmac_f32_e32 v138, v131, v129
	ds_bpermute_b32 v129, v0, v126 offset:52
	v_mul_f32_e32 v131, v206, v203
	s_waitcnt lgkmcnt(1)
	v_fmac_f32_e32 v138, v131, v134
	;; [unrolled: 4-line block ×5, first 2 shown]
	v_mul_f32_e32 v129, v214, v211
	ds_bpermute_b32 v134, v0, v126 offset:68
	s_waitcnt lgkmcnt(1)
	v_fmac_f32_e32 v138, v129, v131
	ds_bpermute_b32 v129, v0, v126 offset:72
	v_mul_f32_e32 v131, v216, v213
	s_waitcnt lgkmcnt(1)
	v_fmac_f32_e32 v138, v131, v134
	v_mul_f32_e32 v131, v218, v215
	s_waitcnt lgkmcnt(0)
	v_fmac_f32_e32 v138, v131, v129
	v_mul_f32_e32 v129, v220, v217
	v_fmac_f32_e32 v138, v129, v135
	ds_bpermute_b32 v134, v0, v126 offset:80
	ds_bpermute_b32 v135, v0, v126 offset:84
	s_waitcnt lgkmcnt(0)
	v_pk_mul_f32 v[134:135], v[136:137], v[134:135]
	v_add_f32_e32 v129, v138, v134
	v_add_f32_e32 v129, v129, v135
	ds_bpermute_b32 v134, v0, v126 offset:88
	ds_bpermute_b32 v135, v0, v126 offset:92
	s_waitcnt vmcnt(19)
	v_lshlrev_b32_e32 v137, 16, v139
	s_waitcnt vmcnt(18)
	v_lshlrev_b32_e32 v136, 16, v144
	s_waitcnt vmcnt(17)
	v_lshlrev_b32_e32 v139, 16, v145
	s_waitcnt vmcnt(16)
	v_lshlrev_b32_e32 v138, 16, v146
	v_pk_mul_f32 v[136:137], v[136:137], v[138:139]
	s_waitcnt lgkmcnt(0)
	v_pk_mul_f32 v[134:135], v[136:137], v[134:135]
	v_add_f32_e32 v129, v129, v134
	v_add_f32_e32 v129, v129, v135
	ds_bpermute_b32 v134, v0, v126 offset:96
	ds_bpermute_b32 v135, v0, v126 offset:100
	s_waitcnt vmcnt(15)
	v_lshlrev_b32_e32 v137, 16, v147
	s_waitcnt vmcnt(14)
	v_lshlrev_b32_e32 v136, 16, v148
	s_waitcnt vmcnt(13)
	v_lshlrev_b32_e32 v139, 16, v149
	s_waitcnt vmcnt(12)
	v_lshlrev_b32_e32 v138, 16, v150
	v_pk_mul_f32 v[136:137], v[136:137], v[138:139]
	;; [unrolled: 15-line block ×5, first 2 shown]
	s_waitcnt lgkmcnt(0)
	v_pk_mul_f32 v[134:135], v[136:137], v[134:135]
	v_add_f32_e32 v126, v129, v134
	v_add_f32_e32 v139, v126, v135
.LBB189_225:                            ;   in Loop: Header=BB189_149 Depth=1
	v_accvgpr_read_b32 v126, a2
	v_add_co_u32_e32 v126, vcc, s7, v126
	v_accvgpr_write_b32 a2, v126
	v_mov_b32_e32 v126, s9
	v_addc_co_u32_e32 v253, vcc, v253, v126, vcc
	v_add_co_u32_e32 v2, vcc, s16, v2
	v_mov_b32_e32 v126, s17
	v_addc_co_u32_e32 v3, vcc, v3, v126, vcc
	v_add_co_u32_e32 v4, vcc, s16, v4
	v_addc_co_u32_e32 v5, vcc, v5, v126, vcc
	v_add_co_u32_e32 v6, vcc, s16, v6
	;; [unrolled: 2-line block ×63, first 2 shown]
	v_addc_co_u32_e32 v127, vcc, v127, v126, vcc
	v_accvgpr_read_b32 v134, a4
	v_add_co_u32_e32 v134, vcc, s16, v134
	v_accvgpr_read_b32 v129, a3
	v_accvgpr_write_b32 a4, v134
	v_addc_co_u32_e32 v129, vcc, v129, v126, vcc
	v_accvgpr_read_b32 v134, a6
	v_accvgpr_write_b32 a3, v129
	v_add_co_u32_e32 v134, vcc, s16, v134
	v_accvgpr_read_b32 v129, a5
	v_accvgpr_write_b32 a6, v134
	v_addc_co_u32_e32 v129, vcc, v129, v126, vcc
	v_accvgpr_read_b32 v134, a8
	v_accvgpr_write_b32 a5, v129
	;; [unrolled: 6-line block ×44, first 2 shown]
	v_add_co_u32_e32 v134, vcc, s16, v134
	v_accvgpr_read_b32 v129, a91
	v_accvgpr_write_b32 a92, v134
	v_addc_co_u32_e32 v129, vcc, v129, v126, vcc
	v_accvgpr_read_b32 v134, a94
	v_add_co_u32_e32 v134, vcc, s16, v134
	v_addc_co_u32_e32 v219, vcc, v219, v126, vcc
	v_add_co_u32_e32 v224, vcc, s16, v224
	v_addc_co_u32_e32 v221, vcc, v221, v126, vcc
	;; [unrolled: 2-line block ×16, first 2 shown]
	s_add_u32 s24, s24, s7
	v_add_co_u32_e32 v254, vcc, s16, v254
	s_addc_u32 s25, s25, 0
	v_accvgpr_write_b32 a94, v134
	v_addc_co_u32_e32 v251, vcc, v251, v126, vcc
	v_pk_mov_b32 v[134:135], s[12:13], s[12:13] op_sel:[0,1]
	s_add_u32 s18, s18, s7
	v_cmp_ge_i64_e32 vcc, s[24:25], v[134:135]
	s_addc_u32 s19, s19, 0
	s_cbranch_vccnz .LBB189_227
; %bb.226:                              ;   in Loop: Header=BB189_149 Depth=1
	v_accvgpr_write_b32 a91, v129
	v_mov_b32_e32 v138, v139
	s_branch .LBB189_149
.LBB189_227:
	v_accvgpr_read_b32 v206, a0
.LBB189_228:
	s_mov_b32 s7, 0
	s_lshl_b64 s[0:1], s[6:7], 6
	v_and_b32_e32 v0, 0x3ff, v206
	v_or_b32_e32 v2, s0, v0
	v_mov_b32_e32 v3, s1
	s_waitcnt lgkmcnt(0)
	s_cmp_lg_u64 s[2:3], 0
	v_cmp_gt_i64_e32 vcc, s[14:15], v[2:3]
	s_cselect_b64 s[0:1], -1, 0
	s_and_b64 s[0:1], vcc, s[0:1]
	s_and_saveexec_b64 s[6:7], s[0:1]
	s_cbranch_execz .LBB189_230
; %bb.229:
	s_load_dword s0, s[4:5], 0x4c
	v_bfe_u32 v0, v206, 10, 10
	v_mov_b32_e32 v1, 0
	v_mov_b32_e32 v4, s8
	v_mov_b32_e32 v5, 0x7fc0
	s_waitcnt lgkmcnt(0)
	s_lshr_b32 s0, s0, 16
	v_mad_u64_u32 v[0:1], s[0:1], s0, v4, v[0:1]
	v_bfe_u32 v4, v139, 16, 1
	s_movk_i32 s0, 0x7fff
	v_add3_u32 v4, v139, v4, s0
	v_lshrrev_b32_e32 v4, 16, v4
	v_cmp_o_f32_e32 vcc, v139, v139
	v_cndmask_b32_e32 v4, v5, v4, vcc
	v_mul_lo_u32 v5, v1, s14
	v_mul_lo_u32 v6, v0, s15
	v_mad_u64_u32 v[0:1], s[0:1], v0, s14, 0
	v_add3_u32 v1, v1, v6, v5
	v_lshlrev_b64 v[0:1], 1, v[0:1]
	v_mov_b32_e32 v5, s3
	v_add_co_u32_e32 v6, vcc, s2, v0
	v_addc_co_u32_e32 v5, vcc, v5, v1, vcc
	v_lshlrev_b64 v[0:1], 1, v[2:3]
	v_add_co_u32_e32 v0, vcc, v6, v0
	v_addc_co_u32_e32 v1, vcc, v5, v1, vcc
	global_store_short v[0:1], v4, off
.LBB189_230:
	s_endpgm
	.section	.rodata,"a",@progbits
	.p2align	6, 0x0
	.amdhsa_kernel _ZN2at6native12_GLOBAL__N_135GammaBetaBackwardCUDAKernelTemplateIN3c108BFloat16EfLj64ELj1ELj32ELb1ELb0ELb1EEEvllPKT_S7_PKT0_SA_PS5_SB_
		.amdhsa_group_segment_fixed_size 0
		.amdhsa_private_segment_fixed_size 0
		.amdhsa_kernarg_size 320
		.amdhsa_user_sgpr_count 6
		.amdhsa_user_sgpr_private_segment_buffer 1
		.amdhsa_user_sgpr_dispatch_ptr 0
		.amdhsa_user_sgpr_queue_ptr 0
		.amdhsa_user_sgpr_kernarg_segment_ptr 1
		.amdhsa_user_sgpr_dispatch_id 0
		.amdhsa_user_sgpr_flat_scratch_init 0
		.amdhsa_user_sgpr_kernarg_preload_length 0
		.amdhsa_user_sgpr_kernarg_preload_offset 0
		.amdhsa_user_sgpr_private_segment_size 0
		.amdhsa_uses_dynamic_stack 0
		.amdhsa_system_sgpr_private_segment_wavefront_offset 0
		.amdhsa_system_sgpr_workgroup_id_x 1
		.amdhsa_system_sgpr_workgroup_id_y 1
		.amdhsa_system_sgpr_workgroup_id_z 0
		.amdhsa_system_sgpr_workgroup_info 0
		.amdhsa_system_vgpr_workitem_id 1
		.amdhsa_next_free_vgpr 352
		.amdhsa_next_free_sgpr 36
		.amdhsa_accum_offset 256
		.amdhsa_reserve_vcc 1
		.amdhsa_reserve_flat_scratch 0
		.amdhsa_float_round_mode_32 0
		.amdhsa_float_round_mode_16_64 0
		.amdhsa_float_denorm_mode_32 3
		.amdhsa_float_denorm_mode_16_64 3
		.amdhsa_dx10_clamp 1
		.amdhsa_ieee_mode 1
		.amdhsa_fp16_overflow 0
		.amdhsa_tg_split 0
		.amdhsa_exception_fp_ieee_invalid_op 0
		.amdhsa_exception_fp_denorm_src 0
		.amdhsa_exception_fp_ieee_div_zero 0
		.amdhsa_exception_fp_ieee_overflow 0
		.amdhsa_exception_fp_ieee_underflow 0
		.amdhsa_exception_fp_ieee_inexact 0
		.amdhsa_exception_int_div_zero 0
	.end_amdhsa_kernel
	.section	.text._ZN2at6native12_GLOBAL__N_135GammaBetaBackwardCUDAKernelTemplateIN3c108BFloat16EfLj64ELj1ELj32ELb1ELb0ELb1EEEvllPKT_S7_PKT0_SA_PS5_SB_,"axG",@progbits,_ZN2at6native12_GLOBAL__N_135GammaBetaBackwardCUDAKernelTemplateIN3c108BFloat16EfLj64ELj1ELj32ELb1ELb0ELb1EEEvllPKT_S7_PKT0_SA_PS5_SB_,comdat
.Lfunc_end189:
	.size	_ZN2at6native12_GLOBAL__N_135GammaBetaBackwardCUDAKernelTemplateIN3c108BFloat16EfLj64ELj1ELj32ELb1ELb0ELb1EEEvllPKT_S7_PKT0_SA_PS5_SB_, .Lfunc_end189-_ZN2at6native12_GLOBAL__N_135GammaBetaBackwardCUDAKernelTemplateIN3c108BFloat16EfLj64ELj1ELj32ELb1ELb0ELb1EEEvllPKT_S7_PKT0_SA_PS5_SB_
                                        ; -- End function
	.section	.AMDGPU.csdata,"",@progbits
; Kernel info:
; codeLenInByte = 24148
; NumSgprs: 40
; NumVgprs: 256
; NumAgprs: 96
; TotalNumVgprs: 352
; ScratchSize: 0
; MemoryBound: 0
; FloatMode: 240
; IeeeMode: 1
; LDSByteSize: 0 bytes/workgroup (compile time only)
; SGPRBlocks: 4
; VGPRBlocks: 43
; NumSGPRsForWavesPerEU: 40
; NumVGPRsForWavesPerEU: 352
; AccumOffset: 256
; Occupancy: 1
; WaveLimiterHint : 0
; COMPUTE_PGM_RSRC2:SCRATCH_EN: 0
; COMPUTE_PGM_RSRC2:USER_SGPR: 6
; COMPUTE_PGM_RSRC2:TRAP_HANDLER: 0
; COMPUTE_PGM_RSRC2:TGID_X_EN: 1
; COMPUTE_PGM_RSRC2:TGID_Y_EN: 1
; COMPUTE_PGM_RSRC2:TGID_Z_EN: 0
; COMPUTE_PGM_RSRC2:TIDIG_COMP_CNT: 1
; COMPUTE_PGM_RSRC3_GFX90A:ACCUM_OFFSET: 63
; COMPUTE_PGM_RSRC3_GFX90A:TG_SPLIT: 0
	.section	.text._ZN2at6native12_GLOBAL__N_135GammaBetaBackwardCUDAKernelTemplateIN3c108BFloat16EfLj64ELj1ELj8ELb1ELb1ELb1EEEvllPKT_S7_PKT0_SA_PS5_SB_,"axG",@progbits,_ZN2at6native12_GLOBAL__N_135GammaBetaBackwardCUDAKernelTemplateIN3c108BFloat16EfLj64ELj1ELj8ELb1ELb1ELb1EEEvllPKT_S7_PKT0_SA_PS5_SB_,comdat
	.globl	_ZN2at6native12_GLOBAL__N_135GammaBetaBackwardCUDAKernelTemplateIN3c108BFloat16EfLj64ELj1ELj8ELb1ELb1ELb1EEEvllPKT_S7_PKT0_SA_PS5_SB_ ; -- Begin function _ZN2at6native12_GLOBAL__N_135GammaBetaBackwardCUDAKernelTemplateIN3c108BFloat16EfLj64ELj1ELj8ELb1ELb1ELb1EEEvllPKT_S7_PKT0_SA_PS5_SB_
	.p2align	8
	.type	_ZN2at6native12_GLOBAL__N_135GammaBetaBackwardCUDAKernelTemplateIN3c108BFloat16EfLj64ELj1ELj8ELb1ELb1ELb1EEEvllPKT_S7_PKT0_SA_PS5_SB_,@function
_ZN2at6native12_GLOBAL__N_135GammaBetaBackwardCUDAKernelTemplateIN3c108BFloat16EfLj64ELj1ELj8ELb1ELb1ELb1EEEvllPKT_S7_PKT0_SA_PS5_SB_: ; @_ZN2at6native12_GLOBAL__N_135GammaBetaBackwardCUDAKernelTemplateIN3c108BFloat16EfLj64ELj1ELj8ELb1ELb1ELb1EEEvllPKT_S7_PKT0_SA_PS5_SB_
; %bb.0:
	s_load_dwordx4 s[8:11], s[4:5], 0x0
	s_load_dwordx2 s[16:17], s[4:5], 0x30
	s_lshl_b32 s18, s7, 3
	s_mov_b32 s19, 0
	s_mov_b32 s2, s7
	s_waitcnt lgkmcnt(0)
	v_pk_mov_b32 v[2:3], s[8:9], s[8:9] op_sel:[0,1]
	v_cmp_ge_i64_e32 vcc, s[18:19], v[2:3]
	v_mov_b32_e32 v5, 0
	v_bfe_u32 v2, v0, 10, 10
	s_cbranch_vccnz .LBB190_7
; %bb.1:
	s_load_dword s0, s[4:5], 0x4c
	s_load_dword s3, s[4:5], 0x44
	s_load_dwordx4 s[12:15], s[4:5], 0x10
	s_load_dwordx2 s[22:23], s[4:5], 0x28
	v_and_b32_e32 v1, 0x3ff, v0
	s_waitcnt lgkmcnt(0)
	s_and_b32 s0, s0, 0xffff
	v_mad_u32_u24 v3, v2, s0, v1
	v_lshl_or_b32 v4, s6, 6, v1
	v_mbcnt_lo_u32_b32 v1, -1, 0
	v_mbcnt_hi_u32_b32 v1, -1, v1
	v_lshlrev_b32_e32 v7, 3, v2
	v_lshlrev_b32_e32 v1, 2, v1
	v_and_b32_e32 v6, 63, v3
	v_and_b32_e32 v3, 0x100, v1
	v_mov_b32_e32 v1, s19
	v_add_co_u32_e32 v10, vcc, s18, v7
	v_addc_co_u32_e32 v1, vcc, 0, v1, vcc
	v_cmp_gt_u32_e64 s[0:1], 8, v6
	v_add_co_u32_e32 v6, vcc, v10, v6
	v_addc_co_u32_e32 v7, vcc, 0, v1, vcc
	v_lshlrev_b64 v[8:9], 2, v[6:7]
	v_mov_b32_e32 v11, s23
	v_add_co_u32_e32 v8, vcc, s22, v8
	s_lshl_b32 s20, s3, 3
	v_addc_co_u32_e32 v9, vcc, v11, v9, vcc
	v_mul_lo_u32 v19, s11, v10
	v_mul_lo_u32 v1, s10, v1
	v_mad_u64_u32 v[10:11], s[24:25], s10, v10, 0
	v_mov_b32_e32 v5, 0
	v_add3_u32 v11, v11, v1, v19
	s_mul_i32 s3, s11, s20
	s_mul_hi_u32 s7, s10, s20
	s_mov_b32 s21, s19
	v_lshlrev_b64 v[10:11], 1, v[10:11]
	v_lshlrev_b64 v[20:21], 1, v[4:5]
	s_add_i32 s25, s7, s3
	s_mul_i32 s24, s10, s20
	s_lshl_b64 s[22:23], s[20:21], 2
	v_add_co_u32_e32 v4, vcc, v10, v20
	s_lshl_b64 s[24:25], s[24:25], 1
	s_lshl_b64 s[26:27], s[10:11], 1
	v_or_b32_e32 v12, 4, v3
	v_or_b32_e32 v13, 8, v3
	;; [unrolled: 1-line block ×7, first 2 shown]
	v_addc_co_u32_e32 v1, vcc, v11, v21, vcc
	v_mov_b32_e32 v19, s13
	v_mov_b32_e32 v20, s15
	;; [unrolled: 1-line block ×6, first 2 shown]
	v_pk_mov_b32 v[10:11], s[8:9], s[8:9] op_sel:[0,1]
	s_branch .LBB190_4
.LBB190_2:                              ;   in Loop: Header=BB190_4 Depth=1
	s_or_b64 exec, exec, s[30:31]
.LBB190_3:                              ;   in Loop: Header=BB190_4 Depth=1
	s_or_b64 exec, exec, s[28:29]
	v_add_co_u32_e32 v26, vcc, s12, v4
	v_addc_co_u32_e32 v27, vcc, v19, v1, vcc
	v_add_co_u32_e32 v28, vcc, s14, v4
	v_addc_co_u32_e32 v29, vcc, v20, v1, vcc
	;; [unrolled: 2-line block ×5, first 2 shown]
	v_add_co_u32_e32 v36, vcc, s26, v32
	global_load_ushort v48, v[30:31], off
	global_load_ushort v49, v[26:27], off
	;; [unrolled: 1-line block ×4, first 2 shown]
	v_addc_co_u32_e32 v37, vcc, v33, v21, vcc
	v_add_co_u32_e32 v38, vcc, s26, v34
	v_addc_co_u32_e32 v39, vcc, v35, v21, vcc
	v_add_co_u32_e32 v40, vcc, s26, v36
	;; [unrolled: 2-line block ×3, first 2 shown]
	v_addc_co_u32_e32 v43, vcc, v39, v21, vcc
	global_load_ushort v52, v[34:35], off
	global_load_ushort v53, v[38:39], off
	global_load_ushort v54, v[36:37], off
	global_load_ushort v55, v[40:41], off
	v_add_co_u32_e32 v44, vcc, s26, v40
	v_addc_co_u32_e32 v45, vcc, v41, v21, vcc
	v_add_co_u32_e32 v46, vcc, s26, v42
	v_addc_co_u32_e32 v47, vcc, v43, v21, vcc
	;; [unrolled: 2-line block ×3, first 2 shown]
	v_add_co_u32_e32 v28, vcc, s26, v46
	global_load_ushort v34, v[46:47], off
	global_load_ushort v35, v[42:43], off
	;; [unrolled: 1-line block ×4, first 2 shown]
	v_addc_co_u32_e32 v29, vcc, v47, v21, vcc
	v_add_co_u32_e32 v30, vcc, s26, v26
	v_addc_co_u32_e32 v31, vcc, v27, v21, vcc
	v_add_co_u32_e32 v26, vcc, s26, v28
	;; [unrolled: 2-line block ×3, first 2 shown]
	v_addc_co_u32_e32 v33, vcc, v31, v21, vcc
	global_load_ushort v38, v[28:29], off
	global_load_ushort v39, v[26:27], off
	global_load_ushort v40, v[30:31], off
	global_load_ushort v41, v[32:33], off
	s_waitcnt vmcnt(16)
	ds_bpermute_b32 v26, v3, v25
	ds_bpermute_b32 v27, v12, v25
	v_add_co_u32_e32 v8, vcc, s22, v8
	v_addc_co_u32_e32 v9, vcc, v9, v22, vcc
	v_add_co_u32_e32 v6, vcc, s20, v6
	v_addc_co_u32_e32 v7, vcc, v7, v23, vcc
	s_add_u32 s18, s18, s20
	v_add_co_u32_e32 v4, vcc, s24, v4
	s_addc_u32 s19, s19, 0
	v_addc_co_u32_e32 v1, vcc, v1, v24, vcc
	v_cmp_lt_i64_e32 vcc, s[18:19], v[10:11]
	s_and_b64 vcc, exec, vcc
	s_waitcnt vmcnt(15)
	v_lshlrev_b32_e32 v29, 16, v48
	s_waitcnt vmcnt(14)
	v_lshlrev_b32_e32 v28, 16, v49
	s_waitcnt vmcnt(13)
	v_lshlrev_b32_e32 v31, 16, v50
	s_waitcnt vmcnt(12)
	v_lshlrev_b32_e32 v30, 16, v51
	v_pk_mul_f32 v[28:29], v[28:29], v[30:31]
	s_waitcnt lgkmcnt(0)
	v_pk_mul_f32 v[26:27], v[28:29], v[26:27]
	v_add_f32_e32 v5, v5, v26
	v_add_f32_e32 v5, v5, v27
	ds_bpermute_b32 v26, v13, v25
	ds_bpermute_b32 v27, v14, v25
	s_waitcnt vmcnt(11)
	v_lshlrev_b32_e32 v28, 16, v52
	s_waitcnt vmcnt(10)
	v_lshlrev_b32_e32 v29, 16, v53
	s_waitcnt vmcnt(9)
	v_lshlrev_b32_e32 v30, 16, v54
	s_waitcnt vmcnt(8)
	v_lshlrev_b32_e32 v31, 16, v55
	v_pk_mul_f32 v[28:29], v[28:29], v[30:31]
	s_waitcnt lgkmcnt(0)
	v_pk_mul_f32 v[26:27], v[28:29], v[26:27]
	v_add_f32_e32 v5, v5, v26
	v_add_f32_e32 v5, v5, v27
	ds_bpermute_b32 v26, v15, v25
	ds_bpermute_b32 v27, v16, v25
	;; [unrolled: 15-line block ×3, first 2 shown]
	s_waitcnt vmcnt(3)
	v_lshlrev_b32_e32 v28, 16, v38
	s_waitcnt vmcnt(2)
	v_lshlrev_b32_e32 v29, 16, v39
	;; [unrolled: 2-line block ×4, first 2 shown]
	v_pk_mul_f32 v[28:29], v[28:29], v[30:31]
	s_waitcnt lgkmcnt(0)
	v_pk_mul_f32 v[26:27], v[28:29], v[26:27]
	v_add_f32_e32 v5, v5, v26
	v_add_f32_e32 v5, v5, v27
	s_cbranch_vccz .LBB190_7
.LBB190_4:                              ; =>This Inner Loop Header: Depth=1
	v_mov_b32_e32 v25, 0
	s_and_saveexec_b64 s[28:29], s[0:1]
	s_cbranch_execz .LBB190_3
; %bb.5:                                ;   in Loop: Header=BB190_4 Depth=1
	v_cmp_gt_i64_e32 vcc, s[8:9], v[6:7]
	v_mov_b32_e32 v25, 0
	s_and_saveexec_b64 s[30:31], vcc
	s_cbranch_execz .LBB190_2
; %bb.6:                                ;   in Loop: Header=BB190_4 Depth=1
	global_load_dword v25, v[8:9], off
	s_branch .LBB190_2
.LBB190_7:
	s_cmp_eq_u64 s[16:17], 0
	s_cbranch_scc1 .LBB190_9
; %bb.8:
	s_load_dword s0, s[4:5], 0x4c
	v_mov_b32_e32 v3, 0
	v_mov_b32_e32 v1, s2
	;; [unrolled: 1-line block ×3, first 2 shown]
	v_cmp_o_f32_e32 vcc, v5, v5
	s_waitcnt lgkmcnt(0)
	s_lshr_b32 s0, s0, 16
	v_mad_u64_u32 v[2:3], s[0:1], s0, v1, v[2:3]
	v_bfe_u32 v1, v5, 16, 1
	s_movk_i32 s0, 0x7fff
	v_add3_u32 v1, v5, v1, s0
	v_lshrrev_b32_e32 v1, 16, v1
	s_mov_b32 s7, 0
	v_cndmask_b32_e32 v4, v4, v1, vcc
	v_mul_lo_u32 v1, v3, s10
	v_mul_lo_u32 v5, v2, s11
	v_mad_u64_u32 v[2:3], s[0:1], v2, s10, 0
	s_lshl_b64 s[0:1], s[6:7], 7
	v_add3_u32 v3, v3, v5, v1
	s_add_u32 s0, s0, s16
	v_lshlrev_b64 v[2:3], 1, v[2:3]
	s_addc_u32 s1, s1, s17
	v_mov_b32_e32 v1, s1
	v_add_co_u32_e32 v2, vcc, s0, v2
	v_and_b32_e32 v0, 0x3ff, v0
	v_addc_co_u32_e32 v1, vcc, v1, v3, vcc
	v_lshlrev_b32_e32 v0, 1, v0
	v_add_co_u32_e32 v0, vcc, v2, v0
	v_addc_co_u32_e32 v1, vcc, 0, v1, vcc
	global_store_short v[0:1], v4, off
.LBB190_9:
	s_endpgm
	.section	.rodata,"a",@progbits
	.p2align	6, 0x0
	.amdhsa_kernel _ZN2at6native12_GLOBAL__N_135GammaBetaBackwardCUDAKernelTemplateIN3c108BFloat16EfLj64ELj1ELj8ELb1ELb1ELb1EEEvllPKT_S7_PKT0_SA_PS5_SB_
		.amdhsa_group_segment_fixed_size 0
		.amdhsa_private_segment_fixed_size 0
		.amdhsa_kernarg_size 320
		.amdhsa_user_sgpr_count 6
		.amdhsa_user_sgpr_private_segment_buffer 1
		.amdhsa_user_sgpr_dispatch_ptr 0
		.amdhsa_user_sgpr_queue_ptr 0
		.amdhsa_user_sgpr_kernarg_segment_ptr 1
		.amdhsa_user_sgpr_dispatch_id 0
		.amdhsa_user_sgpr_flat_scratch_init 0
		.amdhsa_user_sgpr_kernarg_preload_length 0
		.amdhsa_user_sgpr_kernarg_preload_offset 0
		.amdhsa_user_sgpr_private_segment_size 0
		.amdhsa_uses_dynamic_stack 0
		.amdhsa_system_sgpr_private_segment_wavefront_offset 0
		.amdhsa_system_sgpr_workgroup_id_x 1
		.amdhsa_system_sgpr_workgroup_id_y 1
		.amdhsa_system_sgpr_workgroup_id_z 0
		.amdhsa_system_sgpr_workgroup_info 0
		.amdhsa_system_vgpr_workitem_id 1
		.amdhsa_next_free_vgpr 56
		.amdhsa_next_free_sgpr 32
		.amdhsa_accum_offset 56
		.amdhsa_reserve_vcc 1
		.amdhsa_reserve_flat_scratch 0
		.amdhsa_float_round_mode_32 0
		.amdhsa_float_round_mode_16_64 0
		.amdhsa_float_denorm_mode_32 3
		.amdhsa_float_denorm_mode_16_64 3
		.amdhsa_dx10_clamp 1
		.amdhsa_ieee_mode 1
		.amdhsa_fp16_overflow 0
		.amdhsa_tg_split 0
		.amdhsa_exception_fp_ieee_invalid_op 0
		.amdhsa_exception_fp_denorm_src 0
		.amdhsa_exception_fp_ieee_div_zero 0
		.amdhsa_exception_fp_ieee_overflow 0
		.amdhsa_exception_fp_ieee_underflow 0
		.amdhsa_exception_fp_ieee_inexact 0
		.amdhsa_exception_int_div_zero 0
	.end_amdhsa_kernel
	.section	.text._ZN2at6native12_GLOBAL__N_135GammaBetaBackwardCUDAKernelTemplateIN3c108BFloat16EfLj64ELj1ELj8ELb1ELb1ELb1EEEvllPKT_S7_PKT0_SA_PS5_SB_,"axG",@progbits,_ZN2at6native12_GLOBAL__N_135GammaBetaBackwardCUDAKernelTemplateIN3c108BFloat16EfLj64ELj1ELj8ELb1ELb1ELb1EEEvllPKT_S7_PKT0_SA_PS5_SB_,comdat
.Lfunc_end190:
	.size	_ZN2at6native12_GLOBAL__N_135GammaBetaBackwardCUDAKernelTemplateIN3c108BFloat16EfLj64ELj1ELj8ELb1ELb1ELb1EEEvllPKT_S7_PKT0_SA_PS5_SB_, .Lfunc_end190-_ZN2at6native12_GLOBAL__N_135GammaBetaBackwardCUDAKernelTemplateIN3c108BFloat16EfLj64ELj1ELj8ELb1ELb1ELb1EEEvllPKT_S7_PKT0_SA_PS5_SB_
                                        ; -- End function
	.section	.AMDGPU.csdata,"",@progbits
; Kernel info:
; codeLenInByte = 1208
; NumSgprs: 36
; NumVgprs: 56
; NumAgprs: 0
; TotalNumVgprs: 56
; ScratchSize: 0
; MemoryBound: 0
; FloatMode: 240
; IeeeMode: 1
; LDSByteSize: 0 bytes/workgroup (compile time only)
; SGPRBlocks: 4
; VGPRBlocks: 6
; NumSGPRsForWavesPerEU: 36
; NumVGPRsForWavesPerEU: 56
; AccumOffset: 56
; Occupancy: 8
; WaveLimiterHint : 0
; COMPUTE_PGM_RSRC2:SCRATCH_EN: 0
; COMPUTE_PGM_RSRC2:USER_SGPR: 6
; COMPUTE_PGM_RSRC2:TRAP_HANDLER: 0
; COMPUTE_PGM_RSRC2:TGID_X_EN: 1
; COMPUTE_PGM_RSRC2:TGID_Y_EN: 1
; COMPUTE_PGM_RSRC2:TGID_Z_EN: 0
; COMPUTE_PGM_RSRC2:TIDIG_COMP_CNT: 1
; COMPUTE_PGM_RSRC3_GFX90A:ACCUM_OFFSET: 13
; COMPUTE_PGM_RSRC3_GFX90A:TG_SPLIT: 0
	.section	.text._ZN2at6native12_GLOBAL__N_135GammaBetaBackwardCUDAKernelTemplateIN3c108BFloat16EfLj64ELj1ELj8ELb1ELb0ELb1EEEvllPKT_S7_PKT0_SA_PS5_SB_,"axG",@progbits,_ZN2at6native12_GLOBAL__N_135GammaBetaBackwardCUDAKernelTemplateIN3c108BFloat16EfLj64ELj1ELj8ELb1ELb0ELb1EEEvllPKT_S7_PKT0_SA_PS5_SB_,comdat
	.globl	_ZN2at6native12_GLOBAL__N_135GammaBetaBackwardCUDAKernelTemplateIN3c108BFloat16EfLj64ELj1ELj8ELb1ELb0ELb1EEEvllPKT_S7_PKT0_SA_PS5_SB_ ; -- Begin function _ZN2at6native12_GLOBAL__N_135GammaBetaBackwardCUDAKernelTemplateIN3c108BFloat16EfLj64ELj1ELj8ELb1ELb0ELb1EEEvllPKT_S7_PKT0_SA_PS5_SB_
	.p2align	8
	.type	_ZN2at6native12_GLOBAL__N_135GammaBetaBackwardCUDAKernelTemplateIN3c108BFloat16EfLj64ELj1ELj8ELb1ELb0ELb1EEEvllPKT_S7_PKT0_SA_PS5_SB_,@function
_ZN2at6native12_GLOBAL__N_135GammaBetaBackwardCUDAKernelTemplateIN3c108BFloat16EfLj64ELj1ELj8ELb1ELb0ELb1EEEvllPKT_S7_PKT0_SA_PS5_SB_: ; @_ZN2at6native12_GLOBAL__N_135GammaBetaBackwardCUDAKernelTemplateIN3c108BFloat16EfLj64ELj1ELj8ELb1ELb0ELb1EEEvllPKT_S7_PKT0_SA_PS5_SB_
; %bb.0:
	s_load_dwordx8 s[12:19], s[4:5], 0x0
	s_load_dwordx2 s[28:29], s[4:5], 0x28
	s_mov_b32 s8, s7
	s_lshl_b32 s7, s6, 6
	s_or_b32 s30, s7, 63
	s_mov_b32 s31, 0
	s_waitcnt lgkmcnt(0)
	v_pk_mov_b32 v[2:3], s[14:15], s[14:15] op_sel:[0,1]
	v_cmp_ge_i64_e32 vcc, s[30:31], v[2:3]
	s_lshl_b32 s30, s8, 3
	v_pk_mov_b32 v[2:3], s[12:13], s[12:13] op_sel:[0,1]
	v_cmp_lt_i64_e64 s[0:1], s[30:31], v[2:3]
	v_cndmask_b32_e64 v1, 0, 1, s[0:1]
	v_cmp_ne_u32_e64 s[0:1], 1, v1
	s_cbranch_vccz .LBB191_49
; %bb.1:
	s_and_b64 vcc, exec, s[0:1]
	v_mov_b32_e32 v4, 0
	s_cbranch_vccnz .LBB191_50
; %bb.2:
	v_and_b32_e32 v61, 0x3ff, v0
	v_bfe_u32 v64, v0, 10, 10
	v_add_u32_e32 v2, s7, v61
	v_mov_b32_e32 v3, 0
	v_lshlrev_b32_e32 v26, 3, v64
	v_cmp_gt_i64_e64 s[2:3], s[14:15], v[2:3]
	v_lshlrev_b64 v[28:29], 1, v[2:3]
	v_mov_b32_e32 v2, s31
	v_add_co_u32_e32 v6, vcc, s30, v26
	v_addc_co_u32_e32 v2, vcc, 0, v2, vcc
	v_add_co_u32_e32 v4, vcc, 7, v6
	v_addc_co_u32_e32 v5, vcc, 0, v2, vcc
	v_mul_lo_u32 v7, s15, v4
	v_mul_lo_u32 v8, s14, v5
	v_mad_u64_u32 v[4:5], s[10:11], s14, v4, 0
	s_load_dword s9, s[4:5], 0x44
	v_add3_u32 v5, v5, v8, v7
	v_lshlrev_b64 v[4:5], 1, v[4:5]
	v_mov_b32_e32 v7, s17
	v_add_co_u32_e32 v30, vcc, s16, v4
	v_addc_co_u32_e32 v27, vcc, v7, v5, vcc
	s_add_u32 s34, s4, 64
	v_mov_b32_e32 v8, s19
	v_add_co_u32_e32 v32, vcc, s18, v4
	s_addc_u32 s35, s5, 0
	s_waitcnt lgkmcnt(0)
	s_lshl_b32 s9, s9, 3
	v_addc_co_u32_e32 v31, vcc, v8, v5, vcc
	s_mul_i32 s10, s15, s9
	s_mul_hi_u32 s11, s14, s9
	v_add_co_u32_e32 v4, vcc, 6, v6
	s_add_i32 s11, s11, s10
	s_mul_i32 s10, s14, s9
	v_addc_co_u32_e32 v5, vcc, 0, v2, vcc
	s_lshl_b64 s[38:39], s[10:11], 1
	v_mul_lo_u32 v9, s15, v4
	v_mul_lo_u32 v10, s14, v5
	v_mad_u64_u32 v[4:5], s[10:11], s14, v4, 0
	v_add3_u32 v5, v5, v10, v9
	v_lshlrev_b64 v[4:5], 1, v[4:5]
	v_add_co_u32_e32 v34, vcc, s16, v4
	v_addc_co_u32_e32 v33, vcc, v7, v5, vcc
	v_add_co_u32_e32 v36, vcc, s18, v4
	v_addc_co_u32_e32 v35, vcc, v8, v5, vcc
	v_add_co_u32_e32 v4, vcc, 5, v6
	v_addc_co_u32_e32 v5, vcc, 0, v2, vcc
	v_mul_lo_u32 v9, s15, v4
	v_mul_lo_u32 v10, s14, v5
	v_mad_u64_u32 v[4:5], s[10:11], s14, v4, 0
	v_add3_u32 v5, v5, v10, v9
	v_lshlrev_b64 v[4:5], 1, v[4:5]
	v_add_co_u32_e32 v38, vcc, s16, v4
	v_addc_co_u32_e32 v37, vcc, v7, v5, vcc
	v_add_co_u32_e32 v40, vcc, s18, v4
	v_addc_co_u32_e32 v39, vcc, v8, v5, vcc
	v_add_co_u32_e32 v4, vcc, 4, v6
	v_addc_co_u32_e32 v5, vcc, 0, v2, vcc
	v_mul_lo_u32 v9, s15, v4
	v_mul_lo_u32 v10, s14, v5
	v_mad_u64_u32 v[4:5], s[10:11], s14, v4, 0
	v_add3_u32 v5, v5, v10, v9
	v_lshlrev_b64 v[4:5], 1, v[4:5]
	v_add_co_u32_e32 v42, vcc, s16, v4
	v_addc_co_u32_e32 v41, vcc, v7, v5, vcc
	v_add_co_u32_e32 v44, vcc, s18, v4
	v_addc_co_u32_e32 v43, vcc, v8, v5, vcc
	v_add_co_u32_e32 v4, vcc, 3, v6
	v_addc_co_u32_e32 v5, vcc, 0, v2, vcc
	v_mul_lo_u32 v9, s15, v4
	v_mul_lo_u32 v10, s14, v5
	v_mad_u64_u32 v[4:5], s[10:11], s14, v4, 0
	v_add3_u32 v5, v5, v10, v9
	v_lshlrev_b64 v[4:5], 1, v[4:5]
	v_add_co_u32_e32 v46, vcc, s16, v4
	v_addc_co_u32_e32 v45, vcc, v7, v5, vcc
	v_add_co_u32_e32 v48, vcc, s18, v4
	v_addc_co_u32_e32 v47, vcc, v8, v5, vcc
	v_add_co_u32_e32 v4, vcc, 2, v6
	v_addc_co_u32_e32 v5, vcc, 0, v2, vcc
	v_mul_lo_u32 v9, s15, v4
	v_mul_lo_u32 v10, s14, v5
	v_mad_u64_u32 v[4:5], s[10:11], s14, v4, 0
	v_add3_u32 v5, v5, v10, v9
	v_lshlrev_b64 v[4:5], 1, v[4:5]
	v_add_co_u32_e32 v50, vcc, s16, v4
	v_addc_co_u32_e32 v49, vcc, v7, v5, vcc
	v_add_co_u32_e32 v52, vcc, s18, v4
	v_addc_co_u32_e32 v51, vcc, v8, v5, vcc
	v_pk_mov_b32 v[4:5], s[14:15], s[14:15] op_sel:[0,1]
	v_mad_u64_u32 v[4:5], s[10:11], s14, v6, v[4:5]
	v_mul_lo_u32 v2, s14, v2
	v_mul_lo_u32 v9, s15, v6
	v_add3_u32 v5, v9, v5, v2
	v_lshlrev_b64 v[4:5], 1, v[4:5]
	v_add_co_u32_e32 v54, vcc, s16, v4
	v_addc_co_u32_e32 v53, vcc, v7, v5, vcc
	v_add_co_u32_e32 v56, vcc, s18, v4
	v_addc_co_u32_e32 v55, vcc, v8, v5, vcc
	v_mad_u64_u32 v[4:5], s[10:11], s14, v6, 0
	v_add3_u32 v5, v5, v2, v9
	v_lshlrev_b64 v[4:5], 1, v[4:5]
	v_add_co_u32_e32 v58, vcc, s16, v4
	v_mbcnt_lo_u32_b32 v2, -1, 0
	v_addc_co_u32_e32 v57, vcc, v7, v5, vcc
	v_mbcnt_hi_u32_b32 v2, -1, v2
	s_mov_b32 s20, 0
	v_add_co_u32_e32 v60, vcc, s18, v4
	v_lshlrev_b32_e32 v2, 2, v2
	v_mov_b32_e32 v1, v3
	s_mov_b32 s33, s20
	s_mov_b64 s[36:37], 7
	v_addc_co_u32_e32 v59, vcc, v8, v5, vcc
	v_and_b32_e32 v65, 0x100, v2
	s_mov_b64 s[40:41], s[30:31]
	v_mov_b32_e32 v66, 0
.LBB191_3:                              ; =>This Inner Loop Header: Depth=1
	s_add_u32 s10, s30, s36
	s_addc_u32 s11, 0, s37
	v_pk_mov_b32 v[4:5], s[12:13], s[12:13] op_sel:[0,1]
	v_cmp_ge_i64_e32 vcc, s[10:11], v[4:5]
	v_mov_b32_e32 v2, s31
	v_add_co_u32_e64 v62, s[10:11], s30, v26
	v_addc_co_u32_e64 v63, s[10:11], v2, v1, s[10:11]
	s_cbranch_vccz .LBB191_25
; %bb.4:                                ;   in Loop: Header=BB191_3 Depth=1
	s_load_dword s10, s[34:35], 0xc
	v_mov_b32_e32 v67, 0
	s_waitcnt lgkmcnt(0)
	s_and_b32 s10, s10, 0xffff
	v_mad_u32_u24 v2, v64, s10, v61
	v_and_b32_e32 v2, 63, v2
	v_cmp_gt_u32_e32 vcc, 8, v2
	s_and_saveexec_b64 s[10:11], vcc
	s_cbranch_execz .LBB191_8
; %bb.5:                                ;   in Loop: Header=BB191_3 Depth=1
	v_add_co_u32_e32 v4, vcc, v62, v2
	v_addc_co_u32_e32 v5, vcc, 0, v63, vcc
	v_cmp_gt_i64_e32 vcc, s[12:13], v[4:5]
	v_mov_b32_e32 v67, 0
	s_and_saveexec_b64 s[22:23], vcc
	s_cbranch_execz .LBB191_7
; %bb.6:                                ;   in Loop: Header=BB191_3 Depth=1
	v_lshlrev_b64 v[4:5], 2, v[4:5]
	v_mov_b32_e32 v2, s29
	v_add_co_u32_e32 v4, vcc, s28, v4
	v_addc_co_u32_e32 v5, vcc, v2, v5, vcc
	global_load_dword v67, v[4:5], off
.LBB191_7:                              ;   in Loop: Header=BB191_3 Depth=1
	s_or_b64 exec, exec, s[22:23]
.LBB191_8:                              ;   in Loop: Header=BB191_3 Depth=1
	s_or_b64 exec, exec, s[10:11]
	s_mov_b32 s21, s20
	s_mov_b32 s22, s20
	;; [unrolled: 1-line block ×7, first 2 shown]
	v_pk_mov_b32 v[10:11], s[20:21], s[20:21] op_sel:[0,1]
	v_pk_mov_b32 v[16:17], s[26:27], s[26:27] op_sel:[0,1]
	v_cmp_gt_i64_e32 vcc, s[12:13], v[62:63]
	v_pk_mov_b32 v[12:13], s[22:23], s[22:23] op_sel:[0,1]
	v_pk_mov_b32 v[14:15], s[24:25], s[24:25] op_sel:[0,1]
	;; [unrolled: 1-line block ×3, first 2 shown]
	s_and_b64 s[42:43], s[2:3], vcc
	v_pk_mov_b32 v[22:23], v[14:15], v[14:15] op_sel:[0,1]
	v_pk_mov_b32 v[20:21], v[12:13], v[12:13] op_sel:[0,1]
	;; [unrolled: 1-line block ×3, first 2 shown]
	s_and_saveexec_b64 s[10:11], s[42:43]
	s_cbranch_execz .LBB191_10
; %bb.9:                                ;   in Loop: Header=BB191_3 Depth=1
	v_add_co_u32_e32 v4, vcc, v58, v28
	v_addc_co_u32_e32 v5, vcc, v57, v29, vcc
	global_load_ushort v2, v[4:5], off
	v_add_co_u32_e32 v4, vcc, v60, v28
	v_addc_co_u32_e32 v5, vcc, v59, v29, vcc
	global_load_ushort v10, v[4:5], off
	v_mov_b32_e32 v8, v3
	v_mov_b32_e32 v9, v3
	;; [unrolled: 1-line block ×13, first 2 shown]
	s_waitcnt vmcnt(1)
	v_lshlrev_b32_e32 v2, 16, v2
	v_pk_mov_b32 v[24:25], v[8:9], v[8:9] op_sel:[0,1]
	v_pk_mov_b32 v[22:23], v[6:7], v[6:7] op_sel:[0,1]
	;; [unrolled: 1-line block ×4, first 2 shown]
	s_waitcnt vmcnt(0)
	v_lshlrev_b32_e32 v10, 16, v10
.LBB191_10:                             ;   in Loop: Header=BB191_3 Depth=1
	s_or_b64 exec, exec, s[10:11]
	v_add_co_u32_e32 v4, vcc, 1, v62
	v_addc_co_u32_e32 v5, vcc, 0, v63, vcc
	v_cmp_gt_i64_e32 vcc, s[12:13], v[4:5]
	s_and_b64 s[22:23], s[2:3], vcc
	s_and_saveexec_b64 s[10:11], s[22:23]
	s_cbranch_execz .LBB191_12
; %bb.11:                               ;   in Loop: Header=BB191_3 Depth=1
	v_add_co_u32_e32 v4, vcc, v54, v28
	v_addc_co_u32_e32 v5, vcc, v53, v29, vcc
	global_load_ushort v2, v[4:5], off
	v_add_co_u32_e32 v4, vcc, v56, v28
	v_addc_co_u32_e32 v5, vcc, v55, v29, vcc
	global_load_ushort v4, v[4:5], off
	s_waitcnt vmcnt(1)
	v_lshlrev_b32_e32 v19, 16, v2
	s_waitcnt vmcnt(0)
	v_lshlrev_b32_e32 v11, 16, v4
.LBB191_12:                             ;   in Loop: Header=BB191_3 Depth=1
	s_or_b64 exec, exec, s[10:11]
	v_add_co_u32_e32 v4, vcc, 2, v62
	v_addc_co_u32_e32 v5, vcc, 0, v63, vcc
	v_cmp_gt_i64_e32 vcc, s[12:13], v[4:5]
	s_and_b64 s[22:23], s[2:3], vcc
	s_and_saveexec_b64 s[10:11], s[22:23]
	s_cbranch_execz .LBB191_14
; %bb.13:                               ;   in Loop: Header=BB191_3 Depth=1
	v_add_co_u32_e32 v4, vcc, v50, v28
	v_addc_co_u32_e32 v5, vcc, v49, v29, vcc
	global_load_ushort v2, v[4:5], off
	v_add_co_u32_e32 v4, vcc, v52, v28
	v_addc_co_u32_e32 v5, vcc, v51, v29, vcc
	global_load_ushort v4, v[4:5], off
	s_waitcnt vmcnt(1)
	v_lshlrev_b32_e32 v20, 16, v2
	s_waitcnt vmcnt(0)
	v_lshlrev_b32_e32 v12, 16, v4
.LBB191_14:                             ;   in Loop: Header=BB191_3 Depth=1
	s_or_b64 exec, exec, s[10:11]
	v_add_co_u32_e32 v4, vcc, 3, v62
	v_addc_co_u32_e32 v5, vcc, 0, v63, vcc
	v_cmp_gt_i64_e32 vcc, s[12:13], v[4:5]
	s_and_b64 s[22:23], s[2:3], vcc
	s_and_saveexec_b64 s[10:11], s[22:23]
	s_cbranch_execz .LBB191_16
; %bb.15:                               ;   in Loop: Header=BB191_3 Depth=1
	v_add_co_u32_e32 v4, vcc, v46, v28
	v_addc_co_u32_e32 v5, vcc, v45, v29, vcc
	global_load_ushort v2, v[4:5], off
	v_add_co_u32_e32 v4, vcc, v48, v28
	v_addc_co_u32_e32 v5, vcc, v47, v29, vcc
	global_load_ushort v4, v[4:5], off
	s_waitcnt vmcnt(1)
	v_lshlrev_b32_e32 v21, 16, v2
	s_waitcnt vmcnt(0)
	v_lshlrev_b32_e32 v13, 16, v4
.LBB191_16:                             ;   in Loop: Header=BB191_3 Depth=1
	s_or_b64 exec, exec, s[10:11]
	v_add_co_u32_e32 v4, vcc, 4, v62
	v_addc_co_u32_e32 v5, vcc, 0, v63, vcc
	v_cmp_gt_i64_e32 vcc, s[12:13], v[4:5]
	s_and_b64 s[22:23], s[2:3], vcc
	s_and_saveexec_b64 s[10:11], s[22:23]
	s_cbranch_execz .LBB191_18
; %bb.17:                               ;   in Loop: Header=BB191_3 Depth=1
	v_add_co_u32_e32 v4, vcc, v42, v28
	v_addc_co_u32_e32 v5, vcc, v41, v29, vcc
	global_load_ushort v2, v[4:5], off
	v_add_co_u32_e32 v4, vcc, v44, v28
	v_addc_co_u32_e32 v5, vcc, v43, v29, vcc
	global_load_ushort v4, v[4:5], off
	s_waitcnt vmcnt(1)
	v_lshlrev_b32_e32 v22, 16, v2
	s_waitcnt vmcnt(0)
	v_lshlrev_b32_e32 v14, 16, v4
.LBB191_18:                             ;   in Loop: Header=BB191_3 Depth=1
	s_or_b64 exec, exec, s[10:11]
	v_add_co_u32_e32 v4, vcc, 5, v62
	v_addc_co_u32_e32 v5, vcc, 0, v63, vcc
	v_cmp_gt_i64_e32 vcc, s[12:13], v[4:5]
	s_and_b64 s[22:23], s[2:3], vcc
	s_and_saveexec_b64 s[10:11], s[22:23]
	s_cbranch_execz .LBB191_20
; %bb.19:                               ;   in Loop: Header=BB191_3 Depth=1
	v_add_co_u32_e32 v4, vcc, v38, v28
	v_addc_co_u32_e32 v5, vcc, v37, v29, vcc
	global_load_ushort v2, v[4:5], off
	v_add_co_u32_e32 v4, vcc, v40, v28
	v_addc_co_u32_e32 v5, vcc, v39, v29, vcc
	global_load_ushort v4, v[4:5], off
	s_waitcnt vmcnt(1)
	v_lshlrev_b32_e32 v23, 16, v2
	s_waitcnt vmcnt(0)
	v_lshlrev_b32_e32 v15, 16, v4
.LBB191_20:                             ;   in Loop: Header=BB191_3 Depth=1
	s_or_b64 exec, exec, s[10:11]
	v_add_co_u32_e32 v4, vcc, 6, v62
	v_addc_co_u32_e32 v5, vcc, 0, v63, vcc
	v_cmp_gt_i64_e32 vcc, s[12:13], v[4:5]
	s_and_b64 s[22:23], s[2:3], vcc
	s_and_saveexec_b64 s[10:11], s[22:23]
	s_cbranch_execz .LBB191_22
; %bb.21:                               ;   in Loop: Header=BB191_3 Depth=1
	v_add_co_u32_e32 v4, vcc, v34, v28
	v_addc_co_u32_e32 v5, vcc, v33, v29, vcc
	global_load_ushort v2, v[4:5], off
	v_add_co_u32_e32 v4, vcc, v36, v28
	v_addc_co_u32_e32 v5, vcc, v35, v29, vcc
	global_load_ushort v4, v[4:5], off
	s_waitcnt vmcnt(1)
	v_lshlrev_b32_e32 v24, 16, v2
	s_waitcnt vmcnt(0)
	v_lshlrev_b32_e32 v16, 16, v4
.LBB191_22:                             ;   in Loop: Header=BB191_3 Depth=1
	s_or_b64 exec, exec, s[10:11]
	v_add_co_u32_e32 v4, vcc, 7, v62
	v_addc_co_u32_e32 v5, vcc, 0, v63, vcc
	v_cmp_gt_i64_e32 vcc, s[12:13], v[4:5]
	s_and_b64 s[22:23], s[2:3], vcc
	s_and_saveexec_b64 s[10:11], s[22:23]
	s_cbranch_execz .LBB191_24
; %bb.23:                               ;   in Loop: Header=BB191_3 Depth=1
	v_add_co_u32_e32 v4, vcc, v30, v28
	v_addc_co_u32_e32 v5, vcc, v27, v29, vcc
	global_load_ushort v2, v[4:5], off
	v_add_co_u32_e32 v4, vcc, v32, v28
	v_addc_co_u32_e32 v5, vcc, v31, v29, vcc
	global_load_ushort v4, v[4:5], off
	s_waitcnt vmcnt(1)
	v_lshlrev_b32_e32 v25, 16, v2
	s_waitcnt vmcnt(0)
	v_lshlrev_b32_e32 v17, 16, v4
.LBB191_24:                             ;   in Loop: Header=BB191_3 Depth=1
	s_or_b64 exec, exec, s[10:11]
	s_waitcnt vmcnt(0)
	ds_bpermute_b32 v4, v65, v67 offset:4
	ds_bpermute_b32 v5, v65, v67 offset:8
	ds_bpermute_b32 v2, v65, v67
	v_mul_f32_e32 v8, v10, v18
	v_pk_mul_f32 v[10:11], v[10:11], v[18:19]
	v_pk_mul_f32 v[12:13], v[12:13], v[20:21]
	v_mov_b32_e32 v10, v11
	v_mov_b32_e32 v11, v12
	s_waitcnt lgkmcnt(1)
	v_pk_mul_f32 v[4:5], v[10:11], v[4:5]
	ds_bpermute_b32 v10, v65, v67 offset:12
	ds_bpermute_b32 v11, v65, v67 offset:16
	s_waitcnt lgkmcnt(2)
	v_fma_f32 v2, v8, v2, v66
	v_pk_mul_f32 v[8:9], v[14:15], v[22:23]
	v_add_f32_e32 v2, v2, v4
	v_add_f32_e32 v2, v2, v5
	v_mov_b32_e32 v4, v13
	v_mov_b32_e32 v5, v8
	s_waitcnt lgkmcnt(0)
	v_pk_mul_f32 v[4:5], v[4:5], v[10:11]
	ds_bpermute_b32 v10, v65, v67 offset:20
	ds_bpermute_b32 v11, v65, v67 offset:24
	v_pk_mul_f32 v[6:7], v[16:17], v[24:25]
	v_add_f32_e32 v2, v2, v4
	v_add_f32_e32 v7, v2, v5
	ds_bpermute_b32 v2, v65, v67 offset:28
	v_mov_b32_e32 v4, v9
	v_mov_b32_e32 v5, v6
	s_waitcnt lgkmcnt(1)
	v_pk_mul_f32 v[4:5], v[4:5], v[10:11]
	v_add_f32_e32 v4, v7, v4
	v_add_f32_e32 v4, v4, v5
	s_branch .LBB191_40
.LBB191_25:                             ;   in Loop: Header=BB191_3 Depth=1
                                        ; implicit-def: $vgpr4
                                        ; implicit-def: $vgpr10_vgpr11_vgpr12_vgpr13_vgpr14_vgpr15_vgpr16_vgpr17
                                        ; implicit-def: $vgpr18_vgpr19_vgpr20_vgpr21_vgpr22_vgpr23_vgpr24_vgpr25
                                        ; implicit-def: $vgpr2
	s_cbranch_execz .LBB191_40
; %bb.26:                               ;   in Loop: Header=BB191_3 Depth=1
	s_load_dword s10, s[34:35], 0x0
	v_mov_b32_e32 v67, 0
	s_waitcnt lgkmcnt(0)
	s_cmp_lt_u32 s6, s10
	s_cselect_b32 s10, 12, 18
	s_add_u32 s10, s34, s10
	s_addc_u32 s11, s35, 0
	global_load_ushort v2, v3, s[10:11]
	s_waitcnt vmcnt(0)
	v_mad_u32_u24 v2, v64, v2, v61
	v_and_b32_e32 v2, 63, v2
	v_cmp_gt_u32_e32 vcc, 8, v2
	s_and_saveexec_b64 s[10:11], vcc
	s_cbranch_execz .LBB191_30
; %bb.27:                               ;   in Loop: Header=BB191_3 Depth=1
	v_add_co_u32_e32 v4, vcc, v62, v2
	v_addc_co_u32_e32 v5, vcc, 0, v63, vcc
	v_cmp_gt_i64_e32 vcc, s[12:13], v[4:5]
	v_mov_b32_e32 v67, 0
	s_and_saveexec_b64 s[22:23], vcc
	s_cbranch_execz .LBB191_29
; %bb.28:                               ;   in Loop: Header=BB191_3 Depth=1
	v_lshlrev_b64 v[4:5], 2, v[4:5]
	v_mov_b32_e32 v2, s29
	v_add_co_u32_e32 v4, vcc, s28, v4
	v_addc_co_u32_e32 v5, vcc, v2, v5, vcc
	global_load_dword v67, v[4:5], off
.LBB191_29:                             ;   in Loop: Header=BB191_3 Depth=1
	s_or_b64 exec, exec, s[22:23]
.LBB191_30:                             ;   in Loop: Header=BB191_3 Depth=1
	s_or_b64 exec, exec, s[10:11]
	s_mov_b32 s21, s20
	s_mov_b32 s22, s20
	s_mov_b32 s23, s20
	s_mov_b32 s24, s20
	s_mov_b32 s25, s20
	s_mov_b32 s26, s20
	s_mov_b32 s27, s20
	v_pk_mov_b32 v[10:11], s[20:21], s[20:21] op_sel:[0,1]
	v_pk_mov_b32 v[16:17], s[26:27], s[26:27] op_sel:[0,1]
	;; [unrolled: 1-line block ×8, first 2 shown]
	s_and_saveexec_b64 s[10:11], s[2:3]
	s_cbranch_execnz .LBB191_42
; %bb.31:                               ;   in Loop: Header=BB191_3 Depth=1
	s_or_b64 exec, exec, s[10:11]
	s_and_saveexec_b64 s[10:11], s[2:3]
	s_cbranch_execnz .LBB191_43
.LBB191_32:                             ;   in Loop: Header=BB191_3 Depth=1
	s_or_b64 exec, exec, s[10:11]
	s_and_saveexec_b64 s[10:11], s[2:3]
	s_cbranch_execnz .LBB191_44
.LBB191_33:                             ;   in Loop: Header=BB191_3 Depth=1
	s_or_b64 exec, exec, s[10:11]
	s_and_saveexec_b64 s[10:11], s[2:3]
	s_cbranch_execnz .LBB191_45
.LBB191_34:                             ;   in Loop: Header=BB191_3 Depth=1
	s_or_b64 exec, exec, s[10:11]
	s_and_saveexec_b64 s[10:11], s[2:3]
	s_cbranch_execnz .LBB191_46
.LBB191_35:                             ;   in Loop: Header=BB191_3 Depth=1
	s_or_b64 exec, exec, s[10:11]
	s_and_saveexec_b64 s[10:11], s[2:3]
	s_cbranch_execnz .LBB191_47
.LBB191_36:                             ;   in Loop: Header=BB191_3 Depth=1
	s_or_b64 exec, exec, s[10:11]
	s_and_saveexec_b64 s[10:11], s[2:3]
	s_cbranch_execnz .LBB191_48
.LBB191_37:                             ;   in Loop: Header=BB191_3 Depth=1
	s_or_b64 exec, exec, s[10:11]
	s_and_saveexec_b64 s[10:11], s[2:3]
	s_cbranch_execz .LBB191_39
.LBB191_38:                             ;   in Loop: Header=BB191_3 Depth=1
	v_add_co_u32_e32 v4, vcc, v30, v28
	v_addc_co_u32_e32 v5, vcc, v27, v29, vcc
	global_load_ushort v2, v[4:5], off
	v_add_co_u32_e32 v4, vcc, v32, v28
	v_addc_co_u32_e32 v5, vcc, v31, v29, vcc
	global_load_ushort v4, v[4:5], off
	s_waitcnt vmcnt(1)
	v_lshlrev_b32_e32 v25, 16, v2
	s_waitcnt vmcnt(0)
	v_lshlrev_b32_e32 v17, 16, v4
.LBB191_39:                             ;   in Loop: Header=BB191_3 Depth=1
	s_or_b64 exec, exec, s[10:11]
	s_waitcnt vmcnt(0)
	ds_bpermute_b32 v4, v65, v67 offset:4
	ds_bpermute_b32 v5, v65, v67 offset:8
	ds_bpermute_b32 v2, v65, v67
	v_mul_f32_e32 v8, v10, v18
	v_pk_mul_f32 v[10:11], v[10:11], v[18:19]
	v_pk_mul_f32 v[12:13], v[12:13], v[20:21]
	v_mov_b32_e32 v10, v11
	v_mov_b32_e32 v11, v12
	s_waitcnt lgkmcnt(1)
	v_pk_mul_f32 v[4:5], v[10:11], v[4:5]
	ds_bpermute_b32 v10, v65, v67 offset:12
	ds_bpermute_b32 v11, v65, v67 offset:16
	s_waitcnt lgkmcnt(2)
	v_fmac_f32_e32 v66, v8, v2
	v_pk_mul_f32 v[8:9], v[14:15], v[22:23]
	v_add_f32_e32 v2, v66, v4
	v_add_f32_e32 v2, v2, v5
	v_mov_b32_e32 v4, v13
	v_mov_b32_e32 v5, v8
	s_waitcnt lgkmcnt(0)
	v_pk_mul_f32 v[4:5], v[4:5], v[10:11]
	ds_bpermute_b32 v10, v65, v67 offset:20
	ds_bpermute_b32 v11, v65, v67 offset:24
	v_pk_mul_f32 v[6:7], v[16:17], v[24:25]
	v_add_f32_e32 v2, v2, v4
	v_add_f32_e32 v7, v2, v5
	v_mov_b32_e32 v4, v9
	v_mov_b32_e32 v5, v6
	s_waitcnt lgkmcnt(0)
	v_pk_mul_f32 v[4:5], v[4:5], v[10:11]
	v_add_f32_e32 v4, v7, v4
	ds_bpermute_b32 v2, v65, v67 offset:28
	v_add_f32_e32 v4, v4, v5
.LBB191_40:                             ;   in Loop: Header=BB191_3 Depth=1
	v_mul_f32_e32 v5, v25, v17
	s_waitcnt lgkmcnt(0)
	v_fmac_f32_e32 v4, v5, v2
	v_mov_b32_e32 v2, s39
	v_add_co_u32_e32 v30, vcc, s38, v30
	v_addc_co_u32_e32 v27, vcc, v27, v2, vcc
	v_add_co_u32_e32 v32, vcc, s38, v32
	v_addc_co_u32_e32 v31, vcc, v31, v2, vcc
	;; [unrolled: 2-line block ×14, first 2 shown]
	v_mov_b32_e32 v5, s33
	v_add_co_u32_e32 v26, vcc, s9, v26
	v_addc_co_u32_e32 v1, vcc, v1, v5, vcc
	v_add_co_u32_e32 v58, vcc, s38, v58
	v_addc_co_u32_e32 v57, vcc, v57, v2, vcc
	s_add_u32 s40, s40, s9
	v_add_co_u32_e32 v60, vcc, s38, v60
	s_addc_u32 s41, s41, 0
	v_addc_co_u32_e32 v59, vcc, v59, v2, vcc
	v_pk_mov_b32 v[6:7], s[12:13], s[12:13] op_sel:[0,1]
	s_add_u32 s36, s36, s9
	v_cmp_lt_i64_e32 vcc, s[40:41], v[6:7]
	s_addc_u32 s37, s37, 0
	s_cbranch_vccz .LBB191_50
; %bb.41:                               ;   in Loop: Header=BB191_3 Depth=1
	v_mov_b32_e32 v66, v4
	s_branch .LBB191_3
.LBB191_42:                             ;   in Loop: Header=BB191_3 Depth=1
	v_add_co_u32_e32 v4, vcc, v58, v28
	v_addc_co_u32_e32 v5, vcc, v57, v29, vcc
	global_load_ushort v2, v[4:5], off
	v_add_co_u32_e32 v4, vcc, v60, v28
	v_addc_co_u32_e32 v5, vcc, v59, v29, vcc
	global_load_ushort v10, v[4:5], off
	v_mov_b32_e32 v8, v3
	v_mov_b32_e32 v9, v3
	;; [unrolled: 1-line block ×13, first 2 shown]
	s_waitcnt vmcnt(1)
	v_lshlrev_b32_e32 v2, 16, v2
	v_pk_mov_b32 v[24:25], v[8:9], v[8:9] op_sel:[0,1]
	v_pk_mov_b32 v[22:23], v[6:7], v[6:7] op_sel:[0,1]
	;; [unrolled: 1-line block ×4, first 2 shown]
	s_waitcnt vmcnt(0)
	v_lshlrev_b32_e32 v10, 16, v10
	s_or_b64 exec, exec, s[10:11]
	s_and_saveexec_b64 s[10:11], s[2:3]
	s_cbranch_execz .LBB191_32
.LBB191_43:                             ;   in Loop: Header=BB191_3 Depth=1
	v_add_co_u32_e32 v4, vcc, v54, v28
	v_addc_co_u32_e32 v5, vcc, v53, v29, vcc
	global_load_ushort v2, v[4:5], off
	v_add_co_u32_e32 v4, vcc, v56, v28
	v_addc_co_u32_e32 v5, vcc, v55, v29, vcc
	global_load_ushort v4, v[4:5], off
	s_waitcnt vmcnt(1)
	v_lshlrev_b32_e32 v19, 16, v2
	s_waitcnt vmcnt(0)
	v_lshlrev_b32_e32 v11, 16, v4
	s_or_b64 exec, exec, s[10:11]
	s_and_saveexec_b64 s[10:11], s[2:3]
	s_cbranch_execz .LBB191_33
.LBB191_44:                             ;   in Loop: Header=BB191_3 Depth=1
	v_add_co_u32_e32 v4, vcc, v50, v28
	v_addc_co_u32_e32 v5, vcc, v49, v29, vcc
	global_load_ushort v2, v[4:5], off
	v_add_co_u32_e32 v4, vcc, v52, v28
	v_addc_co_u32_e32 v5, vcc, v51, v29, vcc
	global_load_ushort v4, v[4:5], off
	s_waitcnt vmcnt(1)
	v_lshlrev_b32_e32 v20, 16, v2
	s_waitcnt vmcnt(0)
	v_lshlrev_b32_e32 v12, 16, v4
	s_or_b64 exec, exec, s[10:11]
	s_and_saveexec_b64 s[10:11], s[2:3]
	s_cbranch_execz .LBB191_34
.LBB191_45:                             ;   in Loop: Header=BB191_3 Depth=1
	v_add_co_u32_e32 v4, vcc, v46, v28
	v_addc_co_u32_e32 v5, vcc, v45, v29, vcc
	global_load_ushort v2, v[4:5], off
	v_add_co_u32_e32 v4, vcc, v48, v28
	v_addc_co_u32_e32 v5, vcc, v47, v29, vcc
	global_load_ushort v4, v[4:5], off
	s_waitcnt vmcnt(1)
	v_lshlrev_b32_e32 v21, 16, v2
	s_waitcnt vmcnt(0)
	v_lshlrev_b32_e32 v13, 16, v4
	s_or_b64 exec, exec, s[10:11]
	s_and_saveexec_b64 s[10:11], s[2:3]
	s_cbranch_execz .LBB191_35
.LBB191_46:                             ;   in Loop: Header=BB191_3 Depth=1
	v_add_co_u32_e32 v4, vcc, v42, v28
	v_addc_co_u32_e32 v5, vcc, v41, v29, vcc
	global_load_ushort v2, v[4:5], off
	v_add_co_u32_e32 v4, vcc, v44, v28
	v_addc_co_u32_e32 v5, vcc, v43, v29, vcc
	global_load_ushort v4, v[4:5], off
	s_waitcnt vmcnt(1)
	v_lshlrev_b32_e32 v22, 16, v2
	s_waitcnt vmcnt(0)
	v_lshlrev_b32_e32 v14, 16, v4
	s_or_b64 exec, exec, s[10:11]
	s_and_saveexec_b64 s[10:11], s[2:3]
	s_cbranch_execz .LBB191_36
.LBB191_47:                             ;   in Loop: Header=BB191_3 Depth=1
	v_add_co_u32_e32 v4, vcc, v38, v28
	v_addc_co_u32_e32 v5, vcc, v37, v29, vcc
	global_load_ushort v2, v[4:5], off
	v_add_co_u32_e32 v4, vcc, v40, v28
	v_addc_co_u32_e32 v5, vcc, v39, v29, vcc
	global_load_ushort v4, v[4:5], off
	s_waitcnt vmcnt(1)
	v_lshlrev_b32_e32 v23, 16, v2
	s_waitcnt vmcnt(0)
	v_lshlrev_b32_e32 v15, 16, v4
	s_or_b64 exec, exec, s[10:11]
	s_and_saveexec_b64 s[10:11], s[2:3]
	s_cbranch_execz .LBB191_37
.LBB191_48:                             ;   in Loop: Header=BB191_3 Depth=1
	v_add_co_u32_e32 v4, vcc, v34, v28
	v_addc_co_u32_e32 v5, vcc, v33, v29, vcc
	global_load_ushort v2, v[4:5], off
	v_add_co_u32_e32 v4, vcc, v36, v28
	v_addc_co_u32_e32 v5, vcc, v35, v29, vcc
	global_load_ushort v4, v[4:5], off
	s_waitcnt vmcnt(1)
	v_lshlrev_b32_e32 v24, 16, v2
	s_waitcnt vmcnt(0)
	v_lshlrev_b32_e32 v16, 16, v4
	s_or_b64 exec, exec, s[10:11]
	s_and_saveexec_b64 s[10:11], s[2:3]
	s_cbranch_execnz .LBB191_38
	s_branch .LBB191_39
.LBB191_49:
                                        ; implicit-def: $vgpr4
	s_load_dwordx2 s[2:3], s[4:5], 0x30
	s_branch .LBB191_51
.LBB191_50:
	s_load_dwordx2 s[2:3], s[4:5], 0x30
	s_cbranch_execnz .LBB191_83
.LBB191_51:
	s_and_b64 vcc, exec, s[0:1]
	v_mov_b32_e32 v4, 0
	s_cbranch_vccnz .LBB191_83
; %bb.52:
	v_bfe_u32 v87, v0, 10, 10
	s_add_u32 s10, s4, 64
	s_addc_u32 s11, s5, 0
	v_lshlrev_b32_e32 v1, 4, v87
	s_lshl_b64 s[0:1], s[30:31], 1
	v_mov_b32_e32 v2, s1
	v_add_co_u32_e32 v1, vcc, s0, v1
	v_addc_co_u32_e32 v4, vcc, 0, v2, vcc
	v_add_co_u32_e32 v6, vcc, 2, v1
	v_addc_co_u32_e32 v5, vcc, 0, v4, vcc
	v_add_co_u32_e32 v9, vcc, 4, v1
	v_mul_lo_u32 v7, s14, v5
	v_addc_co_u32_e32 v5, vcc, 0, v4, vcc
	v_add_co_u32_e32 v12, vcc, 6, v1
	v_mul_lo_u32 v10, s14, v5
	;; [unrolled: 3-line block ×5, first 2 shown]
	v_addc_co_u32_e32 v5, vcc, 0, v4, vcc
	v_add_co_u32_e32 v24, vcc, 14, v1
	v_lshlrev_b32_e32 v26, 3, v87
	v_addc_co_u32_e32 v1, vcc, 0, v4, vcc
	v_mul_lo_u32 v25, s14, v1
	v_mov_b32_e32 v1, s31
	v_add_co_u32_e32 v43, vcc, s30, v26
	v_pk_mov_b32 v[2:3], s[16:17], s[16:17] op_sel:[0,1]
	v_addc_co_u32_e32 v59, vcc, 0, v1, vcc
	v_mad_u64_u32 v[28:29], s[0:1], s14, v6, v[2:3]
	v_mad_u64_u32 v[30:31], s[0:1], s14, v9, v[2:3]
	;; [unrolled: 1-line block ×7, first 2 shown]
	v_mul_lo_u32 v60, s15, v43
	v_mul_lo_u32 v61, s14, v59
	v_mad_u64_u32 v[2:3], s[0:1], s14, v43, 0
	v_add3_u32 v3, v3, v61, v60
	v_lshlrev_b64 v[2:3], 1, v[2:3]
	v_mul_lo_u32 v22, s14, v5
	v_mov_b32_e32 v81, s17
	v_add_co_u32_e32 v42, vcc, s16, v2
	v_pk_mov_b32 v[4:5], s[18:19], s[18:19] op_sel:[0,1]
	v_mul_lo_u32 v17, s15, v15
	v_addc_co_u32_e32 v1, vcc, v81, v3, vcc
	v_mad_u64_u32 v[50:51], s[0:1], s14, v15, v[4:5]
	v_add3_u32 v35, v17, v35, v16
	v_mul_lo_u32 v27, s15, v24
	v_add3_u32 v51, v17, v51, v16
	v_mad_u64_u32 v[56:57], s[0:1], s14, v24, v[4:5]
	v_mov_b32_e32 v16, s19
	v_add_co_u32_e32 v58, vcc, s18, v2
	v_add3_u32 v41, v27, v41, v25
	v_add3_u32 v57, v27, v57, v25
	v_addc_co_u32_e32 v27, vcc, v16, v3, vcc
	v_add_co_u32_e32 v2, vcc, 7, v43
	v_addc_co_u32_e32 v3, vcc, 0, v59, vcc
	v_mad_u64_u32 v[44:45], s[0:1], s14, v6, v[4:5]
	v_mad_u64_u32 v[46:47], s[0:1], s14, v9, v[4:5]
	;; [unrolled: 1-line block ×5, first 2 shown]
	v_mul_lo_u32 v4, s15, v2
	v_mul_lo_u32 v5, s14, v3
	v_mad_u64_u32 v[2:3], s[0:1], s14, v2, 0
	v_add3_u32 v3, v3, v5, v4
	v_add_co_u32_e32 v4, vcc, 6, v43
	v_mul_lo_u32 v8, s15, v6
	v_addc_co_u32_e32 v5, vcc, 0, v59, vcc
	v_add3_u32 v29, v8, v29, v7
	v_add3_u32 v45, v8, v45, v7
	v_mul_lo_u32 v6, s15, v4
	v_mul_lo_u32 v7, s14, v5
	v_mad_u64_u32 v[4:5], s[0:1], s14, v4, 0
	v_add3_u32 v5, v5, v7, v6
	v_add_co_u32_e32 v6, vcc, 5, v43
	v_addc_co_u32_e32 v7, vcc, 0, v59, vcc
	v_mul_lo_u32 v11, s15, v9
	v_mul_lo_u32 v8, s15, v6
	;; [unrolled: 1-line block ×3, first 2 shown]
	v_mad_u64_u32 v[6:7], s[0:1], s14, v6, 0
	v_add3_u32 v7, v7, v9, v8
	v_add_co_u32_e32 v8, vcc, 4, v43
	v_addc_co_u32_e32 v9, vcc, 0, v59, vcc
	v_add3_u32 v31, v11, v31, v10
	v_add3_u32 v47, v11, v47, v10
	v_mul_lo_u32 v10, s15, v8
	v_mul_lo_u32 v11, s14, v9
	v_mad_u64_u32 v[8:9], s[0:1], s14, v8, 0
	v_add3_u32 v9, v9, v11, v10
	v_add_co_u32_e32 v10, vcc, 3, v43
	v_mul_lo_u32 v14, s15, v12
	v_addc_co_u32_e32 v11, vcc, 0, v59, vcc
	v_add3_u32 v33, v14, v33, v13
	v_add3_u32 v49, v14, v49, v13
	v_mul_lo_u32 v12, s15, v10
	v_mul_lo_u32 v13, s14, v11
	v_mad_u64_u32 v[10:11], s[0:1], s14, v10, 0
	v_add3_u32 v11, v11, v13, v12
	v_add_co_u32_e32 v12, vcc, 2, v43
	v_addc_co_u32_e32 v13, vcc, 0, v59, vcc
	v_mul_lo_u32 v14, s15, v12
	v_mul_lo_u32 v15, s14, v13
	v_mad_u64_u32 v[12:13], s[0:1], s14, v12, 0
	v_add3_u32 v13, v13, v15, v14
	v_pk_mov_b32 v[14:15], s[14:15], s[14:15] op_sel:[0,1]
	v_lshlrev_b64 v[2:3], 1, v[2:3]
	v_mad_u64_u32 v[14:15], s[0:1], s14, v43, v[14:15]
	v_add3_u32 v15, v60, v15, v61
	v_add_co_u32_e32 v60, vcc, s16, v2
	v_addc_co_u32_e32 v43, vcc, v81, v3, vcc
	v_add_co_u32_e32 v62, vcc, s18, v2
	v_addc_co_u32_e32 v59, vcc, v16, v3, vcc
	v_lshlrev_b64 v[2:3], 1, v[4:5]
	v_add_co_u32_e32 v64, vcc, s16, v2
	v_addc_co_u32_e32 v61, vcc, v81, v3, vcc
	v_add_co_u32_e32 v66, vcc, s18, v2
	v_addc_co_u32_e32 v63, vcc, v16, v3, vcc
	v_lshlrev_b64 v[2:3], 1, v[6:7]
	;; [unrolled: 5-line block ×5, first 2 shown]
	v_add_co_u32_e32 v80, vcc, s16, v2
	v_addc_co_u32_e32 v77, vcc, v81, v3, vcc
	s_load_dword s0, s[4:5], 0x44
	v_add_co_u32_e32 v82, vcc, s18, v2
	v_addc_co_u32_e32 v79, vcc, v16, v3, vcc
	v_lshlrev_b64 v[2:3], 1, v[14:15]
	v_add_co_u32_e32 v84, vcc, s16, v2
	v_addc_co_u32_e32 v81, vcc, v81, v3, vcc
	v_and_b32_e32 v92, 0x3ff, v0
	v_add_co_u32_e32 v86, vcc, s18, v2
	v_add_u32_e32 v2, s7, v92
	s_waitcnt lgkmcnt(0)
	s_lshl_b32 s7, s0, 3
	v_mbcnt_lo_u32_b32 v4, -1, 0
	s_mul_i32 s0, s15, s7
	s_mul_hi_u32 s1, s14, s7
	v_mbcnt_hi_u32_b32 v4, -1, v4
	v_mul_lo_u32 v20, s15, v18
	v_mul_lo_u32 v23, s15, v21
	v_addc_co_u32_e32 v83, vcc, v16, v3, vcc
	s_mov_b32 s16, 0
	v_mov_b32_e32 v3, 0
	s_add_i32 s1, s1, s0
	s_mul_i32 s0, s14, s7
	v_lshlrev_b32_e32 v4, 2, v4
	v_add3_u32 v37, v20, v37, v19
	v_add3_u32 v39, v23, v39, v22
	;; [unrolled: 1-line block ×4, first 2 shown]
	s_mov_b32 s9, s16
	s_lshl_b64 s[24:25], s[0:1], 1
	s_mov_b64 s[26:27], 7
	v_and_b32_e32 v93, 0x100, v4
	s_mov_b64 s[34:35], s[30:31]
	v_mov_b32_e32 v94, 0
	v_mov_b32_e32 v85, v3
	v_lshlrev_b64 v[88:89], 1, v[2:3]
.LBB191_53:                             ; =>This Inner Loop Header: Depth=1
	s_add_u32 s0, s30, s26
	s_addc_u32 s1, 0, s27
	v_pk_mov_b32 v[4:5], s[12:13], s[12:13] op_sel:[0,1]
	v_cmp_ge_i64_e32 vcc, s[0:1], v[4:5]
	v_mov_b32_e32 v2, s31
	v_add_co_u32_e64 v90, s[0:1], s30, v26
	v_addc_co_u32_e64 v91, s[0:1], v2, v85, s[0:1]
	s_cbranch_vccz .LBB191_75
; %bb.54:                               ;   in Loop: Header=BB191_53 Depth=1
	s_load_dword s0, s[10:11], 0xc
	v_mov_b32_e32 v95, 0
	s_waitcnt lgkmcnt(0)
	s_and_b32 s0, s0, 0xffff
	v_mad_u32_u24 v2, v87, s0, v92
	v_and_b32_e32 v2, 63, v2
	v_cmp_gt_u32_e32 vcc, 8, v2
	s_and_saveexec_b64 s[0:1], vcc
	s_cbranch_execz .LBB191_58
; %bb.55:                               ;   in Loop: Header=BB191_53 Depth=1
	v_add_co_u32_e32 v4, vcc, v90, v2
	v_addc_co_u32_e32 v5, vcc, 0, v91, vcc
	v_cmp_gt_i64_e32 vcc, s[12:13], v[4:5]
	v_mov_b32_e32 v95, 0
	s_and_saveexec_b64 s[18:19], vcc
	s_cbranch_execz .LBB191_57
; %bb.56:                               ;   in Loop: Header=BB191_53 Depth=1
	v_lshlrev_b64 v[4:5], 2, v[4:5]
	v_mov_b32_e32 v2, s29
	v_add_co_u32_e32 v4, vcc, s28, v4
	v_addc_co_u32_e32 v5, vcc, v2, v5, vcc
	global_load_dword v95, v[4:5], off
.LBB191_57:                             ;   in Loop: Header=BB191_53 Depth=1
	s_or_b64 exec, exec, s[18:19]
.LBB191_58:                             ;   in Loop: Header=BB191_53 Depth=1
	s_or_b64 exec, exec, s[0:1]
	s_mov_b32 s17, s16
	s_mov_b32 s18, s16
	;; [unrolled: 1-line block ×7, first 2 shown]
	v_pk_mov_b32 v[10:11], s[16:17], s[16:17] op_sel:[0,1]
	v_pk_mov_b32 v[16:17], s[22:23], s[22:23] op_sel:[0,1]
	;; [unrolled: 1-line block ×5, first 2 shown]
	v_cmp_gt_i64_e32 vcc, s[12:13], v[90:91]
	v_pk_mov_b32 v[22:23], v[14:15], v[14:15] op_sel:[0,1]
	v_pk_mov_b32 v[20:21], v[12:13], v[12:13] op_sel:[0,1]
	;; [unrolled: 1-line block ×3, first 2 shown]
	s_and_saveexec_b64 s[0:1], vcc
	s_cbranch_execz .LBB191_60
; %bb.59:                               ;   in Loop: Header=BB191_53 Depth=1
	v_add_co_u32_e32 v4, vcc, v42, v88
	v_addc_co_u32_e32 v5, vcc, v1, v89, vcc
	global_load_ushort v2, v[4:5], off
	v_add_co_u32_e32 v4, vcc, v58, v88
	v_addc_co_u32_e32 v5, vcc, v27, v89, vcc
	global_load_ushort v10, v[4:5], off
	v_mov_b32_e32 v8, v3
	v_mov_b32_e32 v9, v3
	;; [unrolled: 1-line block ×13, first 2 shown]
	s_waitcnt vmcnt(1)
	v_lshlrev_b32_e32 v2, 16, v2
	v_pk_mov_b32 v[24:25], v[8:9], v[8:9] op_sel:[0,1]
	v_pk_mov_b32 v[22:23], v[6:7], v[6:7] op_sel:[0,1]
	;; [unrolled: 1-line block ×4, first 2 shown]
	s_waitcnt vmcnt(0)
	v_lshlrev_b32_e32 v10, 16, v10
.LBB191_60:                             ;   in Loop: Header=BB191_53 Depth=1
	s_or_b64 exec, exec, s[0:1]
	v_add_co_u32_e32 v4, vcc, 1, v90
	v_addc_co_u32_e32 v5, vcc, 0, v91, vcc
	v_cmp_gt_i64_e32 vcc, s[12:13], v[4:5]
	s_and_saveexec_b64 s[0:1], vcc
	s_cbranch_execz .LBB191_62
; %bb.61:                               ;   in Loop: Header=BB191_53 Depth=1
	v_add_co_u32_e32 v4, vcc, v84, v88
	v_addc_co_u32_e32 v5, vcc, v81, v89, vcc
	global_load_ushort v2, v[4:5], off
	v_add_co_u32_e32 v4, vcc, v86, v88
	v_addc_co_u32_e32 v5, vcc, v83, v89, vcc
	global_load_ushort v4, v[4:5], off
	s_waitcnt vmcnt(1)
	v_lshlrev_b32_e32 v19, 16, v2
	s_waitcnt vmcnt(0)
	v_lshlrev_b32_e32 v11, 16, v4
.LBB191_62:                             ;   in Loop: Header=BB191_53 Depth=1
	s_or_b64 exec, exec, s[0:1]
	v_add_co_u32_e32 v4, vcc, 2, v90
	v_addc_co_u32_e32 v5, vcc, 0, v91, vcc
	v_cmp_gt_i64_e32 vcc, s[12:13], v[4:5]
	s_and_saveexec_b64 s[0:1], vcc
	s_cbranch_execz .LBB191_64
; %bb.63:                               ;   in Loop: Header=BB191_53 Depth=1
	v_add_co_u32_e32 v4, vcc, v80, v88
	v_addc_co_u32_e32 v5, vcc, v77, v89, vcc
	global_load_ushort v2, v[4:5], off
	v_add_co_u32_e32 v4, vcc, v82, v88
	v_addc_co_u32_e32 v5, vcc, v79, v89, vcc
	global_load_ushort v4, v[4:5], off
	s_waitcnt vmcnt(1)
	v_lshlrev_b32_e32 v20, 16, v2
	s_waitcnt vmcnt(0)
	v_lshlrev_b32_e32 v12, 16, v4
.LBB191_64:                             ;   in Loop: Header=BB191_53 Depth=1
	;; [unrolled: 18-line block ×7, first 2 shown]
	s_or_b64 exec, exec, s[0:1]
	s_waitcnt vmcnt(0)
	ds_bpermute_b32 v4, v93, v95
	ds_bpermute_b32 v5, v93, v95 offset:4
	v_pk_mul_f32 v[8:9], v[14:15], v[22:23]
	ds_bpermute_b32 v14, v93, v95 offset:8
	ds_bpermute_b32 v15, v93, v95 offset:12
	v_pk_mul_f32 v[10:11], v[10:11], v[18:19]
	s_waitcnt lgkmcnt(2)
	v_pk_mul_f32 v[4:5], v[10:11], v[4:5]
	ds_bpermute_b32 v10, v93, v95 offset:16
	ds_bpermute_b32 v11, v93, v95 offset:20
	v_pk_mul_f32 v[12:13], v[12:13], v[20:21]
	v_add_f32_e32 v2, v94, v4
	v_add_f32_e32 v2, v2, v5
	s_waitcnt lgkmcnt(2)
	v_pk_mul_f32 v[4:5], v[12:13], v[14:15]
	ds_bpermute_b32 v12, v93, v95 offset:24
	ds_bpermute_b32 v13, v93, v95 offset:28
	v_add_f32_e32 v2, v2, v4
	v_add_f32_e32 v2, v2, v5
	s_waitcnt lgkmcnt(2)
	v_pk_mul_f32 v[4:5], v[8:9], v[10:11]
	v_pk_mul_f32 v[6:7], v[16:17], v[24:25]
	v_add_f32_e32 v2, v2, v4
	v_add_f32_e32 v2, v2, v5
	s_waitcnt lgkmcnt(0)
	v_pk_mul_f32 v[4:5], v[6:7], v[12:13]
	v_add_f32_e32 v2, v2, v4
	v_add_f32_e32 v4, v2, v5
	s_branch .LBB191_81
.LBB191_75:                             ;   in Loop: Header=BB191_53 Depth=1
                                        ; implicit-def: $vgpr4
	s_cbranch_execz .LBB191_81
; %bb.76:                               ;   in Loop: Header=BB191_53 Depth=1
	s_load_dword s0, s[10:11], 0x0
	s_waitcnt lgkmcnt(0)
	s_cmp_lt_u32 s6, s0
	s_cselect_b32 s0, 12, 18
	s_add_u32 s0, s10, s0
	s_addc_u32 s1, s11, 0
	global_load_ushort v2, v3, s[0:1]
	s_waitcnt vmcnt(0)
	v_mad_u32_u24 v2, v87, v2, v92
	v_and_b32_e32 v4, 63, v2
	v_cmp_gt_u32_e32 vcc, 8, v4
	v_mov_b32_e32 v2, 0
	s_and_saveexec_b64 s[0:1], vcc
	s_cbranch_execz .LBB191_80
; %bb.77:                               ;   in Loop: Header=BB191_53 Depth=1
	v_add_co_u32_e32 v4, vcc, v90, v4
	v_addc_co_u32_e32 v5, vcc, 0, v91, vcc
	v_cmp_gt_i64_e32 vcc, s[12:13], v[4:5]
	v_mov_b32_e32 v2, 0
	s_and_saveexec_b64 s[18:19], vcc
	s_cbranch_execz .LBB191_79
; %bb.78:                               ;   in Loop: Header=BB191_53 Depth=1
	v_lshlrev_b64 v[4:5], 2, v[4:5]
	v_mov_b32_e32 v2, s29
	v_add_co_u32_e32 v4, vcc, s28, v4
	v_addc_co_u32_e32 v5, vcc, v2, v5, vcc
	global_load_dword v2, v[4:5], off
.LBB191_79:                             ;   in Loop: Header=BB191_53 Depth=1
	s_or_b64 exec, exec, s[18:19]
.LBB191_80:                             ;   in Loop: Header=BB191_53 Depth=1
	s_or_b64 exec, exec, s[0:1]
	v_add_co_u32_e32 v4, vcc, v42, v88
	v_addc_co_u32_e32 v5, vcc, v1, v89, vcc
	v_add_co_u32_e32 v6, vcc, v58, v88
	v_addc_co_u32_e32 v7, vcc, v27, v89, vcc
	;; [unrolled: 2-line block ×5, first 2 shown]
	v_add_co_u32_e32 v14, vcc, v46, v88
	global_load_ushort v90, v[4:5], off
	global_load_ushort v91, v[8:9], off
	;; [unrolled: 1-line block ×3, first 2 shown]
                                        ; kill: killed $vgpr4 killed $vgpr5
                                        ; kill: killed $vgpr6 killed $vgpr7
                                        ; kill: killed $vgpr8 killed $vgpr9
	global_load_ushort v96, v[10:11], off
	v_addc_co_u32_e32 v15, vcc, v47, v89, vcc
	v_add_co_u32_e32 v16, vcc, v32, v88
	v_addc_co_u32_e32 v17, vcc, v33, v89, vcc
	v_add_co_u32_e32 v18, vcc, v48, v88
	;; [unrolled: 2-line block ×3, first 2 shown]
	v_addc_co_u32_e32 v21, vcc, v35, v89, vcc
	global_load_ushort v97, v[16:17], off
	global_load_ushort v98, v[12:13], off
	;; [unrolled: 1-line block ×3, first 2 shown]
                                        ; kill: killed $vgpr16 killed $vgpr17
                                        ; kill: killed $vgpr12 killed $vgpr13
                                        ; kill: killed $vgpr18 killed $vgpr19
	s_nop 0
	global_load_ushort v12, v[14:15], off
	v_add_co_u32_e32 v22, vcc, v50, v88
	v_addc_co_u32_e32 v23, vcc, v51, v89, vcc
	v_add_co_u32_e32 v24, vcc, v36, v88
	v_addc_co_u32_e32 v25, vcc, v37, v89, vcc
	;; [unrolled: 2-line block ×3, first 2 shown]
	v_add_co_u32_e32 v6, vcc, v38, v88
	global_load_ushort v13, v[20:21], off
	global_load_ushort v14, v[24:25], off
	;; [unrolled: 1-line block ×4, first 2 shown]
	v_addc_co_u32_e32 v7, vcc, v39, v89, vcc
	v_add_co_u32_e32 v8, vcc, v54, v88
	v_addc_co_u32_e32 v9, vcc, v55, v89, vcc
	v_add_co_u32_e32 v4, vcc, v40, v88
	;; [unrolled: 2-line block ×3, first 2 shown]
	v_addc_co_u32_e32 v11, vcc, v57, v89, vcc
	global_load_ushort v17, v[4:5], off
	global_load_ushort v18, v[6:7], off
	;; [unrolled: 1-line block ×4, first 2 shown]
	s_waitcnt vmcnt(16)
	ds_bpermute_b32 v4, v93, v2
	ds_bpermute_b32 v5, v93, v2 offset:4
	s_waitcnt vmcnt(15)
	v_lshlrev_b32_e32 v6, 16, v90
	s_waitcnt vmcnt(14)
	v_lshlrev_b32_e32 v7, 16, v91
	s_waitcnt vmcnt(13)
	v_lshlrev_b32_e32 v8, 16, v95
	s_waitcnt vmcnt(12)
	v_lshlrev_b32_e32 v9, 16, v96
	v_pk_mul_f32 v[6:7], v[6:7], v[8:9]
	s_waitcnt lgkmcnt(0)
	v_pk_mul_f32 v[4:5], v[6:7], v[4:5]
	v_add_f32_e32 v4, v94, v4
	v_add_f32_e32 v10, v4, v5
	ds_bpermute_b32 v4, v93, v2 offset:8
	ds_bpermute_b32 v5, v93, v2 offset:12
	s_waitcnt vmcnt(11)
	v_lshlrev_b32_e32 v7, 16, v97
	s_waitcnt vmcnt(10)
	v_lshlrev_b32_e32 v6, 16, v98
	s_waitcnt vmcnt(9)
	v_lshlrev_b32_e32 v9, 16, v99
	s_waitcnt vmcnt(8)
	v_lshlrev_b32_e32 v8, 16, v12
	v_pk_mul_f32 v[6:7], v[6:7], v[8:9]
	s_waitcnt lgkmcnt(0)
	v_pk_mul_f32 v[4:5], v[6:7], v[4:5]
	v_add_f32_e32 v4, v10, v4
	v_add_f32_e32 v10, v4, v5
	ds_bpermute_b32 v4, v93, v2 offset:16
	ds_bpermute_b32 v5, v93, v2 offset:20
	s_waitcnt vmcnt(7)
	v_lshlrev_b32_e32 v6, 16, v13
	s_waitcnt vmcnt(6)
	v_lshlrev_b32_e32 v7, 16, v14
	s_waitcnt vmcnt(5)
	v_lshlrev_b32_e32 v8, 16, v15
	s_waitcnt vmcnt(4)
	v_lshlrev_b32_e32 v9, 16, v16
	v_pk_mul_f32 v[6:7], v[6:7], v[8:9]
	s_waitcnt lgkmcnt(0)
	v_pk_mul_f32 v[4:5], v[6:7], v[4:5]
	v_add_f32_e32 v4, v10, v4
	v_add_f32_e32 v10, v4, v5
	ds_bpermute_b32 v4, v93, v2 offset:24
	ds_bpermute_b32 v5, v93, v2 offset:28
	s_waitcnt vmcnt(3)
	v_lshlrev_b32_e32 v7, 16, v17
	s_waitcnt vmcnt(2)
	v_lshlrev_b32_e32 v6, 16, v18
	;; [unrolled: 2-line block ×4, first 2 shown]
	v_pk_mul_f32 v[6:7], v[6:7], v[8:9]
	s_waitcnt lgkmcnt(0)
	v_pk_mul_f32 v[4:5], v[6:7], v[4:5]
	v_add_f32_e32 v2, v10, v4
	v_add_f32_e32 v4, v2, v5
.LBB191_81:                             ;   in Loop: Header=BB191_53 Depth=1
	v_mov_b32_e32 v2, s9
	v_add_co_u32_e64 v26, s[0:1], s7, v26
	v_addc_co_u32_e64 v85, s[0:1], v85, v2, s[0:1]
	v_mov_b32_e32 v2, s25
	v_add_co_u32_e64 v28, s[0:1], s24, v28
	v_addc_co_u32_e64 v29, s[0:1], v29, v2, s[0:1]
	v_add_co_u32_e64 v30, s[0:1], s24, v30
	v_addc_co_u32_e64 v31, s[0:1], v31, v2, s[0:1]
	;; [unrolled: 2-line block ×28, first 2 shown]
	s_add_u32 s34, s34, s7
	v_add_co_u32_e64 v84, s[0:1], s24, v84
	s_addc_u32 s35, s35, 0
	v_pk_mov_b32 v[6:7], s[12:13], s[12:13] op_sel:[0,1]
	v_addc_co_u32_e64 v81, s[0:1], v81, v2, s[0:1]
	v_cmp_ge_i64_e32 vcc, s[34:35], v[6:7]
	v_add_co_u32_e64 v86, s[0:1], s24, v86
	s_add_u32 s26, s26, s7
	v_addc_co_u32_e64 v83, s[0:1], v83, v2, s[0:1]
	s_addc_u32 s27, s27, 0
	s_cbranch_vccnz .LBB191_83
; %bb.82:                               ;   in Loop: Header=BB191_53 Depth=1
	v_mov_b32_e32 v94, v4
	s_branch .LBB191_53
.LBB191_83:
	s_mov_b32 s7, 0
	s_lshl_b64 s[0:1], s[6:7], 6
	v_and_b32_e32 v1, 0x3ff, v0
	v_or_b32_e32 v2, s0, v1
	v_mov_b32_e32 v3, s1
	s_waitcnt lgkmcnt(0)
	s_cmp_lg_u64 s[2:3], 0
	v_cmp_gt_i64_e32 vcc, s[14:15], v[2:3]
	s_cselect_b64 s[0:1], -1, 0
	s_and_b64 s[0:1], vcc, s[0:1]
	s_and_saveexec_b64 s[6:7], s[0:1]
	s_cbranch_execz .LBB191_85
; %bb.84:
	s_load_dword s0, s[4:5], 0x4c
	v_bfe_u32 v0, v0, 10, 10
	v_mov_b32_e32 v1, 0
	v_mov_b32_e32 v5, s8
	;; [unrolled: 1-line block ×3, first 2 shown]
	s_waitcnt lgkmcnt(0)
	s_lshr_b32 s0, s0, 16
	v_mad_u64_u32 v[0:1], s[0:1], s0, v5, v[0:1]
	v_bfe_u32 v5, v4, 16, 1
	s_movk_i32 s0, 0x7fff
	v_add3_u32 v5, v4, v5, s0
	v_lshrrev_b32_e32 v5, 16, v5
	v_cmp_o_f32_e32 vcc, v4, v4
	v_cndmask_b32_e32 v4, v6, v5, vcc
	v_mul_lo_u32 v5, v1, s14
	v_mul_lo_u32 v6, v0, s15
	v_mad_u64_u32 v[0:1], s[0:1], v0, s14, 0
	v_add3_u32 v1, v1, v6, v5
	v_lshlrev_b64 v[0:1], 1, v[0:1]
	v_mov_b32_e32 v5, s3
	v_add_co_u32_e32 v6, vcc, s2, v0
	v_addc_co_u32_e32 v5, vcc, v5, v1, vcc
	v_lshlrev_b64 v[0:1], 1, v[2:3]
	v_add_co_u32_e32 v0, vcc, v6, v0
	v_addc_co_u32_e32 v1, vcc, v5, v1, vcc
	global_store_short v[0:1], v4, off
.LBB191_85:
	s_endpgm
	.section	.rodata,"a",@progbits
	.p2align	6, 0x0
	.amdhsa_kernel _ZN2at6native12_GLOBAL__N_135GammaBetaBackwardCUDAKernelTemplateIN3c108BFloat16EfLj64ELj1ELj8ELb1ELb0ELb1EEEvllPKT_S7_PKT0_SA_PS5_SB_
		.amdhsa_group_segment_fixed_size 0
		.amdhsa_private_segment_fixed_size 0
		.amdhsa_kernarg_size 320
		.amdhsa_user_sgpr_count 6
		.amdhsa_user_sgpr_private_segment_buffer 1
		.amdhsa_user_sgpr_dispatch_ptr 0
		.amdhsa_user_sgpr_queue_ptr 0
		.amdhsa_user_sgpr_kernarg_segment_ptr 1
		.amdhsa_user_sgpr_dispatch_id 0
		.amdhsa_user_sgpr_flat_scratch_init 0
		.amdhsa_user_sgpr_kernarg_preload_length 0
		.amdhsa_user_sgpr_kernarg_preload_offset 0
		.amdhsa_user_sgpr_private_segment_size 0
		.amdhsa_uses_dynamic_stack 0
		.amdhsa_system_sgpr_private_segment_wavefront_offset 0
		.amdhsa_system_sgpr_workgroup_id_x 1
		.amdhsa_system_sgpr_workgroup_id_y 1
		.amdhsa_system_sgpr_workgroup_id_z 0
		.amdhsa_system_sgpr_workgroup_info 0
		.amdhsa_system_vgpr_workitem_id 1
		.amdhsa_next_free_vgpr 100
		.amdhsa_next_free_sgpr 44
		.amdhsa_accum_offset 100
		.amdhsa_reserve_vcc 1
		.amdhsa_reserve_flat_scratch 0
		.amdhsa_float_round_mode_32 0
		.amdhsa_float_round_mode_16_64 0
		.amdhsa_float_denorm_mode_32 3
		.amdhsa_float_denorm_mode_16_64 3
		.amdhsa_dx10_clamp 1
		.amdhsa_ieee_mode 1
		.amdhsa_fp16_overflow 0
		.amdhsa_tg_split 0
		.amdhsa_exception_fp_ieee_invalid_op 0
		.amdhsa_exception_fp_denorm_src 0
		.amdhsa_exception_fp_ieee_div_zero 0
		.amdhsa_exception_fp_ieee_overflow 0
		.amdhsa_exception_fp_ieee_underflow 0
		.amdhsa_exception_fp_ieee_inexact 0
		.amdhsa_exception_int_div_zero 0
	.end_amdhsa_kernel
	.section	.text._ZN2at6native12_GLOBAL__N_135GammaBetaBackwardCUDAKernelTemplateIN3c108BFloat16EfLj64ELj1ELj8ELb1ELb0ELb1EEEvllPKT_S7_PKT0_SA_PS5_SB_,"axG",@progbits,_ZN2at6native12_GLOBAL__N_135GammaBetaBackwardCUDAKernelTemplateIN3c108BFloat16EfLj64ELj1ELj8ELb1ELb0ELb1EEEvllPKT_S7_PKT0_SA_PS5_SB_,comdat
.Lfunc_end191:
	.size	_ZN2at6native12_GLOBAL__N_135GammaBetaBackwardCUDAKernelTemplateIN3c108BFloat16EfLj64ELj1ELj8ELb1ELb0ELb1EEEvllPKT_S7_PKT0_SA_PS5_SB_, .Lfunc_end191-_ZN2at6native12_GLOBAL__N_135GammaBetaBackwardCUDAKernelTemplateIN3c108BFloat16EfLj64ELj1ELj8ELb1ELb0ELb1EEEvllPKT_S7_PKT0_SA_PS5_SB_
                                        ; -- End function
	.section	.AMDGPU.csdata,"",@progbits
; Kernel info:
; codeLenInByte = 6788
; NumSgprs: 48
; NumVgprs: 100
; NumAgprs: 0
; TotalNumVgprs: 100
; ScratchSize: 0
; MemoryBound: 0
; FloatMode: 240
; IeeeMode: 1
; LDSByteSize: 0 bytes/workgroup (compile time only)
; SGPRBlocks: 5
; VGPRBlocks: 12
; NumSGPRsForWavesPerEU: 48
; NumVGPRsForWavesPerEU: 100
; AccumOffset: 100
; Occupancy: 4
; WaveLimiterHint : 0
; COMPUTE_PGM_RSRC2:SCRATCH_EN: 0
; COMPUTE_PGM_RSRC2:USER_SGPR: 6
; COMPUTE_PGM_RSRC2:TRAP_HANDLER: 0
; COMPUTE_PGM_RSRC2:TGID_X_EN: 1
; COMPUTE_PGM_RSRC2:TGID_Y_EN: 1
; COMPUTE_PGM_RSRC2:TGID_Z_EN: 0
; COMPUTE_PGM_RSRC2:TIDIG_COMP_CNT: 1
; COMPUTE_PGM_RSRC3_GFX90A:ACCUM_OFFSET: 24
; COMPUTE_PGM_RSRC3_GFX90A:TG_SPLIT: 0
	.section	.text._ZN2at6native12_GLOBAL__N_135GammaBetaBackwardCUDAKernelTemplateIN3c108BFloat16EfLj64ELj8ELj64ELb0ELb1ELb1EEEvllPKT_S7_PKT0_SA_PS5_SB_,"axG",@progbits,_ZN2at6native12_GLOBAL__N_135GammaBetaBackwardCUDAKernelTemplateIN3c108BFloat16EfLj64ELj8ELj64ELb0ELb1ELb1EEEvllPKT_S7_PKT0_SA_PS5_SB_,comdat
	.globl	_ZN2at6native12_GLOBAL__N_135GammaBetaBackwardCUDAKernelTemplateIN3c108BFloat16EfLj64ELj8ELj64ELb0ELb1ELb1EEEvllPKT_S7_PKT0_SA_PS5_SB_ ; -- Begin function _ZN2at6native12_GLOBAL__N_135GammaBetaBackwardCUDAKernelTemplateIN3c108BFloat16EfLj64ELj8ELj64ELb0ELb1ELb1EEEvllPKT_S7_PKT0_SA_PS5_SB_
	.p2align	8
	.type	_ZN2at6native12_GLOBAL__N_135GammaBetaBackwardCUDAKernelTemplateIN3c108BFloat16EfLj64ELj8ELj64ELb0ELb1ELb1EEEvllPKT_S7_PKT0_SA_PS5_SB_,@function
_ZN2at6native12_GLOBAL__N_135GammaBetaBackwardCUDAKernelTemplateIN3c108BFloat16EfLj64ELj8ELj64ELb0ELb1ELb1EEEvllPKT_S7_PKT0_SA_PS5_SB_: ; @_ZN2at6native12_GLOBAL__N_135GammaBetaBackwardCUDAKernelTemplateIN3c108BFloat16EfLj64ELj8ELj64ELb0ELb1ELb1EEEvllPKT_S7_PKT0_SA_PS5_SB_
; %bb.0:
	s_load_dwordx4 s[8:11], s[4:5], 0x0
	s_lshl_b32 s16, s7, 6
	s_mov_b32 s17, 0
	v_bfe_u32 v11, v0, 10, 10
	s_waitcnt lgkmcnt(0)
	v_pk_mov_b32 v[2:3], s[8:9], s[8:9] op_sel:[0,1]
	v_cmp_lt_i64_e32 vcc, s[16:17], v[2:3]
	s_cbranch_vccnz .LBB192_2
; %bb.1:
	s_mov_b64 s[0:1], 0
	v_bfe_u32 v7, v0, 10, 10
	s_branch .LBB192_3
.LBB192_2:
	s_mov_b64 s[0:1], -1
                                        ; implicit-def: $vgpr7
.LBB192_3:
	s_load_dwordx2 s[2:3], s[4:5], 0x30
	v_and_b32_e32 v6, 0x3ff, v0
	s_andn2_b64 vcc, exec, s[0:1]
	v_mov_b32_e32 v1, s17
	v_mbcnt_lo_u32_b32 v10, -1, 0
	s_cbranch_vccnz .LBB192_11
; %bb.4:
	s_load_dword s0, s[4:5], 0x4c
	s_load_dword s7, s[4:5], 0x44
	s_load_dwordx4 s[12:15], s[4:5], 0x10
	s_load_dwordx2 s[18:19], s[4:5], 0x28
	v_mbcnt_hi_u32_b32 v4, -1, v10
	v_lshlrev_b32_e32 v2, 3, v11
	s_waitcnt lgkmcnt(0)
	s_and_b32 s0, s0, 0xffff
	v_lshlrev_b32_e32 v4, 2, v4
	v_mad_u32_u24 v0, v11, s0, v6
	v_and_b32_e32 v12, 0x100, v4
	v_mov_b32_e32 v4, s17
	v_add_co_u32_e32 v7, vcc, s16, v2
	v_and_b32_e32 v3, 63, v0
	v_addc_co_u32_e32 v8, vcc, 0, v4, vcc
	v_add_co_u32_e32 v2, vcc, v7, v3
	v_cmp_gt_u32_e64 s[0:1], 8, v3
	v_addc_co_u32_e32 v3, vcc, 0, v8, vcc
	v_lshlrev_b64 v[4:5], 2, v[2:3]
	v_mov_b32_e32 v9, s19
	v_add_co_u32_e32 v4, vcc, s18, v4
	s_lshl_b32 s4, s7, 6
	v_addc_co_u32_e32 v5, vcc, v9, v5, vcc
	v_mul_lo_u32 v20, s11, v7
	v_mul_lo_u32 v21, s10, v8
	v_mad_u64_u32 v[8:9], s[20:21], s10, v7, 0
	v_mov_b32_e32 v1, 0
	v_lshl_add_u32 v0, s6, 6, v6
	v_add3_u32 v9, v9, v21, v20
	s_mul_i32 s7, s11, s4
	s_mul_hi_u32 s20, s10, s4
	s_mov_b32 s5, 0
	v_lshlrev_b64 v[8:9], 1, v[8:9]
	v_lshlrev_b64 v[20:21], 1, v[0:1]
	s_add_i32 s21, s20, s7
	s_mul_i32 s20, s10, s4
	s_lshl_b64 s[18:19], s[4:5], 2
	v_add_co_u32_e32 v0, vcc, v8, v20
	s_lshl_b64 s[20:21], s[20:21], 1
	s_lshl_b64 s[10:11], s[10:11], 1
	v_or_b32_e32 v13, 4, v12
	v_or_b32_e32 v14, 8, v12
	;; [unrolled: 1-line block ×7, first 2 shown]
	v_addc_co_u32_e32 v7, vcc, v9, v21, vcc
	v_mov_b32_e32 v20, s13
	v_mov_b32_e32 v21, s15
	;; [unrolled: 1-line block ×6, first 2 shown]
	v_pk_mov_b32 v[8:9], s[8:9], s[8:9] op_sel:[0,1]
	s_branch .LBB192_7
.LBB192_5:                              ;   in Loop: Header=BB192_7 Depth=1
	s_or_b64 exec, exec, s[24:25]
.LBB192_6:                              ;   in Loop: Header=BB192_7 Depth=1
	s_or_b64 exec, exec, s[22:23]
	v_add_co_u32_e32 v28, vcc, s12, v0
	v_addc_co_u32_e32 v29, vcc, v20, v7, vcc
	v_add_co_u32_e32 v30, vcc, s14, v0
	v_addc_co_u32_e32 v31, vcc, v21, v7, vcc
	;; [unrolled: 2-line block ×5, first 2 shown]
	v_add_co_u32_e32 v38, vcc, s10, v34
	global_load_ushort v27, v[32:33], off
	global_load_ushort v50, v[28:29], off
	;; [unrolled: 1-line block ×4, first 2 shown]
	v_addc_co_u32_e32 v39, vcc, v35, v22, vcc
	v_add_co_u32_e32 v40, vcc, s10, v36
	v_addc_co_u32_e32 v41, vcc, v37, v22, vcc
	v_add_co_u32_e32 v42, vcc, s10, v38
	;; [unrolled: 2-line block ×3, first 2 shown]
	v_addc_co_u32_e32 v45, vcc, v41, v22, vcc
	global_load_ushort v53, v[36:37], off
	global_load_ushort v54, v[40:41], off
	;; [unrolled: 1-line block ×4, first 2 shown]
	v_add_co_u32_e32 v46, vcc, s10, v42
	v_addc_co_u32_e32 v47, vcc, v43, v22, vcc
	v_add_co_u32_e32 v48, vcc, s10, v44
	v_addc_co_u32_e32 v49, vcc, v45, v22, vcc
	v_add_co_u32_e32 v28, vcc, s10, v46
	v_addc_co_u32_e32 v29, vcc, v47, v22, vcc
	v_add_co_u32_e32 v30, vcc, s10, v48
	global_load_ushort v36, v[48:49], off
	global_load_ushort v37, v[44:45], off
	;; [unrolled: 1-line block ×4, first 2 shown]
	v_addc_co_u32_e32 v31, vcc, v49, v22, vcc
	v_add_co_u32_e32 v32, vcc, s10, v28
	v_addc_co_u32_e32 v33, vcc, v29, v22, vcc
	v_add_co_u32_e32 v28, vcc, s10, v30
	;; [unrolled: 2-line block ×3, first 2 shown]
	v_addc_co_u32_e32 v35, vcc, v33, v22, vcc
	global_load_ushort v40, v[30:31], off
	global_load_ushort v41, v[28:29], off
	;; [unrolled: 1-line block ×4, first 2 shown]
	s_waitcnt vmcnt(16)
	ds_bpermute_b32 v28, v12, v26
	ds_bpermute_b32 v29, v13, v26
	v_add_co_u32_e32 v4, vcc, s18, v4
	v_addc_co_u32_e32 v5, vcc, v5, v23, vcc
	v_add_co_u32_e32 v2, vcc, s4, v2
	v_addc_co_u32_e32 v3, vcc, v3, v24, vcc
	s_add_u32 s16, s16, s4
	v_add_co_u32_e32 v0, vcc, s20, v0
	s_addc_u32 s17, s17, 0
	v_addc_co_u32_e32 v7, vcc, v7, v25, vcc
	v_cmp_lt_i64_e32 vcc, s[16:17], v[8:9]
	s_and_b64 vcc, exec, vcc
	s_waitcnt vmcnt(15)
	v_lshlrev_b32_e32 v31, 16, v27
	s_waitcnt vmcnt(14)
	v_lshlrev_b32_e32 v30, 16, v50
	s_waitcnt vmcnt(13)
	v_lshlrev_b32_e32 v33, 16, v51
	s_waitcnt vmcnt(12)
	v_lshlrev_b32_e32 v32, 16, v52
	v_pk_mul_f32 v[30:31], v[30:31], v[32:33]
	s_waitcnt lgkmcnt(0)
	v_pk_mul_f32 v[28:29], v[30:31], v[28:29]
	v_add_f32_e32 v1, v1, v28
	v_add_f32_e32 v1, v1, v29
	ds_bpermute_b32 v28, v14, v26
	ds_bpermute_b32 v29, v15, v26
	s_waitcnt vmcnt(11)
	v_lshlrev_b32_e32 v30, 16, v53
	s_waitcnt vmcnt(10)
	v_lshlrev_b32_e32 v31, 16, v54
	s_waitcnt vmcnt(9)
	v_lshlrev_b32_e32 v32, 16, v55
	s_waitcnt vmcnt(8)
	v_lshlrev_b32_e32 v33, 16, v56
	v_pk_mul_f32 v[30:31], v[30:31], v[32:33]
	s_waitcnt lgkmcnt(0)
	v_pk_mul_f32 v[28:29], v[30:31], v[28:29]
	v_add_f32_e32 v1, v1, v28
	v_add_f32_e32 v1, v1, v29
	ds_bpermute_b32 v28, v16, v26
	ds_bpermute_b32 v29, v17, v26
	;; [unrolled: 15-line block ×3, first 2 shown]
	s_waitcnt vmcnt(3)
	v_lshlrev_b32_e32 v26, 16, v40
	s_waitcnt vmcnt(2)
	v_lshlrev_b32_e32 v27, 16, v41
	;; [unrolled: 2-line block ×4, first 2 shown]
	v_pk_mul_f32 v[26:27], v[26:27], v[30:31]
	s_waitcnt lgkmcnt(0)
	v_pk_mul_f32 v[26:27], v[26:27], v[28:29]
	v_add_f32_e32 v1, v1, v26
	v_add_f32_e32 v1, v1, v27
	s_cbranch_vccz .LBB192_10
.LBB192_7:                              ; =>This Inner Loop Header: Depth=1
	v_mov_b32_e32 v26, 0
	s_and_saveexec_b64 s[22:23], s[0:1]
	s_cbranch_execz .LBB192_6
; %bb.8:                                ;   in Loop: Header=BB192_7 Depth=1
	v_cmp_gt_i64_e32 vcc, s[8:9], v[2:3]
	v_mov_b32_e32 v26, 0
	s_and_saveexec_b64 s[24:25], vcc
	s_cbranch_execz .LBB192_5
; %bb.9:                                ;   in Loop: Header=BB192_7 Depth=1
	global_load_dword v26, v[4:5], off
	s_branch .LBB192_5
.LBB192_10:
	v_mov_b32_e32 v7, v11
.LBB192_11:
	s_movk_i32 s0, 0x41
	v_mad_u32_u24 v0, v7, s0, v6
	v_lshl_add_u32 v0, v0, 2, 0
	ds_write_b32 v0, v1
	v_mov_b32_e32 v1, 0
	ds_write_b32 v0, v1 offset:2080
	v_lshrrev_b32_e32 v0, 6, v6
	v_add_u32_e32 v1, v0, v7
	s_mov_b32 s7, 0
	v_cmp_gt_u32_e32 vcc, 64, v1
	s_waitcnt lgkmcnt(0)
	s_barrier
	s_and_saveexec_b64 s[0:1], vcc
	s_cbranch_execz .LBB192_18
; %bb.12:
	v_mbcnt_hi_u32_b32 v4, -1, v10
	v_and_b32_e32 v2, 63, v6
	v_and_b32_e32 v3, 64, v4
	s_cmp_lg_u64 s[2:3], 0
	v_cmp_gt_u32_e32 vcc, 8, v2
	v_add_u32_e32 v5, 64, v3
	v_cmp_eq_u32_e64 s[0:1], 0, v6
	s_cselect_b64 s[8:9], -1, 0
	v_mul_u32_u24_e32 v6, 0x104, v2
	v_xor_b32_e32 v2, 4, v4
	s_and_b64 s[8:9], s[0:1], s[8:9]
	v_cmp_lt_i32_e64 s[0:1], v2, v5
	v_xor_b32_e32 v3, 2, v4
	v_cndmask_b32_e64 v2, v4, v2, s[0:1]
	v_cmp_lt_i32_e64 s[0:1], v3, v5
	v_xor_b32_e32 v8, 1, v4
	v_cndmask_b32_e64 v3, v4, v3, s[0:1]
	v_cmp_lt_i32_e64 s[0:1], v8, v5
	v_cndmask_b32_e64 v4, v4, v8, s[0:1]
	v_lshlrev_b32_e32 v5, 2, v1
	v_add_co_u32_e64 v0, s[0:1], v0, v7
	s_lshl_b64 s[6:7], s[6:7], 7
	v_add3_u32 v5, v6, v5, 0
	v_add_u32_e32 v6, -8, v1
	v_addc_co_u32_e64 v1, s[0:1], 0, 0, s[0:1]
	s_add_u32 s0, s2, s6
	v_lshlrev_b64 v[0:1], 1, v[0:1]
	s_addc_u32 s1, s3, s7
	v_mov_b32_e32 v7, s1
	v_add_co_u32_e64 v0, s[0:1], s0, v0
	s_mov_b64 s[4:5], 0
	v_lshlrev_b32_e32 v2, 2, v2
	v_lshlrev_b32_e32 v3, 2, v3
	;; [unrolled: 1-line block ×3, first 2 shown]
	v_addc_co_u32_e64 v1, s[0:1], v7, v1, s[0:1]
	s_movk_i32 s6, 0x7fff
	v_mov_b32_e32 v7, 0x7fc0
                                        ; implicit-def: $vgpr8
	s_branch .LBB192_14
.LBB192_13:                             ;   in Loop: Header=BB192_14 Depth=1
	s_or_b64 exec, exec, s[2:3]
	v_add_u32_e32 v6, 8, v6
	v_cmp_lt_u32_e64 s[0:1], 55, v6
	s_or_b64 s[4:5], s[0:1], s[4:5]
	v_add_co_u32_e64 v0, s[0:1], 16, v0
	v_add_u32_e32 v5, 32, v5
	v_addc_co_u32_e64 v1, s[0:1], 0, v1, s[0:1]
	s_andn2_b64 exec, exec, s[4:5]
	s_cbranch_execz .LBB192_18
.LBB192_14:                             ; =>This Inner Loop Header: Depth=1
	s_and_saveexec_b64 s[0:1], vcc
	s_cbranch_execz .LBB192_16
; %bb.15:                               ;   in Loop: Header=BB192_14 Depth=1
	ds_read_b32 v8, v5
.LBB192_16:                             ;   in Loop: Header=BB192_14 Depth=1
	s_or_b64 exec, exec, s[0:1]
	s_waitcnt lgkmcnt(0)
	ds_bpermute_b32 v9, v2, v8
	s_waitcnt lgkmcnt(0)
	v_add_f32_e32 v8, v8, v9
	ds_bpermute_b32 v9, v3, v8
	s_waitcnt lgkmcnt(0)
	v_add_f32_e32 v8, v8, v9
	;; [unrolled: 3-line block ×3, first 2 shown]
	s_and_saveexec_b64 s[2:3], s[8:9]
	s_cbranch_execz .LBB192_13
; %bb.17:                               ;   in Loop: Header=BB192_14 Depth=1
	v_bfe_u32 v9, v8, 16, 1
	v_add3_u32 v9, v8, v9, s6
	v_lshrrev_b32_e32 v9, 16, v9
	v_cmp_o_f32_e64 s[0:1], v8, v8
	v_cndmask_b32_e64 v9, v7, v9, s[0:1]
	global_store_short v[0:1], v9, off
	s_branch .LBB192_13
.LBB192_18:
	s_endpgm
	.section	.rodata,"a",@progbits
	.p2align	6, 0x0
	.amdhsa_kernel _ZN2at6native12_GLOBAL__N_135GammaBetaBackwardCUDAKernelTemplateIN3c108BFloat16EfLj64ELj8ELj64ELb0ELb1ELb1EEEvllPKT_S7_PKT0_SA_PS5_SB_
		.amdhsa_group_segment_fixed_size 0
		.amdhsa_private_segment_fixed_size 0
		.amdhsa_kernarg_size 320
		.amdhsa_user_sgpr_count 6
		.amdhsa_user_sgpr_private_segment_buffer 1
		.amdhsa_user_sgpr_dispatch_ptr 0
		.amdhsa_user_sgpr_queue_ptr 0
		.amdhsa_user_sgpr_kernarg_segment_ptr 1
		.amdhsa_user_sgpr_dispatch_id 0
		.amdhsa_user_sgpr_flat_scratch_init 0
		.amdhsa_user_sgpr_kernarg_preload_length 0
		.amdhsa_user_sgpr_kernarg_preload_offset 0
		.amdhsa_user_sgpr_private_segment_size 0
		.amdhsa_uses_dynamic_stack 0
		.amdhsa_system_sgpr_private_segment_wavefront_offset 0
		.amdhsa_system_sgpr_workgroup_id_x 1
		.amdhsa_system_sgpr_workgroup_id_y 1
		.amdhsa_system_sgpr_workgroup_id_z 0
		.amdhsa_system_sgpr_workgroup_info 0
		.amdhsa_system_vgpr_workitem_id 1
		.amdhsa_next_free_vgpr 57
		.amdhsa_next_free_sgpr 26
		.amdhsa_accum_offset 60
		.amdhsa_reserve_vcc 1
		.amdhsa_reserve_flat_scratch 0
		.amdhsa_float_round_mode_32 0
		.amdhsa_float_round_mode_16_64 0
		.amdhsa_float_denorm_mode_32 3
		.amdhsa_float_denorm_mode_16_64 3
		.amdhsa_dx10_clamp 1
		.amdhsa_ieee_mode 1
		.amdhsa_fp16_overflow 0
		.amdhsa_tg_split 0
		.amdhsa_exception_fp_ieee_invalid_op 0
		.amdhsa_exception_fp_denorm_src 0
		.amdhsa_exception_fp_ieee_div_zero 0
		.amdhsa_exception_fp_ieee_overflow 0
		.amdhsa_exception_fp_ieee_underflow 0
		.amdhsa_exception_fp_ieee_inexact 0
		.amdhsa_exception_int_div_zero 0
	.end_amdhsa_kernel
	.section	.text._ZN2at6native12_GLOBAL__N_135GammaBetaBackwardCUDAKernelTemplateIN3c108BFloat16EfLj64ELj8ELj64ELb0ELb1ELb1EEEvllPKT_S7_PKT0_SA_PS5_SB_,"axG",@progbits,_ZN2at6native12_GLOBAL__N_135GammaBetaBackwardCUDAKernelTemplateIN3c108BFloat16EfLj64ELj8ELj64ELb0ELb1ELb1EEEvllPKT_S7_PKT0_SA_PS5_SB_,comdat
.Lfunc_end192:
	.size	_ZN2at6native12_GLOBAL__N_135GammaBetaBackwardCUDAKernelTemplateIN3c108BFloat16EfLj64ELj8ELj64ELb0ELb1ELb1EEEvllPKT_S7_PKT0_SA_PS5_SB_, .Lfunc_end192-_ZN2at6native12_GLOBAL__N_135GammaBetaBackwardCUDAKernelTemplateIN3c108BFloat16EfLj64ELj8ELj64ELb0ELb1ELb1EEEvllPKT_S7_PKT0_SA_PS5_SB_
                                        ; -- End function
	.section	.AMDGPU.csdata,"",@progbits
; Kernel info:
; codeLenInByte = 1524
; NumSgprs: 30
; NumVgprs: 57
; NumAgprs: 0
; TotalNumVgprs: 57
; ScratchSize: 0
; MemoryBound: 0
; FloatMode: 240
; IeeeMode: 1
; LDSByteSize: 0 bytes/workgroup (compile time only)
; SGPRBlocks: 3
; VGPRBlocks: 7
; NumSGPRsForWavesPerEU: 30
; NumVGPRsForWavesPerEU: 57
; AccumOffset: 60
; Occupancy: 8
; WaveLimiterHint : 0
; COMPUTE_PGM_RSRC2:SCRATCH_EN: 0
; COMPUTE_PGM_RSRC2:USER_SGPR: 6
; COMPUTE_PGM_RSRC2:TRAP_HANDLER: 0
; COMPUTE_PGM_RSRC2:TGID_X_EN: 1
; COMPUTE_PGM_RSRC2:TGID_Y_EN: 1
; COMPUTE_PGM_RSRC2:TGID_Z_EN: 0
; COMPUTE_PGM_RSRC2:TIDIG_COMP_CNT: 1
; COMPUTE_PGM_RSRC3_GFX90A:ACCUM_OFFSET: 14
; COMPUTE_PGM_RSRC3_GFX90A:TG_SPLIT: 0
	.section	.text._ZN2at6native12_GLOBAL__N_135GammaBetaBackwardCUDAKernelTemplateIN3c108BFloat16EfLj64ELj8ELj64ELb0ELb0ELb1EEEvllPKT_S7_PKT0_SA_PS5_SB_,"axG",@progbits,_ZN2at6native12_GLOBAL__N_135GammaBetaBackwardCUDAKernelTemplateIN3c108BFloat16EfLj64ELj8ELj64ELb0ELb0ELb1EEEvllPKT_S7_PKT0_SA_PS5_SB_,comdat
	.globl	_ZN2at6native12_GLOBAL__N_135GammaBetaBackwardCUDAKernelTemplateIN3c108BFloat16EfLj64ELj8ELj64ELb0ELb0ELb1EEEvllPKT_S7_PKT0_SA_PS5_SB_ ; -- Begin function _ZN2at6native12_GLOBAL__N_135GammaBetaBackwardCUDAKernelTemplateIN3c108BFloat16EfLj64ELj8ELj64ELb0ELb0ELb1EEEvllPKT_S7_PKT0_SA_PS5_SB_
	.p2align	8
	.type	_ZN2at6native12_GLOBAL__N_135GammaBetaBackwardCUDAKernelTemplateIN3c108BFloat16EfLj64ELj8ELj64ELb0ELb0ELb1EEEvllPKT_S7_PKT0_SA_PS5_SB_,@function
_ZN2at6native12_GLOBAL__N_135GammaBetaBackwardCUDAKernelTemplateIN3c108BFloat16EfLj64ELj8ELj64ELb0ELb0ELb1EEEvllPKT_S7_PKT0_SA_PS5_SB_: ; @_ZN2at6native12_GLOBAL__N_135GammaBetaBackwardCUDAKernelTemplateIN3c108BFloat16EfLj64ELj8ELj64ELb0ELb0ELb1EEEvllPKT_S7_PKT0_SA_PS5_SB_
; %bb.0:
	s_load_dwordx8 s[12:19], s[4:5], 0x0
	s_load_dwordx2 s[10:11], s[4:5], 0x28
	s_lshl_b32 s33, s6, 6
	s_or_b32 s28, s33, 63
	s_mov_b32 s29, 0
	s_waitcnt lgkmcnt(0)
	v_pk_mov_b32 v[2:3], s[14:15], s[14:15] op_sel:[0,1]
	v_cmp_ge_i64_e32 vcc, s[28:29], v[2:3]
	s_lshl_b32 s28, s7, 6
	v_pk_mov_b32 v[2:3], s[12:13], s[12:13] op_sel:[0,1]
	v_cmp_lt_i64_e64 s[0:1], s[28:29], v[2:3]
	v_cndmask_b32_e64 v1, 0, 1, s[0:1]
	v_cmp_ne_u32_e64 s[0:1], 1, v1
	s_cbranch_vccz .LBB193_49
; %bb.1:
	s_and_b64 vcc, exec, s[0:1]
	v_mov_b32_e32 v2, 0
	s_cbranch_vccnz .LBB193_50
; %bb.2:
	v_and_b32_e32 v59, 0x3ff, v0
	v_bfe_u32 v61, v0, 10, 10
	v_add_u32_e32 v2, s33, v59
	v_mov_b32_e32 v3, 0
	v_lshlrev_b32_e32 v26, 3, v61
	v_cmp_gt_i64_e64 s[2:3], s[14:15], v[2:3]
	v_lshlrev_b64 v[28:29], 1, v[2:3]
	v_mov_b32_e32 v1, s29
	v_add_co_u32_e32 v2, vcc, s28, v26
	v_addc_co_u32_e32 v6, vcc, 0, v1, vcc
	v_add_co_u32_e32 v1, vcc, 7, v2
	v_addc_co_u32_e32 v4, vcc, 0, v6, vcc
	v_mul_lo_u32 v7, s15, v1
	v_mul_lo_u32 v8, s14, v4
	v_mad_u64_u32 v[4:5], s[8:9], s14, v1, 0
	s_load_dword s7, s[4:5], 0x44
	v_add3_u32 v5, v5, v8, v7
	v_lshlrev_b64 v[4:5], 1, v[4:5]
	v_mov_b32_e32 v7, s17
	v_add_co_u32_e32 v30, vcc, s16, v4
	v_addc_co_u32_e32 v1, vcc, v7, v5, vcc
	s_add_u32 s30, s4, 64
	v_mov_b32_e32 v8, s19
	v_add_co_u32_e32 v32, vcc, s18, v4
	s_addc_u32 s31, s5, 0
	s_waitcnt lgkmcnt(0)
	s_lshl_b32 s7, s7, 6
	v_addc_co_u32_e32 v27, vcc, v8, v5, vcc
	s_mul_i32 s8, s15, s7
	s_mul_hi_u32 s9, s14, s7
	v_add_co_u32_e32 v4, vcc, 6, v2
	s_add_i32 s9, s9, s8
	s_mul_i32 s8, s14, s7
	v_addc_co_u32_e32 v5, vcc, 0, v6, vcc
	s_lshl_b64 s[34:35], s[8:9], 1
	v_mul_lo_u32 v9, s15, v4
	v_mul_lo_u32 v10, s14, v5
	v_mad_u64_u32 v[4:5], s[8:9], s14, v4, 0
	v_add3_u32 v5, v5, v10, v9
	v_lshlrev_b64 v[4:5], 1, v[4:5]
	v_add_co_u32_e32 v34, vcc, s16, v4
	v_addc_co_u32_e32 v31, vcc, v7, v5, vcc
	v_add_co_u32_e32 v36, vcc, s18, v4
	v_addc_co_u32_e32 v33, vcc, v8, v5, vcc
	v_add_co_u32_e32 v4, vcc, 5, v2
	v_addc_co_u32_e32 v5, vcc, 0, v6, vcc
	v_mul_lo_u32 v9, s15, v4
	v_mul_lo_u32 v10, s14, v5
	v_mad_u64_u32 v[4:5], s[8:9], s14, v4, 0
	v_add3_u32 v5, v5, v10, v9
	v_lshlrev_b64 v[4:5], 1, v[4:5]
	v_add_co_u32_e32 v38, vcc, s16, v4
	v_addc_co_u32_e32 v35, vcc, v7, v5, vcc
	v_add_co_u32_e32 v40, vcc, s18, v4
	v_addc_co_u32_e32 v37, vcc, v8, v5, vcc
	v_add_co_u32_e32 v4, vcc, 4, v2
	v_addc_co_u32_e32 v5, vcc, 0, v6, vcc
	;; [unrolled: 11-line block ×4, first 2 shown]
	v_mul_lo_u32 v9, s15, v4
	v_mul_lo_u32 v10, s14, v5
	v_mad_u64_u32 v[4:5], s[8:9], s14, v4, 0
	v_add3_u32 v5, v5, v10, v9
	v_lshlrev_b64 v[4:5], 1, v[4:5]
	v_add_co_u32_e32 v50, vcc, s16, v4
	v_addc_co_u32_e32 v47, vcc, v7, v5, vcc
	v_add_co_u32_e32 v52, vcc, s18, v4
	v_addc_co_u32_e32 v49, vcc, v8, v5, vcc
	v_pk_mov_b32 v[4:5], s[14:15], s[14:15] op_sel:[0,1]
	v_mad_u64_u32 v[4:5], s[8:9], s14, v2, v[4:5]
	v_mul_lo_u32 v6, s14, v6
	v_mul_lo_u32 v9, s15, v2
	v_add3_u32 v5, v9, v5, v6
	v_lshlrev_b64 v[4:5], 1, v[4:5]
	v_add_co_u32_e32 v54, vcc, s16, v4
	v_addc_co_u32_e32 v51, vcc, v7, v5, vcc
	v_add_co_u32_e32 v56, vcc, s18, v4
	v_addc_co_u32_e32 v53, vcc, v8, v5, vcc
	v_mad_u64_u32 v[4:5], s[8:9], s14, v2, 0
	v_add3_u32 v5, v5, v6, v9
	v_lshlrev_b64 v[4:5], 1, v[4:5]
	v_add_co_u32_e32 v58, vcc, s16, v4
	v_mbcnt_lo_u32_b32 v2, -1, 0
	v_addc_co_u32_e32 v55, vcc, v7, v5, vcc
	v_mbcnt_hi_u32_b32 v2, -1, v2
	s_add_u32 s36, s28, 63
	v_add_co_u32_e32 v60, vcc, s18, v4
	v_lshlrev_b32_e32 v2, 2, v2
	s_mov_b32 s20, 0
	s_addc_u32 s37, 0, 0
	v_addc_co_u32_e32 v57, vcc, v8, v5, vcc
	v_and_b32_e32 v62, 0x100, v2
	s_mov_b64 s[38:39], s[28:29]
	v_mov_b32_e32 v63, 0
.LBB193_3:                              ; =>This Inner Loop Header: Depth=1
	v_pk_mov_b32 v[4:5], s[12:13], s[12:13] op_sel:[0,1]
	v_cmp_ge_i64_e32 vcc, s[36:37], v[4:5]
	v_mov_b32_e32 v2, s37
	v_add_co_u32_e64 v64, s[8:9], s36, v26
	v_addc_co_u32_e64 v65, s[8:9], 0, v2, s[8:9]
	s_cbranch_vccz .LBB193_25
; %bb.4:                                ;   in Loop: Header=BB193_3 Depth=1
	s_load_dword s8, s[30:31], 0xc
	v_mov_b32_e32 v66, 0
	s_waitcnt lgkmcnt(0)
	s_and_b32 s8, s8, 0xffff
	v_mad_u32_u24 v2, v61, s8, v59
	v_and_b32_e32 v2, 63, v2
	v_cmp_gt_u32_e32 vcc, 8, v2
	s_and_saveexec_b64 s[8:9], vcc
	s_cbranch_execz .LBB193_8
; %bb.5:                                ;   in Loop: Header=BB193_3 Depth=1
	v_add_co_u32_e32 v2, vcc, v64, v2
	v_addc_co_u32_e32 v5, vcc, 0, v65, vcc
	v_add_co_u32_e32 v4, vcc, 0xffffffc1, v2
	v_addc_co_u32_e32 v5, vcc, -1, v5, vcc
	v_cmp_gt_i64_e32 vcc, s[12:13], v[4:5]
	v_mov_b32_e32 v66, 0
	s_and_saveexec_b64 s[22:23], vcc
	s_cbranch_execz .LBB193_7
; %bb.6:                                ;   in Loop: Header=BB193_3 Depth=1
	v_lshlrev_b64 v[4:5], 2, v[4:5]
	v_mov_b32_e32 v2, s11
	v_add_co_u32_e32 v4, vcc, s10, v4
	v_addc_co_u32_e32 v5, vcc, v2, v5, vcc
	global_load_dword v66, v[4:5], off
.LBB193_7:                              ;   in Loop: Header=BB193_3 Depth=1
	s_or_b64 exec, exec, s[22:23]
.LBB193_8:                              ;   in Loop: Header=BB193_3 Depth=1
	s_or_b64 exec, exec, s[8:9]
	s_mov_b32 s21, s20
	v_add_co_u32_e32 v4, vcc, 0xffffffc1, v64
	s_mov_b32 s22, s20
	s_mov_b32 s23, s20
	;; [unrolled: 1-line block ×6, first 2 shown]
	v_pk_mov_b32 v[10:11], s[20:21], s[20:21] op_sel:[0,1]
	v_addc_co_u32_e32 v5, vcc, -1, v65, vcc
	v_pk_mov_b32 v[16:17], s[26:27], s[26:27] op_sel:[0,1]
	v_cmp_gt_i64_e32 vcc, s[12:13], v[4:5]
	v_pk_mov_b32 v[12:13], s[22:23], s[22:23] op_sel:[0,1]
	v_pk_mov_b32 v[14:15], s[24:25], s[24:25] op_sel:[0,1]
	;; [unrolled: 1-line block ×3, first 2 shown]
	s_and_b64 s[40:41], s[2:3], vcc
	v_pk_mov_b32 v[22:23], v[14:15], v[14:15] op_sel:[0,1]
	v_pk_mov_b32 v[20:21], v[12:13], v[12:13] op_sel:[0,1]
	;; [unrolled: 1-line block ×3, first 2 shown]
	s_and_saveexec_b64 s[8:9], s[40:41]
	s_cbranch_execz .LBB193_10
; %bb.9:                                ;   in Loop: Header=BB193_3 Depth=1
	v_add_co_u32_e32 v4, vcc, v58, v28
	v_addc_co_u32_e32 v5, vcc, v55, v29, vcc
	global_load_ushort v2, v[4:5], off
	v_add_co_u32_e32 v4, vcc, v60, v28
	v_addc_co_u32_e32 v5, vcc, v57, v29, vcc
	global_load_ushort v10, v[4:5], off
	v_mov_b32_e32 v8, v3
	v_mov_b32_e32 v9, v3
	;; [unrolled: 1-line block ×13, first 2 shown]
	s_waitcnt vmcnt(1)
	v_lshlrev_b32_e32 v2, 16, v2
	v_pk_mov_b32 v[24:25], v[8:9], v[8:9] op_sel:[0,1]
	v_pk_mov_b32 v[22:23], v[6:7], v[6:7] op_sel:[0,1]
	;; [unrolled: 1-line block ×4, first 2 shown]
	s_waitcnt vmcnt(0)
	v_lshlrev_b32_e32 v10, 16, v10
.LBB193_10:                             ;   in Loop: Header=BB193_3 Depth=1
	s_or_b64 exec, exec, s[8:9]
	v_add_co_u32_e32 v4, vcc, 0xffffffc2, v64
	v_addc_co_u32_e32 v5, vcc, -1, v65, vcc
	v_cmp_gt_i64_e32 vcc, s[12:13], v[4:5]
	s_and_b64 s[22:23], s[2:3], vcc
	s_and_saveexec_b64 s[8:9], s[22:23]
	s_cbranch_execz .LBB193_12
; %bb.11:                               ;   in Loop: Header=BB193_3 Depth=1
	v_add_co_u32_e32 v4, vcc, v54, v28
	v_addc_co_u32_e32 v5, vcc, v51, v29, vcc
	global_load_ushort v2, v[4:5], off
	v_add_co_u32_e32 v4, vcc, v56, v28
	v_addc_co_u32_e32 v5, vcc, v53, v29, vcc
	global_load_ushort v4, v[4:5], off
	s_waitcnt vmcnt(1)
	v_lshlrev_b32_e32 v19, 16, v2
	s_waitcnt vmcnt(0)
	v_lshlrev_b32_e32 v11, 16, v4
.LBB193_12:                             ;   in Loop: Header=BB193_3 Depth=1
	s_or_b64 exec, exec, s[8:9]
	v_add_co_u32_e32 v4, vcc, 0xffffffc3, v64
	v_addc_co_u32_e32 v5, vcc, -1, v65, vcc
	v_cmp_gt_i64_e32 vcc, s[12:13], v[4:5]
	s_and_b64 s[22:23], s[2:3], vcc
	s_and_saveexec_b64 s[8:9], s[22:23]
	s_cbranch_execz .LBB193_14
; %bb.13:                               ;   in Loop: Header=BB193_3 Depth=1
	v_add_co_u32_e32 v4, vcc, v50, v28
	v_addc_co_u32_e32 v5, vcc, v47, v29, vcc
	global_load_ushort v2, v[4:5], off
	v_add_co_u32_e32 v4, vcc, v52, v28
	v_addc_co_u32_e32 v5, vcc, v49, v29, vcc
	global_load_ushort v4, v[4:5], off
	s_waitcnt vmcnt(1)
	v_lshlrev_b32_e32 v20, 16, v2
	s_waitcnt vmcnt(0)
	v_lshlrev_b32_e32 v12, 16, v4
.LBB193_14:                             ;   in Loop: Header=BB193_3 Depth=1
	;; [unrolled: 19-line block ×7, first 2 shown]
	s_or_b64 exec, exec, s[8:9]
	s_waitcnt vmcnt(0)
	ds_bpermute_b32 v4, v62, v66 offset:4
	ds_bpermute_b32 v5, v62, v66 offset:8
	ds_bpermute_b32 v2, v62, v66
	v_mul_f32_e32 v8, v10, v18
	v_pk_mul_f32 v[10:11], v[10:11], v[18:19]
	v_pk_mul_f32 v[12:13], v[12:13], v[20:21]
	v_mov_b32_e32 v10, v11
	v_mov_b32_e32 v11, v12
	s_waitcnt lgkmcnt(1)
	v_pk_mul_f32 v[4:5], v[10:11], v[4:5]
	ds_bpermute_b32 v10, v62, v66 offset:12
	ds_bpermute_b32 v11, v62, v66 offset:16
	s_waitcnt lgkmcnt(2)
	v_fma_f32 v2, v8, v2, v63
	v_pk_mul_f32 v[8:9], v[14:15], v[22:23]
	v_add_f32_e32 v2, v2, v4
	v_add_f32_e32 v2, v2, v5
	v_mov_b32_e32 v4, v13
	v_mov_b32_e32 v5, v8
	s_waitcnt lgkmcnt(0)
	v_pk_mul_f32 v[4:5], v[4:5], v[10:11]
	ds_bpermute_b32 v10, v62, v66 offset:20
	ds_bpermute_b32 v11, v62, v66 offset:24
	v_pk_mul_f32 v[6:7], v[16:17], v[24:25]
	v_add_f32_e32 v2, v2, v4
	ds_bpermute_b32 v4, v62, v66 offset:28
	v_mov_b32_e32 v8, v9
	v_mov_b32_e32 v9, v6
	v_add_f32_e32 v2, v2, v5
	s_waitcnt lgkmcnt(1)
	v_pk_mul_f32 v[6:7], v[8:9], v[10:11]
	v_add_f32_e32 v2, v2, v6
	v_add_f32_e32 v2, v2, v7
	s_branch .LBB193_40
.LBB193_25:                             ;   in Loop: Header=BB193_3 Depth=1
                                        ; implicit-def: $vgpr2
                                        ; implicit-def: $vgpr10_vgpr11_vgpr12_vgpr13_vgpr14_vgpr15_vgpr16_vgpr17
                                        ; implicit-def: $vgpr18_vgpr19_vgpr20_vgpr21_vgpr22_vgpr23_vgpr24_vgpr25
                                        ; implicit-def: $vgpr4
	s_cbranch_execz .LBB193_40
; %bb.26:                               ;   in Loop: Header=BB193_3 Depth=1
	s_load_dword s8, s[30:31], 0x0
	v_mov_b32_e32 v66, 0
	s_waitcnt lgkmcnt(0)
	s_cmp_lt_u32 s6, s8
	s_cselect_b32 s8, 12, 18
	s_add_u32 s8, s30, s8
	s_addc_u32 s9, s31, 0
	global_load_ushort v2, v3, s[8:9]
	s_waitcnt vmcnt(0)
	v_mad_u32_u24 v2, v61, v2, v59
	v_and_b32_e32 v2, 63, v2
	v_cmp_gt_u32_e32 vcc, 8, v2
	s_and_saveexec_b64 s[8:9], vcc
	s_cbranch_execz .LBB193_30
; %bb.27:                               ;   in Loop: Header=BB193_3 Depth=1
	v_add_co_u32_e32 v2, vcc, v64, v2
	v_addc_co_u32_e32 v5, vcc, 0, v65, vcc
	v_add_co_u32_e32 v4, vcc, 0xffffffc1, v2
	v_addc_co_u32_e32 v5, vcc, -1, v5, vcc
	v_cmp_gt_i64_e32 vcc, s[12:13], v[4:5]
	v_mov_b32_e32 v66, 0
	s_and_saveexec_b64 s[22:23], vcc
	s_cbranch_execz .LBB193_29
; %bb.28:                               ;   in Loop: Header=BB193_3 Depth=1
	v_lshlrev_b64 v[4:5], 2, v[4:5]
	v_mov_b32_e32 v2, s11
	v_add_co_u32_e32 v4, vcc, s10, v4
	v_addc_co_u32_e32 v5, vcc, v2, v5, vcc
	global_load_dword v66, v[4:5], off
.LBB193_29:                             ;   in Loop: Header=BB193_3 Depth=1
	s_or_b64 exec, exec, s[22:23]
.LBB193_30:                             ;   in Loop: Header=BB193_3 Depth=1
	s_or_b64 exec, exec, s[8:9]
	s_mov_b32 s21, s20
	s_mov_b32 s22, s20
	;; [unrolled: 1-line block ×7, first 2 shown]
	v_pk_mov_b32 v[10:11], s[20:21], s[20:21] op_sel:[0,1]
	v_pk_mov_b32 v[16:17], s[26:27], s[26:27] op_sel:[0,1]
	;; [unrolled: 1-line block ×8, first 2 shown]
	s_and_saveexec_b64 s[8:9], s[2:3]
	s_cbranch_execnz .LBB193_42
; %bb.31:                               ;   in Loop: Header=BB193_3 Depth=1
	s_or_b64 exec, exec, s[8:9]
	s_and_saveexec_b64 s[8:9], s[2:3]
	s_cbranch_execnz .LBB193_43
.LBB193_32:                             ;   in Loop: Header=BB193_3 Depth=1
	s_or_b64 exec, exec, s[8:9]
	s_and_saveexec_b64 s[8:9], s[2:3]
	s_cbranch_execnz .LBB193_44
.LBB193_33:                             ;   in Loop: Header=BB193_3 Depth=1
	s_or_b64 exec, exec, s[8:9]
	s_and_saveexec_b64 s[8:9], s[2:3]
	s_cbranch_execnz .LBB193_45
.LBB193_34:                             ;   in Loop: Header=BB193_3 Depth=1
	s_or_b64 exec, exec, s[8:9]
	s_and_saveexec_b64 s[8:9], s[2:3]
	s_cbranch_execnz .LBB193_46
.LBB193_35:                             ;   in Loop: Header=BB193_3 Depth=1
	s_or_b64 exec, exec, s[8:9]
	s_and_saveexec_b64 s[8:9], s[2:3]
	s_cbranch_execnz .LBB193_47
.LBB193_36:                             ;   in Loop: Header=BB193_3 Depth=1
	s_or_b64 exec, exec, s[8:9]
	s_and_saveexec_b64 s[8:9], s[2:3]
	s_cbranch_execnz .LBB193_48
.LBB193_37:                             ;   in Loop: Header=BB193_3 Depth=1
	s_or_b64 exec, exec, s[8:9]
	s_and_saveexec_b64 s[8:9], s[2:3]
	s_cbranch_execz .LBB193_39
.LBB193_38:                             ;   in Loop: Header=BB193_3 Depth=1
	v_add_co_u32_e32 v4, vcc, v30, v28
	v_addc_co_u32_e32 v5, vcc, v1, v29, vcc
	global_load_ushort v2, v[4:5], off
	v_add_co_u32_e32 v4, vcc, v32, v28
	v_addc_co_u32_e32 v5, vcc, v27, v29, vcc
	global_load_ushort v4, v[4:5], off
	s_waitcnt vmcnt(1)
	v_lshlrev_b32_e32 v25, 16, v2
	s_waitcnt vmcnt(0)
	v_lshlrev_b32_e32 v17, 16, v4
.LBB193_39:                             ;   in Loop: Header=BB193_3 Depth=1
	s_or_b64 exec, exec, s[8:9]
	s_waitcnt vmcnt(0)
	ds_bpermute_b32 v4, v62, v66 offset:4
	ds_bpermute_b32 v5, v62, v66 offset:8
	ds_bpermute_b32 v2, v62, v66
	v_mul_f32_e32 v8, v10, v18
	v_pk_mul_f32 v[10:11], v[10:11], v[18:19]
	v_pk_mul_f32 v[12:13], v[12:13], v[20:21]
	v_mov_b32_e32 v10, v11
	v_mov_b32_e32 v11, v12
	s_waitcnt lgkmcnt(1)
	v_pk_mul_f32 v[4:5], v[10:11], v[4:5]
	ds_bpermute_b32 v10, v62, v66 offset:12
	ds_bpermute_b32 v11, v62, v66 offset:16
	s_waitcnt lgkmcnt(2)
	v_fmac_f32_e32 v63, v8, v2
	v_pk_mul_f32 v[8:9], v[14:15], v[22:23]
	v_add_f32_e32 v2, v63, v4
	v_add_f32_e32 v2, v2, v5
	v_mov_b32_e32 v4, v13
	v_mov_b32_e32 v5, v8
	s_waitcnt lgkmcnt(0)
	v_pk_mul_f32 v[4:5], v[4:5], v[10:11]
	ds_bpermute_b32 v10, v62, v66 offset:20
	ds_bpermute_b32 v11, v62, v66 offset:24
	v_pk_mul_f32 v[6:7], v[16:17], v[24:25]
	v_add_f32_e32 v2, v2, v4
	v_mov_b32_e32 v8, v9
	v_mov_b32_e32 v9, v6
	v_add_f32_e32 v2, v2, v5
	s_waitcnt lgkmcnt(0)
	v_pk_mul_f32 v[6:7], v[8:9], v[10:11]
	v_add_f32_e32 v2, v2, v6
	ds_bpermute_b32 v4, v62, v66 offset:28
	v_add_f32_e32 v2, v2, v7
.LBB193_40:                             ;   in Loop: Header=BB193_3 Depth=1
	v_mul_f32_e32 v5, v25, v17
	s_waitcnt lgkmcnt(0)
	v_fmac_f32_e32 v2, v5, v4
	v_mov_b32_e32 v4, s35
	v_add_co_u32_e32 v30, vcc, s34, v30
	v_addc_co_u32_e32 v1, vcc, v1, v4, vcc
	v_add_co_u32_e32 v32, vcc, s34, v32
	v_addc_co_u32_e32 v27, vcc, v27, v4, vcc
	;; [unrolled: 2-line block ×15, first 2 shown]
	s_add_u32 s38, s38, s7
	v_add_co_u32_e32 v60, vcc, s34, v60
	s_addc_u32 s39, s39, 0
	v_addc_co_u32_e32 v57, vcc, v57, v4, vcc
	v_pk_mov_b32 v[4:5], s[12:13], s[12:13] op_sel:[0,1]
	s_add_u32 s36, s36, s7
	v_cmp_lt_i64_e32 vcc, s[38:39], v[4:5]
	s_addc_u32 s37, s37, 0
	s_cbranch_vccz .LBB193_50
; %bb.41:                               ;   in Loop: Header=BB193_3 Depth=1
	v_mov_b32_e32 v63, v2
	s_branch .LBB193_3
.LBB193_42:                             ;   in Loop: Header=BB193_3 Depth=1
	v_add_co_u32_e32 v4, vcc, v58, v28
	v_addc_co_u32_e32 v5, vcc, v55, v29, vcc
	global_load_ushort v2, v[4:5], off
	v_add_co_u32_e32 v4, vcc, v60, v28
	v_addc_co_u32_e32 v5, vcc, v57, v29, vcc
	global_load_ushort v10, v[4:5], off
	v_mov_b32_e32 v8, v3
	v_mov_b32_e32 v9, v3
	;; [unrolled: 1-line block ×13, first 2 shown]
	s_waitcnt vmcnt(1)
	v_lshlrev_b32_e32 v2, 16, v2
	v_pk_mov_b32 v[24:25], v[8:9], v[8:9] op_sel:[0,1]
	v_pk_mov_b32 v[22:23], v[6:7], v[6:7] op_sel:[0,1]
	;; [unrolled: 1-line block ×4, first 2 shown]
	s_waitcnt vmcnt(0)
	v_lshlrev_b32_e32 v10, 16, v10
	s_or_b64 exec, exec, s[8:9]
	s_and_saveexec_b64 s[8:9], s[2:3]
	s_cbranch_execz .LBB193_32
.LBB193_43:                             ;   in Loop: Header=BB193_3 Depth=1
	v_add_co_u32_e32 v4, vcc, v54, v28
	v_addc_co_u32_e32 v5, vcc, v51, v29, vcc
	global_load_ushort v2, v[4:5], off
	v_add_co_u32_e32 v4, vcc, v56, v28
	v_addc_co_u32_e32 v5, vcc, v53, v29, vcc
	global_load_ushort v4, v[4:5], off
	s_waitcnt vmcnt(1)
	v_lshlrev_b32_e32 v19, 16, v2
	s_waitcnt vmcnt(0)
	v_lshlrev_b32_e32 v11, 16, v4
	s_or_b64 exec, exec, s[8:9]
	s_and_saveexec_b64 s[8:9], s[2:3]
	s_cbranch_execz .LBB193_33
.LBB193_44:                             ;   in Loop: Header=BB193_3 Depth=1
	v_add_co_u32_e32 v4, vcc, v50, v28
	v_addc_co_u32_e32 v5, vcc, v47, v29, vcc
	global_load_ushort v2, v[4:5], off
	v_add_co_u32_e32 v4, vcc, v52, v28
	v_addc_co_u32_e32 v5, vcc, v49, v29, vcc
	global_load_ushort v4, v[4:5], off
	s_waitcnt vmcnt(1)
	v_lshlrev_b32_e32 v20, 16, v2
	s_waitcnt vmcnt(0)
	v_lshlrev_b32_e32 v12, 16, v4
	s_or_b64 exec, exec, s[8:9]
	s_and_saveexec_b64 s[8:9], s[2:3]
	s_cbranch_execz .LBB193_34
.LBB193_45:                             ;   in Loop: Header=BB193_3 Depth=1
	v_add_co_u32_e32 v4, vcc, v46, v28
	v_addc_co_u32_e32 v5, vcc, v43, v29, vcc
	global_load_ushort v2, v[4:5], off
	v_add_co_u32_e32 v4, vcc, v48, v28
	v_addc_co_u32_e32 v5, vcc, v45, v29, vcc
	global_load_ushort v4, v[4:5], off
	s_waitcnt vmcnt(1)
	v_lshlrev_b32_e32 v21, 16, v2
	s_waitcnt vmcnt(0)
	v_lshlrev_b32_e32 v13, 16, v4
	s_or_b64 exec, exec, s[8:9]
	s_and_saveexec_b64 s[8:9], s[2:3]
	s_cbranch_execz .LBB193_35
.LBB193_46:                             ;   in Loop: Header=BB193_3 Depth=1
	v_add_co_u32_e32 v4, vcc, v42, v28
	v_addc_co_u32_e32 v5, vcc, v39, v29, vcc
	global_load_ushort v2, v[4:5], off
	v_add_co_u32_e32 v4, vcc, v44, v28
	v_addc_co_u32_e32 v5, vcc, v41, v29, vcc
	global_load_ushort v4, v[4:5], off
	s_waitcnt vmcnt(1)
	v_lshlrev_b32_e32 v22, 16, v2
	s_waitcnt vmcnt(0)
	v_lshlrev_b32_e32 v14, 16, v4
	s_or_b64 exec, exec, s[8:9]
	s_and_saveexec_b64 s[8:9], s[2:3]
	s_cbranch_execz .LBB193_36
.LBB193_47:                             ;   in Loop: Header=BB193_3 Depth=1
	v_add_co_u32_e32 v4, vcc, v38, v28
	v_addc_co_u32_e32 v5, vcc, v35, v29, vcc
	global_load_ushort v2, v[4:5], off
	v_add_co_u32_e32 v4, vcc, v40, v28
	v_addc_co_u32_e32 v5, vcc, v37, v29, vcc
	global_load_ushort v4, v[4:5], off
	s_waitcnt vmcnt(1)
	v_lshlrev_b32_e32 v23, 16, v2
	s_waitcnt vmcnt(0)
	v_lshlrev_b32_e32 v15, 16, v4
	s_or_b64 exec, exec, s[8:9]
	s_and_saveexec_b64 s[8:9], s[2:3]
	s_cbranch_execz .LBB193_37
.LBB193_48:                             ;   in Loop: Header=BB193_3 Depth=1
	v_add_co_u32_e32 v4, vcc, v34, v28
	v_addc_co_u32_e32 v5, vcc, v31, v29, vcc
	global_load_ushort v2, v[4:5], off
	v_add_co_u32_e32 v4, vcc, v36, v28
	v_addc_co_u32_e32 v5, vcc, v33, v29, vcc
	global_load_ushort v4, v[4:5], off
	s_waitcnt vmcnt(1)
	v_lshlrev_b32_e32 v24, 16, v2
	s_waitcnt vmcnt(0)
	v_lshlrev_b32_e32 v16, 16, v4
	s_or_b64 exec, exec, s[8:9]
	s_and_saveexec_b64 s[8:9], s[2:3]
	s_cbranch_execnz .LBB193_38
	s_branch .LBB193_39
.LBB193_49:
                                        ; implicit-def: $vgpr2
	s_branch .LBB193_51
.LBB193_50:
	s_cbranch_execnz .LBB193_83
.LBB193_51:
	s_and_b64 vcc, exec, s[0:1]
	v_mov_b32_e32 v2, 0
	s_cbranch_vccnz .LBB193_83
; %bb.52:
	s_load_dword s0, s[4:5], 0x44
	s_add_u32 s2, s4, 64
	s_addc_u32 s3, s5, 0
	v_bfe_u32 v85, v0, 10, 10
	v_lshlrev_b32_e32 v1, 4, v85
	s_waitcnt lgkmcnt(0)
	s_lshl_b32 s7, s0, 6
	s_add_u32 s8, s28, 63
	s_addc_u32 s9, 0, 0
	s_lshl_b64 s[0:1], s[28:29], 1
	v_mov_b32_e32 v2, s1
	v_add_co_u32_e32 v1, vcc, s0, v1
	v_addc_co_u32_e32 v4, vcc, 0, v2, vcc
	v_add_co_u32_e32 v6, vcc, 2, v1
	v_addc_co_u32_e32 v5, vcc, 0, v4, vcc
	v_add_co_u32_e32 v9, vcc, 4, v1
	v_mul_lo_u32 v7, s14, v5
	v_addc_co_u32_e32 v5, vcc, 0, v4, vcc
	v_add_co_u32_e32 v12, vcc, 6, v1
	v_mul_lo_u32 v10, s14, v5
	;; [unrolled: 3-line block ×5, first 2 shown]
	v_addc_co_u32_e32 v5, vcc, 0, v4, vcc
	v_add_co_u32_e32 v24, vcc, 14, v1
	v_lshlrev_b32_e32 v26, 3, v85
	v_addc_co_u32_e32 v1, vcc, 0, v4, vcc
	v_mul_lo_u32 v25, s14, v1
	v_mov_b32_e32 v1, s29
	v_add_co_u32_e32 v43, vcc, s28, v26
	v_pk_mov_b32 v[2:3], s[16:17], s[16:17] op_sel:[0,1]
	v_addc_co_u32_e32 v59, vcc, 0, v1, vcc
	v_mad_u64_u32 v[28:29], s[0:1], s14, v6, v[2:3]
	v_mad_u64_u32 v[30:31], s[0:1], s14, v9, v[2:3]
	;; [unrolled: 1-line block ×7, first 2 shown]
	v_mul_lo_u32 v60, s15, v43
	v_mul_lo_u32 v61, s14, v59
	v_mad_u64_u32 v[2:3], s[0:1], s14, v43, 0
	v_add3_u32 v3, v3, v61, v60
	v_lshlrev_b64 v[2:3], 1, v[2:3]
	v_mul_lo_u32 v22, s14, v5
	v_mov_b32_e32 v81, s17
	v_add_co_u32_e32 v42, vcc, s16, v2
	v_pk_mov_b32 v[4:5], s[18:19], s[18:19] op_sel:[0,1]
	v_mul_lo_u32 v17, s15, v15
	v_addc_co_u32_e32 v1, vcc, v81, v3, vcc
	v_mad_u64_u32 v[50:51], s[0:1], s14, v15, v[4:5]
	v_add3_u32 v35, v17, v35, v16
	v_mul_lo_u32 v27, s15, v24
	v_add3_u32 v51, v17, v51, v16
	v_mad_u64_u32 v[56:57], s[0:1], s14, v24, v[4:5]
	v_mov_b32_e32 v16, s19
	v_add_co_u32_e32 v58, vcc, s18, v2
	v_add3_u32 v41, v27, v41, v25
	v_add3_u32 v57, v27, v57, v25
	v_addc_co_u32_e32 v27, vcc, v16, v3, vcc
	v_add_co_u32_e32 v2, vcc, 7, v43
	v_addc_co_u32_e32 v3, vcc, 0, v59, vcc
	v_mad_u64_u32 v[44:45], s[0:1], s14, v6, v[4:5]
	v_mad_u64_u32 v[46:47], s[0:1], s14, v9, v[4:5]
	;; [unrolled: 1-line block ×5, first 2 shown]
	v_mul_lo_u32 v4, s15, v2
	v_mul_lo_u32 v5, s14, v3
	v_mad_u64_u32 v[2:3], s[0:1], s14, v2, 0
	v_add3_u32 v3, v3, v5, v4
	v_add_co_u32_e32 v4, vcc, 6, v43
	v_mul_lo_u32 v8, s15, v6
	v_addc_co_u32_e32 v5, vcc, 0, v59, vcc
	v_add3_u32 v29, v8, v29, v7
	v_add3_u32 v45, v8, v45, v7
	v_mul_lo_u32 v6, s15, v4
	v_mul_lo_u32 v7, s14, v5
	v_mad_u64_u32 v[4:5], s[0:1], s14, v4, 0
	v_add3_u32 v5, v5, v7, v6
	v_add_co_u32_e32 v6, vcc, 5, v43
	v_addc_co_u32_e32 v7, vcc, 0, v59, vcc
	v_mul_lo_u32 v11, s15, v9
	v_mul_lo_u32 v8, s15, v6
	;; [unrolled: 1-line block ×3, first 2 shown]
	v_mad_u64_u32 v[6:7], s[0:1], s14, v6, 0
	v_add3_u32 v7, v7, v9, v8
	v_add_co_u32_e32 v8, vcc, 4, v43
	v_addc_co_u32_e32 v9, vcc, 0, v59, vcc
	v_add3_u32 v31, v11, v31, v10
	v_add3_u32 v47, v11, v47, v10
	v_mul_lo_u32 v10, s15, v8
	v_mul_lo_u32 v11, s14, v9
	v_mad_u64_u32 v[8:9], s[0:1], s14, v8, 0
	v_add3_u32 v9, v9, v11, v10
	v_add_co_u32_e32 v10, vcc, 3, v43
	v_mul_lo_u32 v14, s15, v12
	v_addc_co_u32_e32 v11, vcc, 0, v59, vcc
	v_add3_u32 v33, v14, v33, v13
	v_add3_u32 v49, v14, v49, v13
	v_mul_lo_u32 v12, s15, v10
	v_mul_lo_u32 v13, s14, v11
	v_mad_u64_u32 v[10:11], s[0:1], s14, v10, 0
	v_add3_u32 v11, v11, v13, v12
	v_add_co_u32_e32 v12, vcc, 2, v43
	v_addc_co_u32_e32 v13, vcc, 0, v59, vcc
	v_mul_lo_u32 v14, s15, v12
	v_mul_lo_u32 v15, s14, v13
	v_mad_u64_u32 v[12:13], s[0:1], s14, v12, 0
	v_add3_u32 v13, v13, v15, v14
	v_pk_mov_b32 v[14:15], s[14:15], s[14:15] op_sel:[0,1]
	v_lshlrev_b64 v[2:3], 1, v[2:3]
	v_mad_u64_u32 v[14:15], s[0:1], s14, v43, v[14:15]
	v_add3_u32 v15, v60, v15, v61
	v_add_co_u32_e32 v60, vcc, s16, v2
	v_addc_co_u32_e32 v43, vcc, v81, v3, vcc
	v_add_co_u32_e32 v62, vcc, s18, v2
	v_addc_co_u32_e32 v59, vcc, v16, v3, vcc
	v_lshlrev_b64 v[2:3], 1, v[4:5]
	v_add_co_u32_e32 v64, vcc, s16, v2
	v_addc_co_u32_e32 v61, vcc, v81, v3, vcc
	v_add_co_u32_e32 v66, vcc, s18, v2
	v_addc_co_u32_e32 v63, vcc, v16, v3, vcc
	v_lshlrev_b64 v[2:3], 1, v[6:7]
	;; [unrolled: 5-line block ×6, first 2 shown]
	v_add_co_u32_e32 v84, vcc, s16, v2
	v_addc_co_u32_e32 v81, vcc, v81, v3, vcc
	v_mbcnt_lo_u32_b32 v4, -1, 0
	v_add_co_u32_e32 v86, vcc, s18, v2
	v_and_b32_e32 v87, 0x3ff, v0
	s_mul_i32 s0, s15, s7
	s_mul_hi_u32 s1, s14, s7
	v_mbcnt_hi_u32_b32 v4, -1, v4
	v_mul_lo_u32 v20, s15, v18
	v_mul_lo_u32 v23, s15, v21
	v_addc_co_u32_e32 v83, vcc, v16, v3, vcc
	v_add_u32_e32 v2, s33, v87
	v_mov_b32_e32 v3, 0
	s_add_i32 s1, s1, s0
	s_mul_i32 s0, s14, s7
	v_lshlrev_b32_e32 v4, 2, v4
	v_add3_u32 v37, v20, v37, v19
	v_add3_u32 v39, v23, v39, v22
	;; [unrolled: 1-line block ×4, first 2 shown]
	s_mov_b32 s16, 0
	s_lshl_b64 s[24:25], s[0:1], 1
	v_and_b32_e32 v90, 0x100, v4
	v_mov_b32_e32 v91, 0
	v_lshlrev_b64 v[88:89], 1, v[2:3]
.LBB193_53:                             ; =>This Inner Loop Header: Depth=1
	v_pk_mov_b32 v[4:5], s[12:13], s[12:13] op_sel:[0,1]
	v_cmp_ge_i64_e32 vcc, s[8:9], v[4:5]
	v_mov_b32_e32 v2, s9
	v_add_co_u32_e64 v92, s[0:1], s8, v26
	v_addc_co_u32_e64 v93, s[0:1], 0, v2, s[0:1]
	s_cbranch_vccz .LBB193_75
; %bb.54:                               ;   in Loop: Header=BB193_53 Depth=1
	s_load_dword s0, s[2:3], 0xc
	v_mov_b32_e32 v94, 0
	s_waitcnt lgkmcnt(0)
	s_and_b32 s0, s0, 0xffff
	v_mad_u32_u24 v2, v85, s0, v87
	v_and_b32_e32 v2, 63, v2
	v_cmp_gt_u32_e32 vcc, 8, v2
	s_and_saveexec_b64 s[0:1], vcc
	s_cbranch_execz .LBB193_58
; %bb.55:                               ;   in Loop: Header=BB193_53 Depth=1
	v_add_co_u32_e32 v2, vcc, v92, v2
	v_addc_co_u32_e32 v5, vcc, 0, v93, vcc
	v_add_co_u32_e32 v4, vcc, 0xffffffc1, v2
	v_addc_co_u32_e32 v5, vcc, -1, v5, vcc
	v_cmp_gt_i64_e32 vcc, s[12:13], v[4:5]
	v_mov_b32_e32 v94, 0
	s_and_saveexec_b64 s[18:19], vcc
	s_cbranch_execz .LBB193_57
; %bb.56:                               ;   in Loop: Header=BB193_53 Depth=1
	v_lshlrev_b64 v[4:5], 2, v[4:5]
	v_mov_b32_e32 v2, s11
	v_add_co_u32_e32 v4, vcc, s10, v4
	v_addc_co_u32_e32 v5, vcc, v2, v5, vcc
	global_load_dword v94, v[4:5], off
.LBB193_57:                             ;   in Loop: Header=BB193_53 Depth=1
	s_or_b64 exec, exec, s[18:19]
.LBB193_58:                             ;   in Loop: Header=BB193_53 Depth=1
	s_or_b64 exec, exec, s[0:1]
	s_mov_b32 s17, s16
	s_mov_b32 s18, s16
	;; [unrolled: 1-line block ×7, first 2 shown]
	v_pk_mov_b32 v[10:11], s[16:17], s[16:17] op_sel:[0,1]
	v_add_co_u32_e32 v4, vcc, 0xffffffc1, v92
	v_pk_mov_b32 v[16:17], s[22:23], s[22:23] op_sel:[0,1]
	v_addc_co_u32_e32 v5, vcc, -1, v93, vcc
	v_pk_mov_b32 v[12:13], s[18:19], s[18:19] op_sel:[0,1]
	v_pk_mov_b32 v[14:15], s[20:21], s[20:21] op_sel:[0,1]
	;; [unrolled: 1-line block ×3, first 2 shown]
	v_cmp_gt_i64_e32 vcc, s[12:13], v[4:5]
	v_pk_mov_b32 v[22:23], v[14:15], v[14:15] op_sel:[0,1]
	v_pk_mov_b32 v[20:21], v[12:13], v[12:13] op_sel:[0,1]
	;; [unrolled: 1-line block ×3, first 2 shown]
	s_and_saveexec_b64 s[0:1], vcc
	s_cbranch_execz .LBB193_60
; %bb.59:                               ;   in Loop: Header=BB193_53 Depth=1
	v_add_co_u32_e32 v4, vcc, v42, v88
	v_addc_co_u32_e32 v5, vcc, v1, v89, vcc
	global_load_ushort v2, v[4:5], off
	v_add_co_u32_e32 v4, vcc, v58, v88
	v_addc_co_u32_e32 v5, vcc, v27, v89, vcc
	global_load_ushort v10, v[4:5], off
	v_mov_b32_e32 v8, v3
	v_mov_b32_e32 v9, v3
	;; [unrolled: 1-line block ×13, first 2 shown]
	s_waitcnt vmcnt(1)
	v_lshlrev_b32_e32 v2, 16, v2
	v_pk_mov_b32 v[24:25], v[8:9], v[8:9] op_sel:[0,1]
	v_pk_mov_b32 v[22:23], v[6:7], v[6:7] op_sel:[0,1]
	v_pk_mov_b32 v[20:21], v[4:5], v[4:5] op_sel:[0,1]
	v_pk_mov_b32 v[18:19], v[2:3], v[2:3] op_sel:[0,1]
	s_waitcnt vmcnt(0)
	v_lshlrev_b32_e32 v10, 16, v10
.LBB193_60:                             ;   in Loop: Header=BB193_53 Depth=1
	s_or_b64 exec, exec, s[0:1]
	v_add_co_u32_e32 v4, vcc, 0xffffffc2, v92
	v_addc_co_u32_e32 v5, vcc, -1, v93, vcc
	v_cmp_gt_i64_e32 vcc, s[12:13], v[4:5]
	s_and_saveexec_b64 s[0:1], vcc
	s_cbranch_execz .LBB193_62
; %bb.61:                               ;   in Loop: Header=BB193_53 Depth=1
	v_add_co_u32_e32 v4, vcc, v84, v88
	v_addc_co_u32_e32 v5, vcc, v81, v89, vcc
	global_load_ushort v2, v[4:5], off
	v_add_co_u32_e32 v4, vcc, v86, v88
	v_addc_co_u32_e32 v5, vcc, v83, v89, vcc
	global_load_ushort v4, v[4:5], off
	s_waitcnt vmcnt(1)
	v_lshlrev_b32_e32 v19, 16, v2
	s_waitcnt vmcnt(0)
	v_lshlrev_b32_e32 v11, 16, v4
.LBB193_62:                             ;   in Loop: Header=BB193_53 Depth=1
	s_or_b64 exec, exec, s[0:1]
	v_add_co_u32_e32 v4, vcc, 0xffffffc3, v92
	v_addc_co_u32_e32 v5, vcc, -1, v93, vcc
	v_cmp_gt_i64_e32 vcc, s[12:13], v[4:5]
	s_and_saveexec_b64 s[0:1], vcc
	s_cbranch_execz .LBB193_64
; %bb.63:                               ;   in Loop: Header=BB193_53 Depth=1
	v_add_co_u32_e32 v4, vcc, v80, v88
	v_addc_co_u32_e32 v5, vcc, v77, v89, vcc
	global_load_ushort v2, v[4:5], off
	v_add_co_u32_e32 v4, vcc, v82, v88
	v_addc_co_u32_e32 v5, vcc, v79, v89, vcc
	global_load_ushort v4, v[4:5], off
	s_waitcnt vmcnt(1)
	v_lshlrev_b32_e32 v20, 16, v2
	s_waitcnt vmcnt(0)
	v_lshlrev_b32_e32 v12, 16, v4
.LBB193_64:                             ;   in Loop: Header=BB193_53 Depth=1
	;; [unrolled: 18-line block ×7, first 2 shown]
	s_or_b64 exec, exec, s[0:1]
	s_waitcnt vmcnt(0)
	ds_bpermute_b32 v4, v90, v94
	ds_bpermute_b32 v5, v90, v94 offset:4
	v_pk_mul_f32 v[8:9], v[14:15], v[22:23]
	ds_bpermute_b32 v14, v90, v94 offset:8
	ds_bpermute_b32 v15, v90, v94 offset:12
	v_pk_mul_f32 v[10:11], v[10:11], v[18:19]
	s_waitcnt lgkmcnt(2)
	v_pk_mul_f32 v[4:5], v[10:11], v[4:5]
	ds_bpermute_b32 v10, v90, v94 offset:16
	ds_bpermute_b32 v11, v90, v94 offset:20
	v_pk_mul_f32 v[12:13], v[12:13], v[20:21]
	v_add_f32_e32 v2, v91, v4
	v_add_f32_e32 v2, v2, v5
	s_waitcnt lgkmcnt(2)
	v_pk_mul_f32 v[4:5], v[12:13], v[14:15]
	ds_bpermute_b32 v12, v90, v94 offset:24
	ds_bpermute_b32 v13, v90, v94 offset:28
	v_add_f32_e32 v2, v2, v4
	v_add_f32_e32 v2, v2, v5
	s_waitcnt lgkmcnt(2)
	v_pk_mul_f32 v[4:5], v[8:9], v[10:11]
	v_pk_mul_f32 v[6:7], v[16:17], v[24:25]
	v_add_f32_e32 v2, v2, v4
	v_add_f32_e32 v2, v2, v5
	s_waitcnt lgkmcnt(0)
	v_pk_mul_f32 v[4:5], v[6:7], v[12:13]
	v_add_f32_e32 v2, v2, v4
	v_add_f32_e32 v2, v2, v5
	s_branch .LBB193_81
.LBB193_75:                             ;   in Loop: Header=BB193_53 Depth=1
                                        ; implicit-def: $vgpr2
	s_cbranch_execz .LBB193_81
; %bb.76:                               ;   in Loop: Header=BB193_53 Depth=1
	s_load_dword s0, s[2:3], 0x0
	s_waitcnt lgkmcnt(0)
	s_cmp_lt_u32 s6, s0
	s_cselect_b32 s0, 12, 18
	s_add_u32 s0, s2, s0
	s_addc_u32 s1, s3, 0
	global_load_ushort v2, v3, s[0:1]
	s_waitcnt vmcnt(0)
	v_mad_u32_u24 v2, v85, v2, v87
	v_and_b32_e32 v4, 63, v2
	v_cmp_gt_u32_e32 vcc, 8, v4
	v_mov_b32_e32 v2, 0
	s_and_saveexec_b64 s[0:1], vcc
	s_cbranch_execz .LBB193_80
; %bb.77:                               ;   in Loop: Header=BB193_53 Depth=1
	v_add_co_u32_e32 v2, vcc, v92, v4
	v_addc_co_u32_e32 v5, vcc, 0, v93, vcc
	v_add_co_u32_e32 v4, vcc, 0xffffffc1, v2
	v_addc_co_u32_e32 v5, vcc, -1, v5, vcc
	v_cmp_gt_i64_e32 vcc, s[12:13], v[4:5]
	v_mov_b32_e32 v2, 0
	s_and_saveexec_b64 s[18:19], vcc
	s_cbranch_execz .LBB193_79
; %bb.78:                               ;   in Loop: Header=BB193_53 Depth=1
	v_lshlrev_b64 v[4:5], 2, v[4:5]
	v_mov_b32_e32 v2, s11
	v_add_co_u32_e32 v4, vcc, s10, v4
	v_addc_co_u32_e32 v5, vcc, v2, v5, vcc
	global_load_dword v2, v[4:5], off
.LBB193_79:                             ;   in Loop: Header=BB193_53 Depth=1
	s_or_b64 exec, exec, s[18:19]
.LBB193_80:                             ;   in Loop: Header=BB193_53 Depth=1
	s_or_b64 exec, exec, s[0:1]
	v_add_co_u32_e32 v4, vcc, v42, v88
	v_addc_co_u32_e32 v5, vcc, v1, v89, vcc
	v_add_co_u32_e32 v6, vcc, v58, v88
	v_addc_co_u32_e32 v7, vcc, v27, v89, vcc
	;; [unrolled: 2-line block ×5, first 2 shown]
	v_add_co_u32_e32 v14, vcc, v46, v88
	global_load_ushort v92, v[4:5], off
	global_load_ushort v93, v[8:9], off
	global_load_ushort v94, v[6:7], off
	global_load_ushort v95, v[10:11], off
	v_addc_co_u32_e32 v15, vcc, v47, v89, vcc
	v_add_co_u32_e32 v16, vcc, v32, v88
	v_addc_co_u32_e32 v17, vcc, v33, v89, vcc
	v_add_co_u32_e32 v18, vcc, v48, v88
	;; [unrolled: 2-line block ×3, first 2 shown]
	v_addc_co_u32_e32 v21, vcc, v35, v89, vcc
	global_load_ushort v96, v[16:17], off
	global_load_ushort v97, v[12:13], off
	;; [unrolled: 1-line block ×4, first 2 shown]
	v_add_co_u32_e32 v22, vcc, v50, v88
	v_addc_co_u32_e32 v23, vcc, v51, v89, vcc
	v_add_co_u32_e32 v24, vcc, v36, v88
	v_addc_co_u32_e32 v25, vcc, v37, v89, vcc
	;; [unrolled: 2-line block ×3, first 2 shown]
	v_add_co_u32_e32 v6, vcc, v38, v88
	global_load_ushort v12, v[20:21], off
	global_load_ushort v13, v[24:25], off
	;; [unrolled: 1-line block ×4, first 2 shown]
	v_addc_co_u32_e32 v7, vcc, v39, v89, vcc
	v_add_co_u32_e32 v8, vcc, v54, v88
	v_addc_co_u32_e32 v9, vcc, v55, v89, vcc
	v_add_co_u32_e32 v4, vcc, v40, v88
	;; [unrolled: 2-line block ×3, first 2 shown]
	v_addc_co_u32_e32 v11, vcc, v57, v89, vcc
	global_load_ushort v16, v[4:5], off
	global_load_ushort v17, v[6:7], off
	;; [unrolled: 1-line block ×4, first 2 shown]
	s_waitcnt vmcnt(16)
	ds_bpermute_b32 v4, v90, v2
	ds_bpermute_b32 v5, v90, v2 offset:4
	s_waitcnt vmcnt(15)
	v_lshlrev_b32_e32 v6, 16, v92
	s_waitcnt vmcnt(14)
	v_lshlrev_b32_e32 v7, 16, v93
	s_waitcnt vmcnt(13)
	v_lshlrev_b32_e32 v8, 16, v94
	s_waitcnt vmcnt(12)
	v_lshlrev_b32_e32 v9, 16, v95
	v_pk_mul_f32 v[6:7], v[6:7], v[8:9]
	s_waitcnt lgkmcnt(0)
	v_pk_mul_f32 v[4:5], v[6:7], v[4:5]
	v_add_f32_e32 v4, v91, v4
	v_add_f32_e32 v10, v4, v5
	ds_bpermute_b32 v4, v90, v2 offset:8
	ds_bpermute_b32 v5, v90, v2 offset:12
	s_waitcnt vmcnt(11)
	v_lshlrev_b32_e32 v7, 16, v96
	s_waitcnt vmcnt(10)
	v_lshlrev_b32_e32 v6, 16, v97
	s_waitcnt vmcnt(9)
	v_lshlrev_b32_e32 v9, 16, v98
	s_waitcnt vmcnt(8)
	v_lshlrev_b32_e32 v8, 16, v99
	v_pk_mul_f32 v[6:7], v[6:7], v[8:9]
	s_waitcnt lgkmcnt(0)
	v_pk_mul_f32 v[4:5], v[6:7], v[4:5]
	v_add_f32_e32 v4, v10, v4
	v_add_f32_e32 v10, v4, v5
	ds_bpermute_b32 v4, v90, v2 offset:16
	;; [unrolled: 15-line block ×3, first 2 shown]
	ds_bpermute_b32 v5, v90, v2 offset:28
	s_waitcnt vmcnt(3)
	v_lshlrev_b32_e32 v7, 16, v16
	s_waitcnt vmcnt(2)
	v_lshlrev_b32_e32 v6, 16, v17
	;; [unrolled: 2-line block ×4, first 2 shown]
	v_pk_mul_f32 v[6:7], v[6:7], v[8:9]
	s_waitcnt lgkmcnt(0)
	v_pk_mul_f32 v[4:5], v[6:7], v[4:5]
	v_add_f32_e32 v2, v10, v4
	v_add_f32_e32 v2, v2, v5
.LBB193_81:                             ;   in Loop: Header=BB193_53 Depth=1
	s_add_u32 s28, s28, s7
	s_addc_u32 s29, s29, 0
	v_pk_mov_b32 v[4:5], s[12:13], s[12:13] op_sel:[0,1]
	v_cmp_ge_i64_e32 vcc, s[28:29], v[4:5]
	v_mov_b32_e32 v4, s25
	v_add_co_u32_e64 v28, s[0:1], s24, v28
	v_addc_co_u32_e64 v29, s[0:1], v29, v4, s[0:1]
	v_add_co_u32_e64 v30, s[0:1], s24, v30
	v_addc_co_u32_e64 v31, s[0:1], v31, v4, s[0:1]
	;; [unrolled: 2-line block ×29, first 2 shown]
	v_add_co_u32_e64 v86, s[0:1], s24, v86
	s_add_u32 s8, s8, s7
	v_addc_co_u32_e64 v83, s[0:1], v83, v4, s[0:1]
	s_addc_u32 s9, s9, 0
	s_cbranch_vccnz .LBB193_83
; %bb.82:                               ;   in Loop: Header=BB193_53 Depth=1
	v_mov_b32_e32 v91, v2
	s_branch .LBB193_53
.LBB193_83:
	v_bfe_u32 v1, v0, 10, 10
	v_and_b32_e32 v3, 0x3ff, v0
	s_movk_i32 s0, 0x41
	v_mad_u32_u24 v0, v1, s0, v3
	v_lshl_add_u32 v0, v0, 2, 0
	ds_write_b32 v0, v2
	v_mov_b32_e32 v2, 0
	ds_write_b32 v0, v2 offset:2080
	v_lshrrev_b32_e32 v0, 6, v3
	v_add_u32_e32 v2, v0, v1
	s_mov_b32 s7, 0
	v_cmp_gt_u32_e32 vcc, 64, v2
	s_waitcnt lgkmcnt(0)
	s_barrier
	s_and_saveexec_b64 s[0:1], vcc
	s_cbranch_execz .LBB193_90
; %bb.84:
	v_mbcnt_lo_u32_b32 v5, -1, 0
	v_mbcnt_hi_u32_b32 v6, -1, v5
	v_and_b32_e32 v4, 63, v3
	v_and_b32_e32 v5, 64, v6
	v_cmp_gt_u32_e32 vcc, 8, v4
	v_add_u32_e32 v7, 64, v5
	v_cmp_ne_u32_e64 s[0:1], 0, v3
	v_mul_u32_u24_e32 v3, 0x104, v4
	v_xor_b32_e32 v4, 4, v6
	v_cmp_lt_i32_e64 s[2:3], v4, v7
	v_xor_b32_e32 v5, 2, v6
	v_cndmask_b32_e64 v4, v6, v4, s[2:3]
	v_cmp_lt_i32_e64 s[2:3], v5, v7
	v_xor_b32_e32 v8, 1, v6
	v_cndmask_b32_e64 v5, v6, v5, s[2:3]
	v_cmp_lt_i32_e64 s[2:3], v8, v7
	s_load_dwordx2 s[10:11], s[4:5], 0x30
	v_cndmask_b32_e64 v6, v6, v8, s[2:3]
	v_add_co_u32_e64 v0, s[2:3], v0, v1
	s_lshl_b64 s[4:5], s[6:7], 6
	v_lshlrev_b32_e32 v2, 2, v2
	v_addc_co_u32_e64 v1, s[2:3], 0, 0, s[2:3]
	v_add3_u32 v7, v3, v2, 0
	v_mov_b32_e32 v3, s5
	v_add_co_u32_e64 v2, s[2:3], s4, v0
	v_addc_co_u32_e64 v3, s[2:3], v1, v3, s[2:3]
	v_lshlrev_b64 v[2:3], 1, v[2:3]
	s_waitcnt lgkmcnt(0)
	s_cmp_eq_u64 s[10:11], 0
	v_mov_b32_e32 v8, s11
	v_add_co_u32_e64 v2, s[2:3], s10, v2
	s_mov_b64 s[6:7], 0
	s_cselect_b64 s[8:9], -1, 0
	v_lshlrev_b32_e32 v4, 2, v4
	v_lshlrev_b32_e32 v5, 2, v5
	;; [unrolled: 1-line block ×3, first 2 shown]
	v_addc_co_u32_e64 v3, s[2:3], v8, v3, s[2:3]
	v_mov_b32_e32 v8, s5
	s_movk_i32 s5, 0x7fff
	v_mov_b32_e32 v9, 0x7fc0
                                        ; implicit-def: $vgpr10
	s_branch .LBB193_86
.LBB193_85:                             ;   in Loop: Header=BB193_86 Depth=1
	s_or_b64 exec, exec, s[10:11]
	v_add_co_u32_e64 v0, s[2:3], 8, v0
	v_addc_co_u32_e64 v1, s[2:3], 0, v1, s[2:3]
	v_add_u32_e32 v11, -8, v0
	v_cmp_lt_u32_e64 s[2:3], 55, v11
	s_or_b64 s[6:7], s[2:3], s[6:7]
	v_add_co_u32_e64 v2, s[2:3], 16, v2
	v_add_u32_e32 v7, 32, v7
	v_addc_co_u32_e64 v3, s[2:3], 0, v3, s[2:3]
	s_andn2_b64 exec, exec, s[6:7]
	s_cbranch_execz .LBB193_90
.LBB193_86:                             ; =>This Inner Loop Header: Depth=1
	s_and_saveexec_b64 s[2:3], vcc
	s_cbranch_execz .LBB193_88
; %bb.87:                               ;   in Loop: Header=BB193_86 Depth=1
	ds_read_b32 v10, v7
.LBB193_88:                             ;   in Loop: Header=BB193_86 Depth=1
	s_or_b64 exec, exec, s[2:3]
	s_waitcnt lgkmcnt(0)
	ds_bpermute_b32 v11, v4, v10
	s_waitcnt lgkmcnt(0)
	v_add_f32_e32 v10, v10, v11
	ds_bpermute_b32 v11, v5, v10
	s_waitcnt lgkmcnt(0)
	v_add_f32_e32 v12, v10, v11
	ds_bpermute_b32 v13, v6, v12
	v_add_co_u32_e64 v10, s[2:3], s4, v0
	v_addc_co_u32_e64 v11, s[2:3], v8, v1, s[2:3]
	v_cmp_le_i64_e64 s[2:3], s[14:15], v[10:11]
	s_or_b64 s[2:3], s[0:1], s[2:3]
	s_or_b64 s[2:3], s[8:9], s[2:3]
	s_waitcnt lgkmcnt(0)
	v_add_f32_e32 v10, v12, v13
	s_xor_b64 s[2:3], s[2:3], -1
	s_and_saveexec_b64 s[10:11], s[2:3]
	s_cbranch_execz .LBB193_85
; %bb.89:                               ;   in Loop: Header=BB193_86 Depth=1
	v_bfe_u32 v11, v10, 16, 1
	v_add3_u32 v11, v10, v11, s5
	v_lshrrev_b32_e32 v11, 16, v11
	v_cmp_o_f32_e64 s[2:3], v10, v10
	v_cndmask_b32_e64 v11, v9, v11, s[2:3]
	global_store_short v[2:3], v11, off
	s_branch .LBB193_85
.LBB193_90:
	s_endpgm
	.section	.rodata,"a",@progbits
	.p2align	6, 0x0
	.amdhsa_kernel _ZN2at6native12_GLOBAL__N_135GammaBetaBackwardCUDAKernelTemplateIN3c108BFloat16EfLj64ELj8ELj64ELb0ELb0ELb1EEEvllPKT_S7_PKT0_SA_PS5_SB_
		.amdhsa_group_segment_fixed_size 0
		.amdhsa_private_segment_fixed_size 0
		.amdhsa_kernarg_size 320
		.amdhsa_user_sgpr_count 6
		.amdhsa_user_sgpr_private_segment_buffer 1
		.amdhsa_user_sgpr_dispatch_ptr 0
		.amdhsa_user_sgpr_queue_ptr 0
		.amdhsa_user_sgpr_kernarg_segment_ptr 1
		.amdhsa_user_sgpr_dispatch_id 0
		.amdhsa_user_sgpr_flat_scratch_init 0
		.amdhsa_user_sgpr_kernarg_preload_length 0
		.amdhsa_user_sgpr_kernarg_preload_offset 0
		.amdhsa_user_sgpr_private_segment_size 0
		.amdhsa_uses_dynamic_stack 0
		.amdhsa_system_sgpr_private_segment_wavefront_offset 0
		.amdhsa_system_sgpr_workgroup_id_x 1
		.amdhsa_system_sgpr_workgroup_id_y 1
		.amdhsa_system_sgpr_workgroup_id_z 0
		.amdhsa_system_sgpr_workgroup_info 0
		.amdhsa_system_vgpr_workitem_id 1
		.amdhsa_next_free_vgpr 100
		.amdhsa_next_free_sgpr 42
		.amdhsa_accum_offset 100
		.amdhsa_reserve_vcc 1
		.amdhsa_reserve_flat_scratch 0
		.amdhsa_float_round_mode_32 0
		.amdhsa_float_round_mode_16_64 0
		.amdhsa_float_denorm_mode_32 3
		.amdhsa_float_denorm_mode_16_64 3
		.amdhsa_dx10_clamp 1
		.amdhsa_ieee_mode 1
		.amdhsa_fp16_overflow 0
		.amdhsa_tg_split 0
		.amdhsa_exception_fp_ieee_invalid_op 0
		.amdhsa_exception_fp_denorm_src 0
		.amdhsa_exception_fp_ieee_div_zero 0
		.amdhsa_exception_fp_ieee_overflow 0
		.amdhsa_exception_fp_ieee_underflow 0
		.amdhsa_exception_fp_ieee_inexact 0
		.amdhsa_exception_int_div_zero 0
	.end_amdhsa_kernel
	.section	.text._ZN2at6native12_GLOBAL__N_135GammaBetaBackwardCUDAKernelTemplateIN3c108BFloat16EfLj64ELj8ELj64ELb0ELb0ELb1EEEvllPKT_S7_PKT0_SA_PS5_SB_,"axG",@progbits,_ZN2at6native12_GLOBAL__N_135GammaBetaBackwardCUDAKernelTemplateIN3c108BFloat16EfLj64ELj8ELj64ELb0ELb0ELb1EEEvllPKT_S7_PKT0_SA_PS5_SB_,comdat
.Lfunc_end193:
	.size	_ZN2at6native12_GLOBAL__N_135GammaBetaBackwardCUDAKernelTemplateIN3c108BFloat16EfLj64ELj8ELj64ELb0ELb0ELb1EEEvllPKT_S7_PKT0_SA_PS5_SB_, .Lfunc_end193-_ZN2at6native12_GLOBAL__N_135GammaBetaBackwardCUDAKernelTemplateIN3c108BFloat16EfLj64ELj8ELj64ELb0ELb0ELb1EEEvllPKT_S7_PKT0_SA_PS5_SB_
                                        ; -- End function
	.section	.AMDGPU.csdata,"",@progbits
; Kernel info:
; codeLenInByte = 7184
; NumSgprs: 46
; NumVgprs: 100
; NumAgprs: 0
; TotalNumVgprs: 100
; ScratchSize: 0
; MemoryBound: 0
; FloatMode: 240
; IeeeMode: 1
; LDSByteSize: 0 bytes/workgroup (compile time only)
; SGPRBlocks: 5
; VGPRBlocks: 12
; NumSGPRsForWavesPerEU: 46
; NumVGPRsForWavesPerEU: 100
; AccumOffset: 100
; Occupancy: 4
; WaveLimiterHint : 0
; COMPUTE_PGM_RSRC2:SCRATCH_EN: 0
; COMPUTE_PGM_RSRC2:USER_SGPR: 6
; COMPUTE_PGM_RSRC2:TRAP_HANDLER: 0
; COMPUTE_PGM_RSRC2:TGID_X_EN: 1
; COMPUTE_PGM_RSRC2:TGID_Y_EN: 1
; COMPUTE_PGM_RSRC2:TGID_Z_EN: 0
; COMPUTE_PGM_RSRC2:TIDIG_COMP_CNT: 1
; COMPUTE_PGM_RSRC3_GFX90A:ACCUM_OFFSET: 24
; COMPUTE_PGM_RSRC3_GFX90A:TG_SPLIT: 0
	.section	.text._ZN2at6native12_GLOBAL__N_135GammaBetaBackwardCUDAKernelTemplateIN3c108BFloat16EfLj64ELj16ELj128ELb0ELb1ELb1EEEvllPKT_S7_PKT0_SA_PS5_SB_,"axG",@progbits,_ZN2at6native12_GLOBAL__N_135GammaBetaBackwardCUDAKernelTemplateIN3c108BFloat16EfLj64ELj16ELj128ELb0ELb1ELb1EEEvllPKT_S7_PKT0_SA_PS5_SB_,comdat
	.globl	_ZN2at6native12_GLOBAL__N_135GammaBetaBackwardCUDAKernelTemplateIN3c108BFloat16EfLj64ELj16ELj128ELb0ELb1ELb1EEEvllPKT_S7_PKT0_SA_PS5_SB_ ; -- Begin function _ZN2at6native12_GLOBAL__N_135GammaBetaBackwardCUDAKernelTemplateIN3c108BFloat16EfLj64ELj16ELj128ELb0ELb1ELb1EEEvllPKT_S7_PKT0_SA_PS5_SB_
	.p2align	8
	.type	_ZN2at6native12_GLOBAL__N_135GammaBetaBackwardCUDAKernelTemplateIN3c108BFloat16EfLj64ELj16ELj128ELb0ELb1ELb1EEEvllPKT_S7_PKT0_SA_PS5_SB_,@function
_ZN2at6native12_GLOBAL__N_135GammaBetaBackwardCUDAKernelTemplateIN3c108BFloat16EfLj64ELj16ELj128ELb0ELb1ELb1EEEvllPKT_S7_PKT0_SA_PS5_SB_: ; @_ZN2at6native12_GLOBAL__N_135GammaBetaBackwardCUDAKernelTemplateIN3c108BFloat16EfLj64ELj16ELj128ELb0ELb1ELb1EEEvllPKT_S7_PKT0_SA_PS5_SB_
; %bb.0:
	s_load_dwordx4 s[8:11], s[4:5], 0x0
	s_lshl_b32 s16, s7, 7
	s_mov_b32 s17, 0
	v_bfe_u32 v11, v0, 10, 10
	s_waitcnt lgkmcnt(0)
	v_pk_mov_b32 v[2:3], s[8:9], s[8:9] op_sel:[0,1]
	v_cmp_lt_i64_e32 vcc, s[16:17], v[2:3]
	s_cbranch_vccnz .LBB194_2
; %bb.1:
	s_mov_b64 s[0:1], 0
	v_bfe_u32 v7, v0, 10, 10
	s_branch .LBB194_3
.LBB194_2:
	s_mov_b64 s[0:1], -1
                                        ; implicit-def: $vgpr7
.LBB194_3:
	s_load_dwordx2 s[2:3], s[4:5], 0x30
	v_and_b32_e32 v6, 0x3ff, v0
	s_andn2_b64 vcc, exec, s[0:1]
	v_mov_b32_e32 v1, s17
	v_mbcnt_lo_u32_b32 v10, -1, 0
	s_cbranch_vccnz .LBB194_11
; %bb.4:
	s_load_dword s0, s[4:5], 0x4c
	s_load_dword s7, s[4:5], 0x44
	s_load_dwordx4 s[12:15], s[4:5], 0x10
	s_load_dwordx2 s[18:19], s[4:5], 0x28
	v_mbcnt_hi_u32_b32 v4, -1, v10
	v_lshlrev_b32_e32 v2, 3, v11
	s_waitcnt lgkmcnt(0)
	s_and_b32 s0, s0, 0xffff
	v_lshlrev_b32_e32 v4, 2, v4
	v_mad_u32_u24 v0, v11, s0, v6
	v_and_b32_e32 v12, 0x100, v4
	v_mov_b32_e32 v4, s17
	v_add_co_u32_e32 v7, vcc, s16, v2
	v_and_b32_e32 v3, 63, v0
	v_addc_co_u32_e32 v8, vcc, 0, v4, vcc
	v_add_co_u32_e32 v2, vcc, v7, v3
	v_cmp_gt_u32_e64 s[0:1], 8, v3
	v_addc_co_u32_e32 v3, vcc, 0, v8, vcc
	v_lshlrev_b64 v[4:5], 2, v[2:3]
	v_mov_b32_e32 v9, s19
	v_add_co_u32_e32 v4, vcc, s18, v4
	s_lshl_b32 s4, s7, 7
	v_addc_co_u32_e32 v5, vcc, v9, v5, vcc
	v_mul_lo_u32 v20, s11, v7
	v_mul_lo_u32 v21, s10, v8
	v_mad_u64_u32 v[8:9], s[20:21], s10, v7, 0
	v_mov_b32_e32 v1, 0
	v_lshl_add_u32 v0, s6, 6, v6
	v_add3_u32 v9, v9, v21, v20
	s_mul_i32 s7, s11, s4
	s_mul_hi_u32 s20, s10, s4
	s_mov_b32 s5, 0
	v_lshlrev_b64 v[8:9], 1, v[8:9]
	v_lshlrev_b64 v[20:21], 1, v[0:1]
	s_add_i32 s21, s20, s7
	s_mul_i32 s20, s10, s4
	s_lshl_b64 s[18:19], s[4:5], 2
	v_add_co_u32_e32 v0, vcc, v8, v20
	s_lshl_b64 s[20:21], s[20:21], 1
	s_lshl_b64 s[10:11], s[10:11], 1
	v_or_b32_e32 v13, 4, v12
	v_or_b32_e32 v14, 8, v12
	;; [unrolled: 1-line block ×7, first 2 shown]
	v_addc_co_u32_e32 v7, vcc, v9, v21, vcc
	v_mov_b32_e32 v20, s13
	v_mov_b32_e32 v21, s15
	;; [unrolled: 1-line block ×6, first 2 shown]
	v_pk_mov_b32 v[8:9], s[8:9], s[8:9] op_sel:[0,1]
	s_branch .LBB194_7
.LBB194_5:                              ;   in Loop: Header=BB194_7 Depth=1
	s_or_b64 exec, exec, s[24:25]
.LBB194_6:                              ;   in Loop: Header=BB194_7 Depth=1
	s_or_b64 exec, exec, s[22:23]
	v_add_co_u32_e32 v28, vcc, s12, v0
	v_addc_co_u32_e32 v29, vcc, v20, v7, vcc
	v_add_co_u32_e32 v30, vcc, s14, v0
	v_addc_co_u32_e32 v31, vcc, v21, v7, vcc
	;; [unrolled: 2-line block ×5, first 2 shown]
	v_add_co_u32_e32 v38, vcc, s10, v34
	global_load_ushort v27, v[32:33], off
	global_load_ushort v50, v[28:29], off
	;; [unrolled: 1-line block ×4, first 2 shown]
	v_addc_co_u32_e32 v39, vcc, v35, v22, vcc
	v_add_co_u32_e32 v40, vcc, s10, v36
	v_addc_co_u32_e32 v41, vcc, v37, v22, vcc
	v_add_co_u32_e32 v42, vcc, s10, v38
	;; [unrolled: 2-line block ×3, first 2 shown]
	v_addc_co_u32_e32 v45, vcc, v41, v22, vcc
	global_load_ushort v53, v[36:37], off
	global_load_ushort v54, v[40:41], off
	;; [unrolled: 1-line block ×4, first 2 shown]
	v_add_co_u32_e32 v46, vcc, s10, v42
	v_addc_co_u32_e32 v47, vcc, v43, v22, vcc
	v_add_co_u32_e32 v48, vcc, s10, v44
	v_addc_co_u32_e32 v49, vcc, v45, v22, vcc
	;; [unrolled: 2-line block ×3, first 2 shown]
	v_add_co_u32_e32 v30, vcc, s10, v48
	global_load_ushort v36, v[48:49], off
	global_load_ushort v37, v[44:45], off
	;; [unrolled: 1-line block ×4, first 2 shown]
	v_addc_co_u32_e32 v31, vcc, v49, v22, vcc
	v_add_co_u32_e32 v32, vcc, s10, v28
	v_addc_co_u32_e32 v33, vcc, v29, v22, vcc
	v_add_co_u32_e32 v28, vcc, s10, v30
	;; [unrolled: 2-line block ×3, first 2 shown]
	v_addc_co_u32_e32 v35, vcc, v33, v22, vcc
	global_load_ushort v40, v[30:31], off
	global_load_ushort v41, v[28:29], off
	;; [unrolled: 1-line block ×4, first 2 shown]
	s_waitcnt vmcnt(16)
	ds_bpermute_b32 v28, v12, v26
	ds_bpermute_b32 v29, v13, v26
	v_add_co_u32_e32 v4, vcc, s18, v4
	v_addc_co_u32_e32 v5, vcc, v5, v23, vcc
	v_add_co_u32_e32 v2, vcc, s4, v2
	v_addc_co_u32_e32 v3, vcc, v3, v24, vcc
	s_add_u32 s16, s16, s4
	v_add_co_u32_e32 v0, vcc, s20, v0
	s_addc_u32 s17, s17, 0
	v_addc_co_u32_e32 v7, vcc, v7, v25, vcc
	v_cmp_lt_i64_e32 vcc, s[16:17], v[8:9]
	s_and_b64 vcc, exec, vcc
	s_waitcnt vmcnt(15)
	v_lshlrev_b32_e32 v31, 16, v27
	s_waitcnt vmcnt(14)
	v_lshlrev_b32_e32 v30, 16, v50
	s_waitcnt vmcnt(13)
	v_lshlrev_b32_e32 v33, 16, v51
	s_waitcnt vmcnt(12)
	v_lshlrev_b32_e32 v32, 16, v52
	v_pk_mul_f32 v[30:31], v[30:31], v[32:33]
	s_waitcnt lgkmcnt(0)
	v_pk_mul_f32 v[28:29], v[30:31], v[28:29]
	v_add_f32_e32 v1, v1, v28
	v_add_f32_e32 v1, v1, v29
	ds_bpermute_b32 v28, v14, v26
	ds_bpermute_b32 v29, v15, v26
	s_waitcnt vmcnt(11)
	v_lshlrev_b32_e32 v30, 16, v53
	s_waitcnt vmcnt(10)
	v_lshlrev_b32_e32 v31, 16, v54
	s_waitcnt vmcnt(9)
	v_lshlrev_b32_e32 v32, 16, v55
	s_waitcnt vmcnt(8)
	v_lshlrev_b32_e32 v33, 16, v56
	v_pk_mul_f32 v[30:31], v[30:31], v[32:33]
	s_waitcnt lgkmcnt(0)
	v_pk_mul_f32 v[28:29], v[30:31], v[28:29]
	v_add_f32_e32 v1, v1, v28
	v_add_f32_e32 v1, v1, v29
	ds_bpermute_b32 v28, v16, v26
	ds_bpermute_b32 v29, v17, v26
	;; [unrolled: 15-line block ×3, first 2 shown]
	s_waitcnt vmcnt(3)
	v_lshlrev_b32_e32 v26, 16, v40
	s_waitcnt vmcnt(2)
	v_lshlrev_b32_e32 v27, 16, v41
	s_waitcnt vmcnt(1)
	v_lshlrev_b32_e32 v30, 16, v42
	s_waitcnt vmcnt(0)
	v_lshlrev_b32_e32 v31, 16, v43
	v_pk_mul_f32 v[26:27], v[26:27], v[30:31]
	s_waitcnt lgkmcnt(0)
	v_pk_mul_f32 v[26:27], v[26:27], v[28:29]
	v_add_f32_e32 v1, v1, v26
	v_add_f32_e32 v1, v1, v27
	s_cbranch_vccz .LBB194_10
.LBB194_7:                              ; =>This Inner Loop Header: Depth=1
	v_mov_b32_e32 v26, 0
	s_and_saveexec_b64 s[22:23], s[0:1]
	s_cbranch_execz .LBB194_6
; %bb.8:                                ;   in Loop: Header=BB194_7 Depth=1
	v_cmp_gt_i64_e32 vcc, s[8:9], v[2:3]
	v_mov_b32_e32 v26, 0
	s_and_saveexec_b64 s[24:25], vcc
	s_cbranch_execz .LBB194_5
; %bb.9:                                ;   in Loop: Header=BB194_7 Depth=1
	global_load_dword v26, v[4:5], off
	s_branch .LBB194_5
.LBB194_10:
	v_mov_b32_e32 v7, v11
.LBB194_11:
	s_movk_i32 s0, 0x41
	v_mad_u32_u24 v0, v7, s0, v6
	v_lshl_add_u32 v0, v0, 2, 0
	ds_write_b32 v0, v1
	v_mov_b32_e32 v1, 0
	ds_write_b32 v0, v1 offset:4160
	v_lshrrev_b32_e32 v0, 6, v6
	v_add_u32_e32 v1, v0, v7
	s_mov_b32 s7, 0
	v_cmp_gt_u32_e32 vcc, 64, v1
	s_waitcnt lgkmcnt(0)
	s_barrier
	s_and_saveexec_b64 s[0:1], vcc
	s_cbranch_execz .LBB194_18
; %bb.12:
	v_mbcnt_hi_u32_b32 v5, -1, v10
	v_and_b32_e32 v2, 63, v6
	v_and_b32_e32 v3, 64, v5
	s_cmp_lg_u64 s[2:3], 0
	v_cmp_gt_u32_e32 vcc, 16, v2
	v_add_u32_e32 v8, 64, v3
	v_cmp_eq_u32_e64 s[0:1], 0, v6
	s_cselect_b64 s[8:9], -1, 0
	v_mul_u32_u24_e32 v6, 0x104, v2
	v_xor_b32_e32 v2, 8, v5
	s_and_b64 s[8:9], s[0:1], s[8:9]
	v_cmp_lt_i32_e64 s[0:1], v2, v8
	v_xor_b32_e32 v3, 4, v5
	v_cndmask_b32_e64 v2, v5, v2, s[0:1]
	v_cmp_lt_i32_e64 s[0:1], v3, v8
	v_xor_b32_e32 v4, 2, v5
	v_cndmask_b32_e64 v3, v5, v3, s[0:1]
	;; [unrolled: 3-line block ×3, first 2 shown]
	v_cmp_lt_i32_e64 s[0:1], v9, v8
	v_cndmask_b32_e64 v5, v5, v9, s[0:1]
	v_lshlrev_b32_e32 v8, 2, v1
	v_add_co_u32_e64 v0, s[0:1], v0, v7
	s_lshl_b64 s[6:7], s[6:7], 7
	v_add3_u32 v6, v6, v8, 0
	v_add_u32_e32 v8, -16, v1
	v_addc_co_u32_e64 v1, s[0:1], 0, 0, s[0:1]
	s_add_u32 s0, s2, s6
	v_lshlrev_b64 v[0:1], 1, v[0:1]
	s_addc_u32 s1, s3, s7
	v_mov_b32_e32 v7, s1
	v_add_co_u32_e64 v0, s[0:1], s0, v0
	s_mov_b64 s[4:5], 0
	v_lshlrev_b32_e32 v2, 2, v2
	v_lshlrev_b32_e32 v3, 2, v3
	v_lshlrev_b32_e32 v4, 2, v4
	v_lshlrev_b32_e32 v5, 2, v5
	v_addc_co_u32_e64 v1, s[0:1], v7, v1, s[0:1]
	s_movk_i32 s6, 0x7fff
	v_mov_b32_e32 v7, 0x7fc0
                                        ; implicit-def: $vgpr9
	s_branch .LBB194_14
.LBB194_13:                             ;   in Loop: Header=BB194_14 Depth=1
	s_or_b64 exec, exec, s[2:3]
	v_add_u32_e32 v8, 16, v8
	v_cmp_lt_u32_e64 s[0:1], 47, v8
	s_or_b64 s[4:5], s[0:1], s[4:5]
	v_add_co_u32_e64 v0, s[0:1], 32, v0
	v_add_u32_e32 v6, 64, v6
	v_addc_co_u32_e64 v1, s[0:1], 0, v1, s[0:1]
	s_andn2_b64 exec, exec, s[4:5]
	s_cbranch_execz .LBB194_18
.LBB194_14:                             ; =>This Inner Loop Header: Depth=1
	s_and_saveexec_b64 s[0:1], vcc
	s_cbranch_execz .LBB194_16
; %bb.15:                               ;   in Loop: Header=BB194_14 Depth=1
	ds_read_b32 v9, v6
.LBB194_16:                             ;   in Loop: Header=BB194_14 Depth=1
	s_or_b64 exec, exec, s[0:1]
	s_waitcnt lgkmcnt(0)
	ds_bpermute_b32 v10, v2, v9
	s_waitcnt lgkmcnt(0)
	v_add_f32_e32 v9, v9, v10
	ds_bpermute_b32 v10, v3, v9
	s_waitcnt lgkmcnt(0)
	v_add_f32_e32 v9, v9, v10
	;; [unrolled: 3-line block ×4, first 2 shown]
	s_and_saveexec_b64 s[2:3], s[8:9]
	s_cbranch_execz .LBB194_13
; %bb.17:                               ;   in Loop: Header=BB194_14 Depth=1
	v_bfe_u32 v10, v9, 16, 1
	v_add3_u32 v10, v9, v10, s6
	v_lshrrev_b32_e32 v10, 16, v10
	v_cmp_o_f32_e64 s[0:1], v9, v9
	v_cndmask_b32_e64 v10, v7, v10, s[0:1]
	global_store_short v[0:1], v10, off
	s_branch .LBB194_13
.LBB194_18:
	s_endpgm
	.section	.rodata,"a",@progbits
	.p2align	6, 0x0
	.amdhsa_kernel _ZN2at6native12_GLOBAL__N_135GammaBetaBackwardCUDAKernelTemplateIN3c108BFloat16EfLj64ELj16ELj128ELb0ELb1ELb1EEEvllPKT_S7_PKT0_SA_PS5_SB_
		.amdhsa_group_segment_fixed_size 0
		.amdhsa_private_segment_fixed_size 0
		.amdhsa_kernarg_size 320
		.amdhsa_user_sgpr_count 6
		.amdhsa_user_sgpr_private_segment_buffer 1
		.amdhsa_user_sgpr_dispatch_ptr 0
		.amdhsa_user_sgpr_queue_ptr 0
		.amdhsa_user_sgpr_kernarg_segment_ptr 1
		.amdhsa_user_sgpr_dispatch_id 0
		.amdhsa_user_sgpr_flat_scratch_init 0
		.amdhsa_user_sgpr_kernarg_preload_length 0
		.amdhsa_user_sgpr_kernarg_preload_offset 0
		.amdhsa_user_sgpr_private_segment_size 0
		.amdhsa_uses_dynamic_stack 0
		.amdhsa_system_sgpr_private_segment_wavefront_offset 0
		.amdhsa_system_sgpr_workgroup_id_x 1
		.amdhsa_system_sgpr_workgroup_id_y 1
		.amdhsa_system_sgpr_workgroup_id_z 0
		.amdhsa_system_sgpr_workgroup_info 0
		.amdhsa_system_vgpr_workitem_id 1
		.amdhsa_next_free_vgpr 57
		.amdhsa_next_free_sgpr 26
		.amdhsa_accum_offset 60
		.amdhsa_reserve_vcc 1
		.amdhsa_reserve_flat_scratch 0
		.amdhsa_float_round_mode_32 0
		.amdhsa_float_round_mode_16_64 0
		.amdhsa_float_denorm_mode_32 3
		.amdhsa_float_denorm_mode_16_64 3
		.amdhsa_dx10_clamp 1
		.amdhsa_ieee_mode 1
		.amdhsa_fp16_overflow 0
		.amdhsa_tg_split 0
		.amdhsa_exception_fp_ieee_invalid_op 0
		.amdhsa_exception_fp_denorm_src 0
		.amdhsa_exception_fp_ieee_div_zero 0
		.amdhsa_exception_fp_ieee_overflow 0
		.amdhsa_exception_fp_ieee_underflow 0
		.amdhsa_exception_fp_ieee_inexact 0
		.amdhsa_exception_int_div_zero 0
	.end_amdhsa_kernel
	.section	.text._ZN2at6native12_GLOBAL__N_135GammaBetaBackwardCUDAKernelTemplateIN3c108BFloat16EfLj64ELj16ELj128ELb0ELb1ELb1EEEvllPKT_S7_PKT0_SA_PS5_SB_,"axG",@progbits,_ZN2at6native12_GLOBAL__N_135GammaBetaBackwardCUDAKernelTemplateIN3c108BFloat16EfLj64ELj16ELj128ELb0ELb1ELb1EEEvllPKT_S7_PKT0_SA_PS5_SB_,comdat
.Lfunc_end194:
	.size	_ZN2at6native12_GLOBAL__N_135GammaBetaBackwardCUDAKernelTemplateIN3c108BFloat16EfLj64ELj16ELj128ELb0ELb1ELb1EEEvllPKT_S7_PKT0_SA_PS5_SB_, .Lfunc_end194-_ZN2at6native12_GLOBAL__N_135GammaBetaBackwardCUDAKernelTemplateIN3c108BFloat16EfLj64ELj16ELj128ELb0ELb1ELb1EEEvllPKT_S7_PKT0_SA_PS5_SB_
                                        ; -- End function
	.section	.AMDGPU.csdata,"",@progbits
; Kernel info:
; codeLenInByte = 1564
; NumSgprs: 30
; NumVgprs: 57
; NumAgprs: 0
; TotalNumVgprs: 57
; ScratchSize: 0
; MemoryBound: 0
; FloatMode: 240
; IeeeMode: 1
; LDSByteSize: 0 bytes/workgroup (compile time only)
; SGPRBlocks: 3
; VGPRBlocks: 7
; NumSGPRsForWavesPerEU: 30
; NumVGPRsForWavesPerEU: 57
; AccumOffset: 60
; Occupancy: 8
; WaveLimiterHint : 0
; COMPUTE_PGM_RSRC2:SCRATCH_EN: 0
; COMPUTE_PGM_RSRC2:USER_SGPR: 6
; COMPUTE_PGM_RSRC2:TRAP_HANDLER: 0
; COMPUTE_PGM_RSRC2:TGID_X_EN: 1
; COMPUTE_PGM_RSRC2:TGID_Y_EN: 1
; COMPUTE_PGM_RSRC2:TGID_Z_EN: 0
; COMPUTE_PGM_RSRC2:TIDIG_COMP_CNT: 1
; COMPUTE_PGM_RSRC3_GFX90A:ACCUM_OFFSET: 14
; COMPUTE_PGM_RSRC3_GFX90A:TG_SPLIT: 0
	.section	.text._ZN2at6native12_GLOBAL__N_135GammaBetaBackwardCUDAKernelTemplateIN3c108BFloat16EfLj64ELj16ELj128ELb0ELb0ELb1EEEvllPKT_S7_PKT0_SA_PS5_SB_,"axG",@progbits,_ZN2at6native12_GLOBAL__N_135GammaBetaBackwardCUDAKernelTemplateIN3c108BFloat16EfLj64ELj16ELj128ELb0ELb0ELb1EEEvllPKT_S7_PKT0_SA_PS5_SB_,comdat
	.globl	_ZN2at6native12_GLOBAL__N_135GammaBetaBackwardCUDAKernelTemplateIN3c108BFloat16EfLj64ELj16ELj128ELb0ELb0ELb1EEEvllPKT_S7_PKT0_SA_PS5_SB_ ; -- Begin function _ZN2at6native12_GLOBAL__N_135GammaBetaBackwardCUDAKernelTemplateIN3c108BFloat16EfLj64ELj16ELj128ELb0ELb0ELb1EEEvllPKT_S7_PKT0_SA_PS5_SB_
	.p2align	8
	.type	_ZN2at6native12_GLOBAL__N_135GammaBetaBackwardCUDAKernelTemplateIN3c108BFloat16EfLj64ELj16ELj128ELb0ELb0ELb1EEEvllPKT_S7_PKT0_SA_PS5_SB_,@function
_ZN2at6native12_GLOBAL__N_135GammaBetaBackwardCUDAKernelTemplateIN3c108BFloat16EfLj64ELj16ELj128ELb0ELb0ELb1EEEvllPKT_S7_PKT0_SA_PS5_SB_: ; @_ZN2at6native12_GLOBAL__N_135GammaBetaBackwardCUDAKernelTemplateIN3c108BFloat16EfLj64ELj16ELj128ELb0ELb0ELb1EEEvllPKT_S7_PKT0_SA_PS5_SB_
; %bb.0:
	s_load_dwordx8 s[12:19], s[4:5], 0x0
	s_load_dwordx2 s[10:11], s[4:5], 0x28
	s_lshl_b32 s33, s6, 6
	s_or_b32 s28, s33, 63
	s_mov_b32 s29, 0
	s_waitcnt lgkmcnt(0)
	v_pk_mov_b32 v[2:3], s[14:15], s[14:15] op_sel:[0,1]
	v_cmp_ge_i64_e32 vcc, s[28:29], v[2:3]
	s_lshl_b32 s28, s7, 7
	v_pk_mov_b32 v[2:3], s[12:13], s[12:13] op_sel:[0,1]
	v_cmp_lt_i64_e64 s[0:1], s[28:29], v[2:3]
	v_cndmask_b32_e64 v1, 0, 1, s[0:1]
	v_cmp_ne_u32_e64 s[0:1], 1, v1
	s_cbranch_vccz .LBB195_49
; %bb.1:
	s_and_b64 vcc, exec, s[0:1]
	v_mov_b32_e32 v2, 0
	s_cbranch_vccnz .LBB195_50
; %bb.2:
	v_and_b32_e32 v59, 0x3ff, v0
	v_bfe_u32 v61, v0, 10, 10
	v_add_u32_e32 v2, s33, v59
	v_mov_b32_e32 v3, 0
	v_lshlrev_b32_e32 v26, 3, v61
	v_cmp_gt_i64_e64 s[2:3], s[14:15], v[2:3]
	v_lshlrev_b64 v[28:29], 1, v[2:3]
	v_mov_b32_e32 v1, s29
	v_add_co_u32_e32 v2, vcc, s28, v26
	v_addc_co_u32_e32 v6, vcc, 0, v1, vcc
	v_add_co_u32_e32 v1, vcc, 7, v2
	v_addc_co_u32_e32 v4, vcc, 0, v6, vcc
	v_mul_lo_u32 v7, s15, v1
	v_mul_lo_u32 v8, s14, v4
	v_mad_u64_u32 v[4:5], s[8:9], s14, v1, 0
	s_load_dword s7, s[4:5], 0x44
	v_add3_u32 v5, v5, v8, v7
	v_lshlrev_b64 v[4:5], 1, v[4:5]
	v_mov_b32_e32 v7, s17
	v_add_co_u32_e32 v30, vcc, s16, v4
	v_addc_co_u32_e32 v1, vcc, v7, v5, vcc
	s_add_u32 s30, s4, 64
	v_mov_b32_e32 v8, s19
	v_add_co_u32_e32 v32, vcc, s18, v4
	s_addc_u32 s31, s5, 0
	s_waitcnt lgkmcnt(0)
	s_lshl_b32 s7, s7, 7
	v_addc_co_u32_e32 v27, vcc, v8, v5, vcc
	s_mul_i32 s8, s15, s7
	s_mul_hi_u32 s9, s14, s7
	v_add_co_u32_e32 v4, vcc, 6, v2
	s_add_i32 s9, s9, s8
	s_mul_i32 s8, s14, s7
	v_addc_co_u32_e32 v5, vcc, 0, v6, vcc
	s_lshl_b64 s[34:35], s[8:9], 1
	v_mul_lo_u32 v9, s15, v4
	v_mul_lo_u32 v10, s14, v5
	v_mad_u64_u32 v[4:5], s[8:9], s14, v4, 0
	v_add3_u32 v5, v5, v10, v9
	v_lshlrev_b64 v[4:5], 1, v[4:5]
	v_add_co_u32_e32 v34, vcc, s16, v4
	v_addc_co_u32_e32 v31, vcc, v7, v5, vcc
	v_add_co_u32_e32 v36, vcc, s18, v4
	v_addc_co_u32_e32 v33, vcc, v8, v5, vcc
	v_add_co_u32_e32 v4, vcc, 5, v2
	v_addc_co_u32_e32 v5, vcc, 0, v6, vcc
	v_mul_lo_u32 v9, s15, v4
	v_mul_lo_u32 v10, s14, v5
	v_mad_u64_u32 v[4:5], s[8:9], s14, v4, 0
	v_add3_u32 v5, v5, v10, v9
	v_lshlrev_b64 v[4:5], 1, v[4:5]
	v_add_co_u32_e32 v38, vcc, s16, v4
	v_addc_co_u32_e32 v35, vcc, v7, v5, vcc
	v_add_co_u32_e32 v40, vcc, s18, v4
	v_addc_co_u32_e32 v37, vcc, v8, v5, vcc
	v_add_co_u32_e32 v4, vcc, 4, v2
	v_addc_co_u32_e32 v5, vcc, 0, v6, vcc
	;; [unrolled: 11-line block ×4, first 2 shown]
	v_mul_lo_u32 v9, s15, v4
	v_mul_lo_u32 v10, s14, v5
	v_mad_u64_u32 v[4:5], s[8:9], s14, v4, 0
	v_add3_u32 v5, v5, v10, v9
	v_lshlrev_b64 v[4:5], 1, v[4:5]
	v_add_co_u32_e32 v50, vcc, s16, v4
	v_addc_co_u32_e32 v47, vcc, v7, v5, vcc
	v_add_co_u32_e32 v52, vcc, s18, v4
	v_addc_co_u32_e32 v49, vcc, v8, v5, vcc
	v_pk_mov_b32 v[4:5], s[14:15], s[14:15] op_sel:[0,1]
	v_mad_u64_u32 v[4:5], s[8:9], s14, v2, v[4:5]
	v_mul_lo_u32 v6, s14, v6
	v_mul_lo_u32 v9, s15, v2
	v_add3_u32 v5, v9, v5, v6
	v_lshlrev_b64 v[4:5], 1, v[4:5]
	v_add_co_u32_e32 v54, vcc, s16, v4
	v_addc_co_u32_e32 v51, vcc, v7, v5, vcc
	v_add_co_u32_e32 v56, vcc, s18, v4
	v_addc_co_u32_e32 v53, vcc, v8, v5, vcc
	v_mad_u64_u32 v[4:5], s[8:9], s14, v2, 0
	v_add3_u32 v5, v5, v6, v9
	v_lshlrev_b64 v[4:5], 1, v[4:5]
	v_add_co_u32_e32 v58, vcc, s16, v4
	v_mbcnt_lo_u32_b32 v2, -1, 0
	v_addc_co_u32_e32 v55, vcc, v7, v5, vcc
	v_mbcnt_hi_u32_b32 v2, -1, v2
	s_add_u32 s36, s28, 0x7f
	v_add_co_u32_e32 v60, vcc, s18, v4
	v_lshlrev_b32_e32 v2, 2, v2
	s_mov_b32 s20, 0
	s_addc_u32 s37, 0, 0
	v_addc_co_u32_e32 v57, vcc, v8, v5, vcc
	v_and_b32_e32 v62, 0x100, v2
	s_mov_b64 s[38:39], s[28:29]
	v_mov_b32_e32 v63, 0
.LBB195_3:                              ; =>This Inner Loop Header: Depth=1
	v_pk_mov_b32 v[4:5], s[12:13], s[12:13] op_sel:[0,1]
	v_cmp_ge_i64_e32 vcc, s[36:37], v[4:5]
	v_mov_b32_e32 v2, s37
	v_add_co_u32_e64 v64, s[8:9], s36, v26
	v_addc_co_u32_e64 v65, s[8:9], 0, v2, s[8:9]
	s_cbranch_vccz .LBB195_25
; %bb.4:                                ;   in Loop: Header=BB195_3 Depth=1
	s_load_dword s8, s[30:31], 0xc
	v_mov_b32_e32 v66, 0
	s_waitcnt lgkmcnt(0)
	s_and_b32 s8, s8, 0xffff
	v_mad_u32_u24 v2, v61, s8, v59
	v_and_b32_e32 v2, 63, v2
	v_cmp_gt_u32_e32 vcc, 8, v2
	s_and_saveexec_b64 s[8:9], vcc
	s_cbranch_execz .LBB195_8
; %bb.5:                                ;   in Loop: Header=BB195_3 Depth=1
	v_add_co_u32_e32 v2, vcc, v64, v2
	v_addc_co_u32_e32 v5, vcc, 0, v65, vcc
	v_add_co_u32_e32 v4, vcc, 0xffffff81, v2
	v_addc_co_u32_e32 v5, vcc, -1, v5, vcc
	v_cmp_gt_i64_e32 vcc, s[12:13], v[4:5]
	v_mov_b32_e32 v66, 0
	s_and_saveexec_b64 s[22:23], vcc
	s_cbranch_execz .LBB195_7
; %bb.6:                                ;   in Loop: Header=BB195_3 Depth=1
	v_lshlrev_b64 v[4:5], 2, v[4:5]
	v_mov_b32_e32 v2, s11
	v_add_co_u32_e32 v4, vcc, s10, v4
	v_addc_co_u32_e32 v5, vcc, v2, v5, vcc
	global_load_dword v66, v[4:5], off
.LBB195_7:                              ;   in Loop: Header=BB195_3 Depth=1
	s_or_b64 exec, exec, s[22:23]
.LBB195_8:                              ;   in Loop: Header=BB195_3 Depth=1
	s_or_b64 exec, exec, s[8:9]
	s_mov_b32 s21, s20
	v_add_co_u32_e32 v4, vcc, 0xffffff81, v64
	s_mov_b32 s22, s20
	s_mov_b32 s23, s20
	;; [unrolled: 1-line block ×6, first 2 shown]
	v_pk_mov_b32 v[10:11], s[20:21], s[20:21] op_sel:[0,1]
	v_addc_co_u32_e32 v5, vcc, -1, v65, vcc
	v_pk_mov_b32 v[16:17], s[26:27], s[26:27] op_sel:[0,1]
	v_cmp_gt_i64_e32 vcc, s[12:13], v[4:5]
	v_pk_mov_b32 v[12:13], s[22:23], s[22:23] op_sel:[0,1]
	v_pk_mov_b32 v[14:15], s[24:25], s[24:25] op_sel:[0,1]
	;; [unrolled: 1-line block ×3, first 2 shown]
	s_and_b64 s[40:41], s[2:3], vcc
	v_pk_mov_b32 v[22:23], v[14:15], v[14:15] op_sel:[0,1]
	v_pk_mov_b32 v[20:21], v[12:13], v[12:13] op_sel:[0,1]
	;; [unrolled: 1-line block ×3, first 2 shown]
	s_and_saveexec_b64 s[8:9], s[40:41]
	s_cbranch_execz .LBB195_10
; %bb.9:                                ;   in Loop: Header=BB195_3 Depth=1
	v_add_co_u32_e32 v4, vcc, v58, v28
	v_addc_co_u32_e32 v5, vcc, v55, v29, vcc
	global_load_ushort v2, v[4:5], off
	v_add_co_u32_e32 v4, vcc, v60, v28
	v_addc_co_u32_e32 v5, vcc, v57, v29, vcc
	global_load_ushort v10, v[4:5], off
	v_mov_b32_e32 v8, v3
	v_mov_b32_e32 v9, v3
	;; [unrolled: 1-line block ×13, first 2 shown]
	s_waitcnt vmcnt(1)
	v_lshlrev_b32_e32 v2, 16, v2
	v_pk_mov_b32 v[24:25], v[8:9], v[8:9] op_sel:[0,1]
	v_pk_mov_b32 v[22:23], v[6:7], v[6:7] op_sel:[0,1]
	;; [unrolled: 1-line block ×4, first 2 shown]
	s_waitcnt vmcnt(0)
	v_lshlrev_b32_e32 v10, 16, v10
.LBB195_10:                             ;   in Loop: Header=BB195_3 Depth=1
	s_or_b64 exec, exec, s[8:9]
	v_add_co_u32_e32 v4, vcc, 0xffffff82, v64
	v_addc_co_u32_e32 v5, vcc, -1, v65, vcc
	v_cmp_gt_i64_e32 vcc, s[12:13], v[4:5]
	s_and_b64 s[22:23], s[2:3], vcc
	s_and_saveexec_b64 s[8:9], s[22:23]
	s_cbranch_execz .LBB195_12
; %bb.11:                               ;   in Loop: Header=BB195_3 Depth=1
	v_add_co_u32_e32 v4, vcc, v54, v28
	v_addc_co_u32_e32 v5, vcc, v51, v29, vcc
	global_load_ushort v2, v[4:5], off
	v_add_co_u32_e32 v4, vcc, v56, v28
	v_addc_co_u32_e32 v5, vcc, v53, v29, vcc
	global_load_ushort v4, v[4:5], off
	s_waitcnt vmcnt(1)
	v_lshlrev_b32_e32 v19, 16, v2
	s_waitcnt vmcnt(0)
	v_lshlrev_b32_e32 v11, 16, v4
.LBB195_12:                             ;   in Loop: Header=BB195_3 Depth=1
	s_or_b64 exec, exec, s[8:9]
	v_add_co_u32_e32 v4, vcc, 0xffffff83, v64
	v_addc_co_u32_e32 v5, vcc, -1, v65, vcc
	v_cmp_gt_i64_e32 vcc, s[12:13], v[4:5]
	s_and_b64 s[22:23], s[2:3], vcc
	s_and_saveexec_b64 s[8:9], s[22:23]
	s_cbranch_execz .LBB195_14
; %bb.13:                               ;   in Loop: Header=BB195_3 Depth=1
	v_add_co_u32_e32 v4, vcc, v50, v28
	v_addc_co_u32_e32 v5, vcc, v47, v29, vcc
	global_load_ushort v2, v[4:5], off
	v_add_co_u32_e32 v4, vcc, v52, v28
	v_addc_co_u32_e32 v5, vcc, v49, v29, vcc
	global_load_ushort v4, v[4:5], off
	s_waitcnt vmcnt(1)
	v_lshlrev_b32_e32 v20, 16, v2
	s_waitcnt vmcnt(0)
	v_lshlrev_b32_e32 v12, 16, v4
.LBB195_14:                             ;   in Loop: Header=BB195_3 Depth=1
	;; [unrolled: 19-line block ×7, first 2 shown]
	s_or_b64 exec, exec, s[8:9]
	s_waitcnt vmcnt(0)
	ds_bpermute_b32 v4, v62, v66 offset:4
	ds_bpermute_b32 v5, v62, v66 offset:8
	ds_bpermute_b32 v2, v62, v66
	v_mul_f32_e32 v8, v10, v18
	v_pk_mul_f32 v[10:11], v[10:11], v[18:19]
	v_pk_mul_f32 v[12:13], v[12:13], v[20:21]
	v_mov_b32_e32 v10, v11
	v_mov_b32_e32 v11, v12
	s_waitcnt lgkmcnt(1)
	v_pk_mul_f32 v[4:5], v[10:11], v[4:5]
	ds_bpermute_b32 v10, v62, v66 offset:12
	ds_bpermute_b32 v11, v62, v66 offset:16
	s_waitcnt lgkmcnt(2)
	v_fma_f32 v2, v8, v2, v63
	v_pk_mul_f32 v[8:9], v[14:15], v[22:23]
	v_add_f32_e32 v2, v2, v4
	v_add_f32_e32 v2, v2, v5
	v_mov_b32_e32 v4, v13
	v_mov_b32_e32 v5, v8
	s_waitcnt lgkmcnt(0)
	v_pk_mul_f32 v[4:5], v[4:5], v[10:11]
	ds_bpermute_b32 v10, v62, v66 offset:20
	ds_bpermute_b32 v11, v62, v66 offset:24
	v_pk_mul_f32 v[6:7], v[16:17], v[24:25]
	v_add_f32_e32 v2, v2, v4
	ds_bpermute_b32 v4, v62, v66 offset:28
	v_mov_b32_e32 v8, v9
	v_mov_b32_e32 v9, v6
	v_add_f32_e32 v2, v2, v5
	s_waitcnt lgkmcnt(1)
	v_pk_mul_f32 v[6:7], v[8:9], v[10:11]
	v_add_f32_e32 v2, v2, v6
	v_add_f32_e32 v2, v2, v7
	s_branch .LBB195_40
.LBB195_25:                             ;   in Loop: Header=BB195_3 Depth=1
                                        ; implicit-def: $vgpr2
                                        ; implicit-def: $vgpr10_vgpr11_vgpr12_vgpr13_vgpr14_vgpr15_vgpr16_vgpr17
                                        ; implicit-def: $vgpr18_vgpr19_vgpr20_vgpr21_vgpr22_vgpr23_vgpr24_vgpr25
                                        ; implicit-def: $vgpr4
	s_cbranch_execz .LBB195_40
; %bb.26:                               ;   in Loop: Header=BB195_3 Depth=1
	s_load_dword s8, s[30:31], 0x0
	v_mov_b32_e32 v66, 0
	s_waitcnt lgkmcnt(0)
	s_cmp_lt_u32 s6, s8
	s_cselect_b32 s8, 12, 18
	s_add_u32 s8, s30, s8
	s_addc_u32 s9, s31, 0
	global_load_ushort v2, v3, s[8:9]
	s_waitcnt vmcnt(0)
	v_mad_u32_u24 v2, v61, v2, v59
	v_and_b32_e32 v2, 63, v2
	v_cmp_gt_u32_e32 vcc, 8, v2
	s_and_saveexec_b64 s[8:9], vcc
	s_cbranch_execz .LBB195_30
; %bb.27:                               ;   in Loop: Header=BB195_3 Depth=1
	v_add_co_u32_e32 v2, vcc, v64, v2
	v_addc_co_u32_e32 v5, vcc, 0, v65, vcc
	v_add_co_u32_e32 v4, vcc, 0xffffff81, v2
	v_addc_co_u32_e32 v5, vcc, -1, v5, vcc
	v_cmp_gt_i64_e32 vcc, s[12:13], v[4:5]
	v_mov_b32_e32 v66, 0
	s_and_saveexec_b64 s[22:23], vcc
	s_cbranch_execz .LBB195_29
; %bb.28:                               ;   in Loop: Header=BB195_3 Depth=1
	v_lshlrev_b64 v[4:5], 2, v[4:5]
	v_mov_b32_e32 v2, s11
	v_add_co_u32_e32 v4, vcc, s10, v4
	v_addc_co_u32_e32 v5, vcc, v2, v5, vcc
	global_load_dword v66, v[4:5], off
.LBB195_29:                             ;   in Loop: Header=BB195_3 Depth=1
	s_or_b64 exec, exec, s[22:23]
.LBB195_30:                             ;   in Loop: Header=BB195_3 Depth=1
	s_or_b64 exec, exec, s[8:9]
	s_mov_b32 s21, s20
	s_mov_b32 s22, s20
	;; [unrolled: 1-line block ×7, first 2 shown]
	v_pk_mov_b32 v[10:11], s[20:21], s[20:21] op_sel:[0,1]
	v_pk_mov_b32 v[16:17], s[26:27], s[26:27] op_sel:[0,1]
	;; [unrolled: 1-line block ×8, first 2 shown]
	s_and_saveexec_b64 s[8:9], s[2:3]
	s_cbranch_execnz .LBB195_42
; %bb.31:                               ;   in Loop: Header=BB195_3 Depth=1
	s_or_b64 exec, exec, s[8:9]
	s_and_saveexec_b64 s[8:9], s[2:3]
	s_cbranch_execnz .LBB195_43
.LBB195_32:                             ;   in Loop: Header=BB195_3 Depth=1
	s_or_b64 exec, exec, s[8:9]
	s_and_saveexec_b64 s[8:9], s[2:3]
	s_cbranch_execnz .LBB195_44
.LBB195_33:                             ;   in Loop: Header=BB195_3 Depth=1
	s_or_b64 exec, exec, s[8:9]
	s_and_saveexec_b64 s[8:9], s[2:3]
	s_cbranch_execnz .LBB195_45
.LBB195_34:                             ;   in Loop: Header=BB195_3 Depth=1
	s_or_b64 exec, exec, s[8:9]
	s_and_saveexec_b64 s[8:9], s[2:3]
	s_cbranch_execnz .LBB195_46
.LBB195_35:                             ;   in Loop: Header=BB195_3 Depth=1
	s_or_b64 exec, exec, s[8:9]
	s_and_saveexec_b64 s[8:9], s[2:3]
	s_cbranch_execnz .LBB195_47
.LBB195_36:                             ;   in Loop: Header=BB195_3 Depth=1
	s_or_b64 exec, exec, s[8:9]
	s_and_saveexec_b64 s[8:9], s[2:3]
	s_cbranch_execnz .LBB195_48
.LBB195_37:                             ;   in Loop: Header=BB195_3 Depth=1
	s_or_b64 exec, exec, s[8:9]
	s_and_saveexec_b64 s[8:9], s[2:3]
	s_cbranch_execz .LBB195_39
.LBB195_38:                             ;   in Loop: Header=BB195_3 Depth=1
	v_add_co_u32_e32 v4, vcc, v30, v28
	v_addc_co_u32_e32 v5, vcc, v1, v29, vcc
	global_load_ushort v2, v[4:5], off
	v_add_co_u32_e32 v4, vcc, v32, v28
	v_addc_co_u32_e32 v5, vcc, v27, v29, vcc
	global_load_ushort v4, v[4:5], off
	s_waitcnt vmcnt(1)
	v_lshlrev_b32_e32 v25, 16, v2
	s_waitcnt vmcnt(0)
	v_lshlrev_b32_e32 v17, 16, v4
.LBB195_39:                             ;   in Loop: Header=BB195_3 Depth=1
	s_or_b64 exec, exec, s[8:9]
	s_waitcnt vmcnt(0)
	ds_bpermute_b32 v4, v62, v66 offset:4
	ds_bpermute_b32 v5, v62, v66 offset:8
	ds_bpermute_b32 v2, v62, v66
	v_mul_f32_e32 v8, v10, v18
	v_pk_mul_f32 v[10:11], v[10:11], v[18:19]
	v_pk_mul_f32 v[12:13], v[12:13], v[20:21]
	v_mov_b32_e32 v10, v11
	v_mov_b32_e32 v11, v12
	s_waitcnt lgkmcnt(1)
	v_pk_mul_f32 v[4:5], v[10:11], v[4:5]
	ds_bpermute_b32 v10, v62, v66 offset:12
	ds_bpermute_b32 v11, v62, v66 offset:16
	s_waitcnt lgkmcnt(2)
	v_fmac_f32_e32 v63, v8, v2
	v_pk_mul_f32 v[8:9], v[14:15], v[22:23]
	v_add_f32_e32 v2, v63, v4
	v_add_f32_e32 v2, v2, v5
	v_mov_b32_e32 v4, v13
	v_mov_b32_e32 v5, v8
	s_waitcnt lgkmcnt(0)
	v_pk_mul_f32 v[4:5], v[4:5], v[10:11]
	ds_bpermute_b32 v10, v62, v66 offset:20
	ds_bpermute_b32 v11, v62, v66 offset:24
	v_pk_mul_f32 v[6:7], v[16:17], v[24:25]
	v_add_f32_e32 v2, v2, v4
	v_mov_b32_e32 v8, v9
	v_mov_b32_e32 v9, v6
	v_add_f32_e32 v2, v2, v5
	s_waitcnt lgkmcnt(0)
	v_pk_mul_f32 v[6:7], v[8:9], v[10:11]
	v_add_f32_e32 v2, v2, v6
	ds_bpermute_b32 v4, v62, v66 offset:28
	v_add_f32_e32 v2, v2, v7
.LBB195_40:                             ;   in Loop: Header=BB195_3 Depth=1
	v_mul_f32_e32 v5, v25, v17
	s_waitcnt lgkmcnt(0)
	v_fmac_f32_e32 v2, v5, v4
	v_mov_b32_e32 v4, s35
	v_add_co_u32_e32 v30, vcc, s34, v30
	v_addc_co_u32_e32 v1, vcc, v1, v4, vcc
	v_add_co_u32_e32 v32, vcc, s34, v32
	v_addc_co_u32_e32 v27, vcc, v27, v4, vcc
	;; [unrolled: 2-line block ×15, first 2 shown]
	s_add_u32 s38, s38, s7
	v_add_co_u32_e32 v60, vcc, s34, v60
	s_addc_u32 s39, s39, 0
	v_addc_co_u32_e32 v57, vcc, v57, v4, vcc
	v_pk_mov_b32 v[4:5], s[12:13], s[12:13] op_sel:[0,1]
	s_add_u32 s36, s36, s7
	v_cmp_lt_i64_e32 vcc, s[38:39], v[4:5]
	s_addc_u32 s37, s37, 0
	s_cbranch_vccz .LBB195_50
; %bb.41:                               ;   in Loop: Header=BB195_3 Depth=1
	v_mov_b32_e32 v63, v2
	s_branch .LBB195_3
.LBB195_42:                             ;   in Loop: Header=BB195_3 Depth=1
	v_add_co_u32_e32 v4, vcc, v58, v28
	v_addc_co_u32_e32 v5, vcc, v55, v29, vcc
	global_load_ushort v2, v[4:5], off
	v_add_co_u32_e32 v4, vcc, v60, v28
	v_addc_co_u32_e32 v5, vcc, v57, v29, vcc
	global_load_ushort v10, v[4:5], off
	v_mov_b32_e32 v8, v3
	v_mov_b32_e32 v9, v3
	;; [unrolled: 1-line block ×13, first 2 shown]
	s_waitcnt vmcnt(1)
	v_lshlrev_b32_e32 v2, 16, v2
	v_pk_mov_b32 v[24:25], v[8:9], v[8:9] op_sel:[0,1]
	v_pk_mov_b32 v[22:23], v[6:7], v[6:7] op_sel:[0,1]
	;; [unrolled: 1-line block ×4, first 2 shown]
	s_waitcnt vmcnt(0)
	v_lshlrev_b32_e32 v10, 16, v10
	s_or_b64 exec, exec, s[8:9]
	s_and_saveexec_b64 s[8:9], s[2:3]
	s_cbranch_execz .LBB195_32
.LBB195_43:                             ;   in Loop: Header=BB195_3 Depth=1
	v_add_co_u32_e32 v4, vcc, v54, v28
	v_addc_co_u32_e32 v5, vcc, v51, v29, vcc
	global_load_ushort v2, v[4:5], off
	v_add_co_u32_e32 v4, vcc, v56, v28
	v_addc_co_u32_e32 v5, vcc, v53, v29, vcc
	global_load_ushort v4, v[4:5], off
	s_waitcnt vmcnt(1)
	v_lshlrev_b32_e32 v19, 16, v2
	s_waitcnt vmcnt(0)
	v_lshlrev_b32_e32 v11, 16, v4
	s_or_b64 exec, exec, s[8:9]
	s_and_saveexec_b64 s[8:9], s[2:3]
	s_cbranch_execz .LBB195_33
.LBB195_44:                             ;   in Loop: Header=BB195_3 Depth=1
	v_add_co_u32_e32 v4, vcc, v50, v28
	v_addc_co_u32_e32 v5, vcc, v47, v29, vcc
	global_load_ushort v2, v[4:5], off
	v_add_co_u32_e32 v4, vcc, v52, v28
	v_addc_co_u32_e32 v5, vcc, v49, v29, vcc
	global_load_ushort v4, v[4:5], off
	s_waitcnt vmcnt(1)
	v_lshlrev_b32_e32 v20, 16, v2
	s_waitcnt vmcnt(0)
	v_lshlrev_b32_e32 v12, 16, v4
	s_or_b64 exec, exec, s[8:9]
	s_and_saveexec_b64 s[8:9], s[2:3]
	s_cbranch_execz .LBB195_34
.LBB195_45:                             ;   in Loop: Header=BB195_3 Depth=1
	v_add_co_u32_e32 v4, vcc, v46, v28
	v_addc_co_u32_e32 v5, vcc, v43, v29, vcc
	global_load_ushort v2, v[4:5], off
	v_add_co_u32_e32 v4, vcc, v48, v28
	v_addc_co_u32_e32 v5, vcc, v45, v29, vcc
	global_load_ushort v4, v[4:5], off
	s_waitcnt vmcnt(1)
	v_lshlrev_b32_e32 v21, 16, v2
	s_waitcnt vmcnt(0)
	v_lshlrev_b32_e32 v13, 16, v4
	s_or_b64 exec, exec, s[8:9]
	s_and_saveexec_b64 s[8:9], s[2:3]
	s_cbranch_execz .LBB195_35
.LBB195_46:                             ;   in Loop: Header=BB195_3 Depth=1
	v_add_co_u32_e32 v4, vcc, v42, v28
	v_addc_co_u32_e32 v5, vcc, v39, v29, vcc
	global_load_ushort v2, v[4:5], off
	v_add_co_u32_e32 v4, vcc, v44, v28
	v_addc_co_u32_e32 v5, vcc, v41, v29, vcc
	global_load_ushort v4, v[4:5], off
	s_waitcnt vmcnt(1)
	v_lshlrev_b32_e32 v22, 16, v2
	s_waitcnt vmcnt(0)
	v_lshlrev_b32_e32 v14, 16, v4
	s_or_b64 exec, exec, s[8:9]
	s_and_saveexec_b64 s[8:9], s[2:3]
	s_cbranch_execz .LBB195_36
.LBB195_47:                             ;   in Loop: Header=BB195_3 Depth=1
	v_add_co_u32_e32 v4, vcc, v38, v28
	v_addc_co_u32_e32 v5, vcc, v35, v29, vcc
	global_load_ushort v2, v[4:5], off
	v_add_co_u32_e32 v4, vcc, v40, v28
	v_addc_co_u32_e32 v5, vcc, v37, v29, vcc
	global_load_ushort v4, v[4:5], off
	s_waitcnt vmcnt(1)
	v_lshlrev_b32_e32 v23, 16, v2
	s_waitcnt vmcnt(0)
	v_lshlrev_b32_e32 v15, 16, v4
	s_or_b64 exec, exec, s[8:9]
	s_and_saveexec_b64 s[8:9], s[2:3]
	s_cbranch_execz .LBB195_37
.LBB195_48:                             ;   in Loop: Header=BB195_3 Depth=1
	v_add_co_u32_e32 v4, vcc, v34, v28
	v_addc_co_u32_e32 v5, vcc, v31, v29, vcc
	global_load_ushort v2, v[4:5], off
	v_add_co_u32_e32 v4, vcc, v36, v28
	v_addc_co_u32_e32 v5, vcc, v33, v29, vcc
	global_load_ushort v4, v[4:5], off
	s_waitcnt vmcnt(1)
	v_lshlrev_b32_e32 v24, 16, v2
	s_waitcnt vmcnt(0)
	v_lshlrev_b32_e32 v16, 16, v4
	s_or_b64 exec, exec, s[8:9]
	s_and_saveexec_b64 s[8:9], s[2:3]
	s_cbranch_execnz .LBB195_38
	s_branch .LBB195_39
.LBB195_49:
                                        ; implicit-def: $vgpr2
	s_branch .LBB195_51
.LBB195_50:
	s_cbranch_execnz .LBB195_83
.LBB195_51:
	s_and_b64 vcc, exec, s[0:1]
	v_mov_b32_e32 v2, 0
	s_cbranch_vccnz .LBB195_83
; %bb.52:
	s_load_dword s0, s[4:5], 0x44
	s_add_u32 s2, s4, 64
	s_addc_u32 s3, s5, 0
	v_bfe_u32 v85, v0, 10, 10
	v_lshlrev_b32_e32 v1, 4, v85
	s_waitcnt lgkmcnt(0)
	s_lshl_b32 s7, s0, 7
	s_add_u32 s8, s28, 0x7f
	s_addc_u32 s9, 0, 0
	s_lshl_b64 s[0:1], s[28:29], 1
	v_mov_b32_e32 v2, s1
	v_add_co_u32_e32 v1, vcc, s0, v1
	v_addc_co_u32_e32 v4, vcc, 0, v2, vcc
	v_add_co_u32_e32 v6, vcc, 2, v1
	v_addc_co_u32_e32 v5, vcc, 0, v4, vcc
	v_add_co_u32_e32 v9, vcc, 4, v1
	v_mul_lo_u32 v7, s14, v5
	v_addc_co_u32_e32 v5, vcc, 0, v4, vcc
	v_add_co_u32_e32 v12, vcc, 6, v1
	v_mul_lo_u32 v10, s14, v5
	;; [unrolled: 3-line block ×5, first 2 shown]
	v_addc_co_u32_e32 v5, vcc, 0, v4, vcc
	v_add_co_u32_e32 v24, vcc, 14, v1
	v_lshlrev_b32_e32 v26, 3, v85
	v_addc_co_u32_e32 v1, vcc, 0, v4, vcc
	v_mul_lo_u32 v25, s14, v1
	v_mov_b32_e32 v1, s29
	v_add_co_u32_e32 v43, vcc, s28, v26
	v_pk_mov_b32 v[2:3], s[16:17], s[16:17] op_sel:[0,1]
	v_addc_co_u32_e32 v59, vcc, 0, v1, vcc
	v_mad_u64_u32 v[28:29], s[0:1], s14, v6, v[2:3]
	v_mad_u64_u32 v[30:31], s[0:1], s14, v9, v[2:3]
	;; [unrolled: 1-line block ×7, first 2 shown]
	v_mul_lo_u32 v60, s15, v43
	v_mul_lo_u32 v61, s14, v59
	v_mad_u64_u32 v[2:3], s[0:1], s14, v43, 0
	v_add3_u32 v3, v3, v61, v60
	v_lshlrev_b64 v[2:3], 1, v[2:3]
	v_mul_lo_u32 v22, s14, v5
	v_mov_b32_e32 v81, s17
	v_add_co_u32_e32 v42, vcc, s16, v2
	v_pk_mov_b32 v[4:5], s[18:19], s[18:19] op_sel:[0,1]
	v_mul_lo_u32 v17, s15, v15
	v_addc_co_u32_e32 v1, vcc, v81, v3, vcc
	v_mad_u64_u32 v[50:51], s[0:1], s14, v15, v[4:5]
	v_add3_u32 v35, v17, v35, v16
	v_mul_lo_u32 v27, s15, v24
	v_add3_u32 v51, v17, v51, v16
	v_mad_u64_u32 v[56:57], s[0:1], s14, v24, v[4:5]
	v_mov_b32_e32 v16, s19
	v_add_co_u32_e32 v58, vcc, s18, v2
	v_add3_u32 v41, v27, v41, v25
	v_add3_u32 v57, v27, v57, v25
	v_addc_co_u32_e32 v27, vcc, v16, v3, vcc
	v_add_co_u32_e32 v2, vcc, 7, v43
	v_addc_co_u32_e32 v3, vcc, 0, v59, vcc
	v_mad_u64_u32 v[44:45], s[0:1], s14, v6, v[4:5]
	v_mad_u64_u32 v[46:47], s[0:1], s14, v9, v[4:5]
	;; [unrolled: 1-line block ×5, first 2 shown]
	v_mul_lo_u32 v4, s15, v2
	v_mul_lo_u32 v5, s14, v3
	v_mad_u64_u32 v[2:3], s[0:1], s14, v2, 0
	v_add3_u32 v3, v3, v5, v4
	v_add_co_u32_e32 v4, vcc, 6, v43
	v_mul_lo_u32 v8, s15, v6
	v_addc_co_u32_e32 v5, vcc, 0, v59, vcc
	v_add3_u32 v29, v8, v29, v7
	v_add3_u32 v45, v8, v45, v7
	v_mul_lo_u32 v6, s15, v4
	v_mul_lo_u32 v7, s14, v5
	v_mad_u64_u32 v[4:5], s[0:1], s14, v4, 0
	v_add3_u32 v5, v5, v7, v6
	v_add_co_u32_e32 v6, vcc, 5, v43
	v_addc_co_u32_e32 v7, vcc, 0, v59, vcc
	v_mul_lo_u32 v11, s15, v9
	v_mul_lo_u32 v8, s15, v6
	;; [unrolled: 1-line block ×3, first 2 shown]
	v_mad_u64_u32 v[6:7], s[0:1], s14, v6, 0
	v_add3_u32 v7, v7, v9, v8
	v_add_co_u32_e32 v8, vcc, 4, v43
	v_addc_co_u32_e32 v9, vcc, 0, v59, vcc
	v_add3_u32 v31, v11, v31, v10
	v_add3_u32 v47, v11, v47, v10
	v_mul_lo_u32 v10, s15, v8
	v_mul_lo_u32 v11, s14, v9
	v_mad_u64_u32 v[8:9], s[0:1], s14, v8, 0
	v_add3_u32 v9, v9, v11, v10
	v_add_co_u32_e32 v10, vcc, 3, v43
	v_mul_lo_u32 v14, s15, v12
	v_addc_co_u32_e32 v11, vcc, 0, v59, vcc
	v_add3_u32 v33, v14, v33, v13
	v_add3_u32 v49, v14, v49, v13
	v_mul_lo_u32 v12, s15, v10
	v_mul_lo_u32 v13, s14, v11
	v_mad_u64_u32 v[10:11], s[0:1], s14, v10, 0
	v_add3_u32 v11, v11, v13, v12
	v_add_co_u32_e32 v12, vcc, 2, v43
	v_addc_co_u32_e32 v13, vcc, 0, v59, vcc
	v_mul_lo_u32 v14, s15, v12
	v_mul_lo_u32 v15, s14, v13
	v_mad_u64_u32 v[12:13], s[0:1], s14, v12, 0
	v_add3_u32 v13, v13, v15, v14
	v_pk_mov_b32 v[14:15], s[14:15], s[14:15] op_sel:[0,1]
	v_lshlrev_b64 v[2:3], 1, v[2:3]
	v_mad_u64_u32 v[14:15], s[0:1], s14, v43, v[14:15]
	v_add3_u32 v15, v60, v15, v61
	v_add_co_u32_e32 v60, vcc, s16, v2
	v_addc_co_u32_e32 v43, vcc, v81, v3, vcc
	v_add_co_u32_e32 v62, vcc, s18, v2
	v_addc_co_u32_e32 v59, vcc, v16, v3, vcc
	v_lshlrev_b64 v[2:3], 1, v[4:5]
	v_add_co_u32_e32 v64, vcc, s16, v2
	v_addc_co_u32_e32 v61, vcc, v81, v3, vcc
	v_add_co_u32_e32 v66, vcc, s18, v2
	v_addc_co_u32_e32 v63, vcc, v16, v3, vcc
	v_lshlrev_b64 v[2:3], 1, v[6:7]
	;; [unrolled: 5-line block ×6, first 2 shown]
	v_add_co_u32_e32 v84, vcc, s16, v2
	v_addc_co_u32_e32 v81, vcc, v81, v3, vcc
	v_mbcnt_lo_u32_b32 v4, -1, 0
	v_add_co_u32_e32 v86, vcc, s18, v2
	v_and_b32_e32 v87, 0x3ff, v0
	s_mul_i32 s0, s15, s7
	s_mul_hi_u32 s1, s14, s7
	v_mbcnt_hi_u32_b32 v4, -1, v4
	v_mul_lo_u32 v20, s15, v18
	v_mul_lo_u32 v23, s15, v21
	v_addc_co_u32_e32 v83, vcc, v16, v3, vcc
	v_add_u32_e32 v2, s33, v87
	v_mov_b32_e32 v3, 0
	s_add_i32 s1, s1, s0
	s_mul_i32 s0, s14, s7
	v_lshlrev_b32_e32 v4, 2, v4
	v_add3_u32 v37, v20, v37, v19
	v_add3_u32 v39, v23, v39, v22
	;; [unrolled: 1-line block ×4, first 2 shown]
	s_mov_b32 s16, 0
	s_lshl_b64 s[24:25], s[0:1], 1
	v_and_b32_e32 v90, 0x100, v4
	v_mov_b32_e32 v91, 0
	v_lshlrev_b64 v[88:89], 1, v[2:3]
.LBB195_53:                             ; =>This Inner Loop Header: Depth=1
	v_pk_mov_b32 v[4:5], s[12:13], s[12:13] op_sel:[0,1]
	v_cmp_ge_i64_e32 vcc, s[8:9], v[4:5]
	v_mov_b32_e32 v2, s9
	v_add_co_u32_e64 v92, s[0:1], s8, v26
	v_addc_co_u32_e64 v93, s[0:1], 0, v2, s[0:1]
	s_cbranch_vccz .LBB195_75
; %bb.54:                               ;   in Loop: Header=BB195_53 Depth=1
	s_load_dword s0, s[2:3], 0xc
	v_mov_b32_e32 v94, 0
	s_waitcnt lgkmcnt(0)
	s_and_b32 s0, s0, 0xffff
	v_mad_u32_u24 v2, v85, s0, v87
	v_and_b32_e32 v2, 63, v2
	v_cmp_gt_u32_e32 vcc, 8, v2
	s_and_saveexec_b64 s[0:1], vcc
	s_cbranch_execz .LBB195_58
; %bb.55:                               ;   in Loop: Header=BB195_53 Depth=1
	v_add_co_u32_e32 v2, vcc, v92, v2
	v_addc_co_u32_e32 v5, vcc, 0, v93, vcc
	v_add_co_u32_e32 v4, vcc, 0xffffff81, v2
	v_addc_co_u32_e32 v5, vcc, -1, v5, vcc
	v_cmp_gt_i64_e32 vcc, s[12:13], v[4:5]
	v_mov_b32_e32 v94, 0
	s_and_saveexec_b64 s[18:19], vcc
	s_cbranch_execz .LBB195_57
; %bb.56:                               ;   in Loop: Header=BB195_53 Depth=1
	v_lshlrev_b64 v[4:5], 2, v[4:5]
	v_mov_b32_e32 v2, s11
	v_add_co_u32_e32 v4, vcc, s10, v4
	v_addc_co_u32_e32 v5, vcc, v2, v5, vcc
	global_load_dword v94, v[4:5], off
.LBB195_57:                             ;   in Loop: Header=BB195_53 Depth=1
	s_or_b64 exec, exec, s[18:19]
.LBB195_58:                             ;   in Loop: Header=BB195_53 Depth=1
	s_or_b64 exec, exec, s[0:1]
	s_mov_b32 s17, s16
	s_mov_b32 s18, s16
	;; [unrolled: 1-line block ×7, first 2 shown]
	v_pk_mov_b32 v[10:11], s[16:17], s[16:17] op_sel:[0,1]
	v_add_co_u32_e32 v4, vcc, 0xffffff81, v92
	v_pk_mov_b32 v[16:17], s[22:23], s[22:23] op_sel:[0,1]
	v_addc_co_u32_e32 v5, vcc, -1, v93, vcc
	v_pk_mov_b32 v[12:13], s[18:19], s[18:19] op_sel:[0,1]
	v_pk_mov_b32 v[14:15], s[20:21], s[20:21] op_sel:[0,1]
	;; [unrolled: 1-line block ×3, first 2 shown]
	v_cmp_gt_i64_e32 vcc, s[12:13], v[4:5]
	v_pk_mov_b32 v[22:23], v[14:15], v[14:15] op_sel:[0,1]
	v_pk_mov_b32 v[20:21], v[12:13], v[12:13] op_sel:[0,1]
	;; [unrolled: 1-line block ×3, first 2 shown]
	s_and_saveexec_b64 s[0:1], vcc
	s_cbranch_execz .LBB195_60
; %bb.59:                               ;   in Loop: Header=BB195_53 Depth=1
	v_add_co_u32_e32 v4, vcc, v42, v88
	v_addc_co_u32_e32 v5, vcc, v1, v89, vcc
	global_load_ushort v2, v[4:5], off
	v_add_co_u32_e32 v4, vcc, v58, v88
	v_addc_co_u32_e32 v5, vcc, v27, v89, vcc
	global_load_ushort v10, v[4:5], off
	v_mov_b32_e32 v8, v3
	v_mov_b32_e32 v9, v3
	;; [unrolled: 1-line block ×13, first 2 shown]
	s_waitcnt vmcnt(1)
	v_lshlrev_b32_e32 v2, 16, v2
	v_pk_mov_b32 v[24:25], v[8:9], v[8:9] op_sel:[0,1]
	v_pk_mov_b32 v[22:23], v[6:7], v[6:7] op_sel:[0,1]
	;; [unrolled: 1-line block ×4, first 2 shown]
	s_waitcnt vmcnt(0)
	v_lshlrev_b32_e32 v10, 16, v10
.LBB195_60:                             ;   in Loop: Header=BB195_53 Depth=1
	s_or_b64 exec, exec, s[0:1]
	v_add_co_u32_e32 v4, vcc, 0xffffff82, v92
	v_addc_co_u32_e32 v5, vcc, -1, v93, vcc
	v_cmp_gt_i64_e32 vcc, s[12:13], v[4:5]
	s_and_saveexec_b64 s[0:1], vcc
	s_cbranch_execz .LBB195_62
; %bb.61:                               ;   in Loop: Header=BB195_53 Depth=1
	v_add_co_u32_e32 v4, vcc, v84, v88
	v_addc_co_u32_e32 v5, vcc, v81, v89, vcc
	global_load_ushort v2, v[4:5], off
	v_add_co_u32_e32 v4, vcc, v86, v88
	v_addc_co_u32_e32 v5, vcc, v83, v89, vcc
	global_load_ushort v4, v[4:5], off
	s_waitcnt vmcnt(1)
	v_lshlrev_b32_e32 v19, 16, v2
	s_waitcnt vmcnt(0)
	v_lshlrev_b32_e32 v11, 16, v4
.LBB195_62:                             ;   in Loop: Header=BB195_53 Depth=1
	s_or_b64 exec, exec, s[0:1]
	v_add_co_u32_e32 v4, vcc, 0xffffff83, v92
	v_addc_co_u32_e32 v5, vcc, -1, v93, vcc
	v_cmp_gt_i64_e32 vcc, s[12:13], v[4:5]
	s_and_saveexec_b64 s[0:1], vcc
	s_cbranch_execz .LBB195_64
; %bb.63:                               ;   in Loop: Header=BB195_53 Depth=1
	v_add_co_u32_e32 v4, vcc, v80, v88
	v_addc_co_u32_e32 v5, vcc, v77, v89, vcc
	global_load_ushort v2, v[4:5], off
	v_add_co_u32_e32 v4, vcc, v82, v88
	v_addc_co_u32_e32 v5, vcc, v79, v89, vcc
	global_load_ushort v4, v[4:5], off
	s_waitcnt vmcnt(1)
	v_lshlrev_b32_e32 v20, 16, v2
	s_waitcnt vmcnt(0)
	v_lshlrev_b32_e32 v12, 16, v4
.LBB195_64:                             ;   in Loop: Header=BB195_53 Depth=1
	;; [unrolled: 18-line block ×7, first 2 shown]
	s_or_b64 exec, exec, s[0:1]
	s_waitcnt vmcnt(0)
	ds_bpermute_b32 v4, v90, v94
	ds_bpermute_b32 v5, v90, v94 offset:4
	v_pk_mul_f32 v[8:9], v[14:15], v[22:23]
	ds_bpermute_b32 v14, v90, v94 offset:8
	ds_bpermute_b32 v15, v90, v94 offset:12
	v_pk_mul_f32 v[10:11], v[10:11], v[18:19]
	s_waitcnt lgkmcnt(2)
	v_pk_mul_f32 v[4:5], v[10:11], v[4:5]
	ds_bpermute_b32 v10, v90, v94 offset:16
	ds_bpermute_b32 v11, v90, v94 offset:20
	v_pk_mul_f32 v[12:13], v[12:13], v[20:21]
	v_add_f32_e32 v2, v91, v4
	v_add_f32_e32 v2, v2, v5
	s_waitcnt lgkmcnt(2)
	v_pk_mul_f32 v[4:5], v[12:13], v[14:15]
	ds_bpermute_b32 v12, v90, v94 offset:24
	ds_bpermute_b32 v13, v90, v94 offset:28
	v_add_f32_e32 v2, v2, v4
	v_add_f32_e32 v2, v2, v5
	s_waitcnt lgkmcnt(2)
	v_pk_mul_f32 v[4:5], v[8:9], v[10:11]
	v_pk_mul_f32 v[6:7], v[16:17], v[24:25]
	v_add_f32_e32 v2, v2, v4
	v_add_f32_e32 v2, v2, v5
	s_waitcnt lgkmcnt(0)
	v_pk_mul_f32 v[4:5], v[6:7], v[12:13]
	v_add_f32_e32 v2, v2, v4
	v_add_f32_e32 v2, v2, v5
	s_branch .LBB195_81
.LBB195_75:                             ;   in Loop: Header=BB195_53 Depth=1
                                        ; implicit-def: $vgpr2
	s_cbranch_execz .LBB195_81
; %bb.76:                               ;   in Loop: Header=BB195_53 Depth=1
	s_load_dword s0, s[2:3], 0x0
	s_waitcnt lgkmcnt(0)
	s_cmp_lt_u32 s6, s0
	s_cselect_b32 s0, 12, 18
	s_add_u32 s0, s2, s0
	s_addc_u32 s1, s3, 0
	global_load_ushort v2, v3, s[0:1]
	s_waitcnt vmcnt(0)
	v_mad_u32_u24 v2, v85, v2, v87
	v_and_b32_e32 v4, 63, v2
	v_cmp_gt_u32_e32 vcc, 8, v4
	v_mov_b32_e32 v2, 0
	s_and_saveexec_b64 s[0:1], vcc
	s_cbranch_execz .LBB195_80
; %bb.77:                               ;   in Loop: Header=BB195_53 Depth=1
	v_add_co_u32_e32 v2, vcc, v92, v4
	v_addc_co_u32_e32 v5, vcc, 0, v93, vcc
	v_add_co_u32_e32 v4, vcc, 0xffffff81, v2
	v_addc_co_u32_e32 v5, vcc, -1, v5, vcc
	v_cmp_gt_i64_e32 vcc, s[12:13], v[4:5]
	v_mov_b32_e32 v2, 0
	s_and_saveexec_b64 s[18:19], vcc
	s_cbranch_execz .LBB195_79
; %bb.78:                               ;   in Loop: Header=BB195_53 Depth=1
	v_lshlrev_b64 v[4:5], 2, v[4:5]
	v_mov_b32_e32 v2, s11
	v_add_co_u32_e32 v4, vcc, s10, v4
	v_addc_co_u32_e32 v5, vcc, v2, v5, vcc
	global_load_dword v2, v[4:5], off
.LBB195_79:                             ;   in Loop: Header=BB195_53 Depth=1
	s_or_b64 exec, exec, s[18:19]
.LBB195_80:                             ;   in Loop: Header=BB195_53 Depth=1
	s_or_b64 exec, exec, s[0:1]
	v_add_co_u32_e32 v4, vcc, v42, v88
	v_addc_co_u32_e32 v5, vcc, v1, v89, vcc
	v_add_co_u32_e32 v6, vcc, v58, v88
	v_addc_co_u32_e32 v7, vcc, v27, v89, vcc
	;; [unrolled: 2-line block ×6, first 2 shown]
	global_load_ushort v92, v[4:5], off
	global_load_ushort v93, v[8:9], off
	;; [unrolled: 1-line block ×4, first 2 shown]
	v_add_co_u32_e32 v16, vcc, v32, v88
	v_addc_co_u32_e32 v17, vcc, v33, v89, vcc
	v_add_co_u32_e32 v18, vcc, v48, v88
	v_addc_co_u32_e32 v19, vcc, v49, v89, vcc
	;; [unrolled: 2-line block ×3, first 2 shown]
	v_add_co_u32_e32 v22, vcc, v50, v88
	global_load_ushort v16, v[16:17], off
	s_nop 0
	global_load_ushort v12, v[12:13], off
	s_nop 0
	;; [unrolled: 2-line block ×3, first 2 shown]
	global_load_ushort v14, v[14:15], off
	v_addc_co_u32_e32 v23, vcc, v51, v89, vcc
	v_add_co_u32_e32 v24, vcc, v36, v88
	v_addc_co_u32_e32 v25, vcc, v37, v89, vcc
	v_add_co_u32_e32 v4, vcc, v52, v88
	;; [unrolled: 2-line block ×3, first 2 shown]
	v_addc_co_u32_e32 v7, vcc, v39, v89, vcc
	global_load_ushort v15, v[20:21], off
	global_load_ushort v17, v[24:25], off
	;; [unrolled: 1-line block ×4, first 2 shown]
	v_add_co_u32_e32 v8, vcc, v54, v88
	v_addc_co_u32_e32 v9, vcc, v55, v89, vcc
	v_add_co_u32_e32 v4, vcc, v40, v88
	v_addc_co_u32_e32 v5, vcc, v41, v89, vcc
	;; [unrolled: 2-line block ×3, first 2 shown]
	global_load_ushort v20, v[4:5], off
	global_load_ushort v21, v[6:7], off
	s_nop 0
	global_load_ushort v10, v[10:11], off
	s_nop 0
	global_load_ushort v11, v[8:9], off
	s_waitcnt vmcnt(16)
	ds_bpermute_b32 v4, v90, v2
	ds_bpermute_b32 v5, v90, v2 offset:4
	s_waitcnt vmcnt(15)
	v_lshlrev_b32_e32 v6, 16, v92
	s_waitcnt vmcnt(14)
	v_lshlrev_b32_e32 v7, 16, v93
	s_waitcnt vmcnt(13)
	v_lshlrev_b32_e32 v8, 16, v94
	s_waitcnt vmcnt(12)
	v_lshlrev_b32_e32 v9, 16, v95
	v_pk_mul_f32 v[6:7], v[6:7], v[8:9]
	s_waitcnt lgkmcnt(0)
	v_pk_mul_f32 v[4:5], v[6:7], v[4:5]
	v_add_f32_e32 v4, v91, v4
	v_add_f32_e32 v22, v4, v5
	ds_bpermute_b32 v4, v90, v2 offset:8
	ds_bpermute_b32 v5, v90, v2 offset:12
	s_waitcnt vmcnt(11)
	v_lshlrev_b32_e32 v7, 16, v16
	s_waitcnt vmcnt(10)
	v_lshlrev_b32_e32 v6, 16, v12
	s_waitcnt vmcnt(9)
	v_lshlrev_b32_e32 v9, 16, v13
	s_waitcnt vmcnt(8)
	v_lshlrev_b32_e32 v8, 16, v14
	v_pk_mul_f32 v[6:7], v[6:7], v[8:9]
	s_waitcnt lgkmcnt(0)
	v_pk_mul_f32 v[4:5], v[6:7], v[4:5]
	v_add_f32_e32 v4, v22, v4
	v_add_f32_e32 v12, v4, v5
	ds_bpermute_b32 v4, v90, v2 offset:16
	;; [unrolled: 15-line block ×3, first 2 shown]
	ds_bpermute_b32 v5, v90, v2 offset:28
	s_waitcnt vmcnt(3)
	v_lshlrev_b32_e32 v7, 16, v20
	s_waitcnt vmcnt(2)
	v_lshlrev_b32_e32 v6, 16, v21
	;; [unrolled: 2-line block ×4, first 2 shown]
	v_pk_mul_f32 v[6:7], v[6:7], v[8:9]
	s_waitcnt lgkmcnt(0)
	v_pk_mul_f32 v[4:5], v[6:7], v[4:5]
	v_add_f32_e32 v2, v12, v4
	v_add_f32_e32 v2, v2, v5
.LBB195_81:                             ;   in Loop: Header=BB195_53 Depth=1
	s_add_u32 s28, s28, s7
	s_addc_u32 s29, s29, 0
	v_pk_mov_b32 v[4:5], s[12:13], s[12:13] op_sel:[0,1]
	v_cmp_ge_i64_e32 vcc, s[28:29], v[4:5]
	v_mov_b32_e32 v4, s25
	v_add_co_u32_e64 v28, s[0:1], s24, v28
	v_addc_co_u32_e64 v29, s[0:1], v29, v4, s[0:1]
	v_add_co_u32_e64 v30, s[0:1], s24, v30
	v_addc_co_u32_e64 v31, s[0:1], v31, v4, s[0:1]
	;; [unrolled: 2-line block ×29, first 2 shown]
	v_add_co_u32_e64 v86, s[0:1], s24, v86
	s_add_u32 s8, s8, s7
	v_addc_co_u32_e64 v83, s[0:1], v83, v4, s[0:1]
	s_addc_u32 s9, s9, 0
	s_cbranch_vccnz .LBB195_83
; %bb.82:                               ;   in Loop: Header=BB195_53 Depth=1
	v_mov_b32_e32 v91, v2
	s_branch .LBB195_53
.LBB195_83:
	v_bfe_u32 v1, v0, 10, 10
	v_and_b32_e32 v3, 0x3ff, v0
	s_movk_i32 s0, 0x41
	v_mad_u32_u24 v0, v1, s0, v3
	v_lshl_add_u32 v0, v0, 2, 0
	ds_write_b32 v0, v2
	v_mov_b32_e32 v2, 0
	ds_write_b32 v0, v2 offset:4160
	v_lshrrev_b32_e32 v0, 6, v3
	v_add_u32_e32 v2, v0, v1
	s_mov_b32 s7, 0
	v_cmp_gt_u32_e32 vcc, 64, v2
	s_waitcnt lgkmcnt(0)
	s_barrier
	s_and_saveexec_b64 s[0:1], vcc
	s_cbranch_execz .LBB195_90
; %bb.84:
	v_mbcnt_lo_u32_b32 v5, -1, 0
	v_mbcnt_hi_u32_b32 v7, -1, v5
	v_and_b32_e32 v4, 63, v3
	v_and_b32_e32 v5, 64, v7
	v_cmp_gt_u32_e32 vcc, 16, v4
	v_add_u32_e32 v8, 64, v5
	v_cmp_ne_u32_e64 s[0:1], 0, v3
	v_mul_u32_u24_e32 v3, 0x104, v4
	v_xor_b32_e32 v4, 8, v7
	v_cmp_lt_i32_e64 s[2:3], v4, v8
	v_xor_b32_e32 v5, 4, v7
	v_cndmask_b32_e64 v4, v7, v4, s[2:3]
	v_cmp_lt_i32_e64 s[2:3], v5, v8
	v_xor_b32_e32 v6, 2, v7
	v_cndmask_b32_e64 v5, v7, v5, s[2:3]
	;; [unrolled: 3-line block ×3, first 2 shown]
	v_cmp_lt_i32_e64 s[2:3], v9, v8
	s_load_dwordx2 s[10:11], s[4:5], 0x30
	v_cndmask_b32_e64 v7, v7, v9, s[2:3]
	v_add_co_u32_e64 v0, s[2:3], v0, v1
	s_lshl_b64 s[4:5], s[6:7], 6
	v_lshlrev_b32_e32 v2, 2, v2
	v_addc_co_u32_e64 v1, s[2:3], 0, 0, s[2:3]
	v_add3_u32 v8, v3, v2, 0
	v_mov_b32_e32 v3, s5
	v_add_co_u32_e64 v2, s[2:3], s4, v0
	v_addc_co_u32_e64 v3, s[2:3], v1, v3, s[2:3]
	v_lshlrev_b64 v[2:3], 1, v[2:3]
	s_waitcnt lgkmcnt(0)
	s_cmp_eq_u64 s[10:11], 0
	v_mov_b32_e32 v9, s11
	v_add_co_u32_e64 v2, s[2:3], s10, v2
	s_mov_b64 s[6:7], 0
	s_cselect_b64 s[8:9], -1, 0
	v_lshlrev_b32_e32 v4, 2, v4
	v_lshlrev_b32_e32 v5, 2, v5
	;; [unrolled: 1-line block ×4, first 2 shown]
	v_addc_co_u32_e64 v3, s[2:3], v9, v3, s[2:3]
	v_mov_b32_e32 v9, s5
	s_movk_i32 s5, 0x7fff
	v_mov_b32_e32 v10, 0x7fc0
                                        ; implicit-def: $vgpr11
	s_branch .LBB195_86
.LBB195_85:                             ;   in Loop: Header=BB195_86 Depth=1
	s_or_b64 exec, exec, s[10:11]
	v_add_co_u32_e64 v0, s[2:3], 16, v0
	v_addc_co_u32_e64 v1, s[2:3], 0, v1, s[2:3]
	v_add_u32_e32 v12, -16, v0
	v_cmp_lt_u32_e64 s[2:3], 47, v12
	s_or_b64 s[6:7], s[2:3], s[6:7]
	v_add_co_u32_e64 v2, s[2:3], 32, v2
	v_add_u32_e32 v8, 64, v8
	v_addc_co_u32_e64 v3, s[2:3], 0, v3, s[2:3]
	s_andn2_b64 exec, exec, s[6:7]
	s_cbranch_execz .LBB195_90
.LBB195_86:                             ; =>This Inner Loop Header: Depth=1
	s_and_saveexec_b64 s[2:3], vcc
	s_cbranch_execz .LBB195_88
; %bb.87:                               ;   in Loop: Header=BB195_86 Depth=1
	ds_read_b32 v11, v8
.LBB195_88:                             ;   in Loop: Header=BB195_86 Depth=1
	s_or_b64 exec, exec, s[2:3]
	s_waitcnt lgkmcnt(0)
	ds_bpermute_b32 v12, v4, v11
	s_waitcnt lgkmcnt(0)
	v_add_f32_e32 v11, v11, v12
	ds_bpermute_b32 v12, v5, v11
	s_waitcnt lgkmcnt(0)
	v_add_f32_e32 v11, v11, v12
	;; [unrolled: 3-line block ×3, first 2 shown]
	ds_bpermute_b32 v14, v7, v11
	v_add_co_u32_e64 v12, s[2:3], s4, v0
	v_addc_co_u32_e64 v13, s[2:3], v9, v1, s[2:3]
	v_cmp_le_i64_e64 s[2:3], s[14:15], v[12:13]
	s_or_b64 s[2:3], s[0:1], s[2:3]
	s_or_b64 s[2:3], s[8:9], s[2:3]
	s_waitcnt lgkmcnt(0)
	v_add_f32_e32 v11, v11, v14
	s_xor_b64 s[2:3], s[2:3], -1
	s_and_saveexec_b64 s[10:11], s[2:3]
	s_cbranch_execz .LBB195_85
; %bb.89:                               ;   in Loop: Header=BB195_86 Depth=1
	v_bfe_u32 v12, v11, 16, 1
	v_add3_u32 v12, v11, v12, s5
	v_lshrrev_b32_e32 v12, 16, v12
	v_cmp_o_f32_e64 s[2:3], v11, v11
	v_cndmask_b32_e64 v12, v10, v12, s[2:3]
	global_store_short v[2:3], v12, off
	s_branch .LBB195_85
.LBB195_90:
	s_endpgm
	.section	.rodata,"a",@progbits
	.p2align	6, 0x0
	.amdhsa_kernel _ZN2at6native12_GLOBAL__N_135GammaBetaBackwardCUDAKernelTemplateIN3c108BFloat16EfLj64ELj16ELj128ELb0ELb0ELb1EEEvllPKT_S7_PKT0_SA_PS5_SB_
		.amdhsa_group_segment_fixed_size 0
		.amdhsa_private_segment_fixed_size 0
		.amdhsa_kernarg_size 320
		.amdhsa_user_sgpr_count 6
		.amdhsa_user_sgpr_private_segment_buffer 1
		.amdhsa_user_sgpr_dispatch_ptr 0
		.amdhsa_user_sgpr_queue_ptr 0
		.amdhsa_user_sgpr_kernarg_segment_ptr 1
		.amdhsa_user_sgpr_dispatch_id 0
		.amdhsa_user_sgpr_flat_scratch_init 0
		.amdhsa_user_sgpr_kernarg_preload_length 0
		.amdhsa_user_sgpr_kernarg_preload_offset 0
		.amdhsa_user_sgpr_private_segment_size 0
		.amdhsa_uses_dynamic_stack 0
		.amdhsa_system_sgpr_private_segment_wavefront_offset 0
		.amdhsa_system_sgpr_workgroup_id_x 1
		.amdhsa_system_sgpr_workgroup_id_y 1
		.amdhsa_system_sgpr_workgroup_id_z 0
		.amdhsa_system_sgpr_workgroup_info 0
		.amdhsa_system_vgpr_workitem_id 1
		.amdhsa_next_free_vgpr 96
		.amdhsa_next_free_sgpr 42
		.amdhsa_accum_offset 96
		.amdhsa_reserve_vcc 1
		.amdhsa_reserve_flat_scratch 0
		.amdhsa_float_round_mode_32 0
		.amdhsa_float_round_mode_16_64 0
		.amdhsa_float_denorm_mode_32 3
		.amdhsa_float_denorm_mode_16_64 3
		.amdhsa_dx10_clamp 1
		.amdhsa_ieee_mode 1
		.amdhsa_fp16_overflow 0
		.amdhsa_tg_split 0
		.amdhsa_exception_fp_ieee_invalid_op 0
		.amdhsa_exception_fp_denorm_src 0
		.amdhsa_exception_fp_ieee_div_zero 0
		.amdhsa_exception_fp_ieee_overflow 0
		.amdhsa_exception_fp_ieee_underflow 0
		.amdhsa_exception_fp_ieee_inexact 0
		.amdhsa_exception_int_div_zero 0
	.end_amdhsa_kernel
	.section	.text._ZN2at6native12_GLOBAL__N_135GammaBetaBackwardCUDAKernelTemplateIN3c108BFloat16EfLj64ELj16ELj128ELb0ELb0ELb1EEEvllPKT_S7_PKT0_SA_PS5_SB_,"axG",@progbits,_ZN2at6native12_GLOBAL__N_135GammaBetaBackwardCUDAKernelTemplateIN3c108BFloat16EfLj64ELj16ELj128ELb0ELb0ELb1EEEvllPKT_S7_PKT0_SA_PS5_SB_,comdat
.Lfunc_end195:
	.size	_ZN2at6native12_GLOBAL__N_135GammaBetaBackwardCUDAKernelTemplateIN3c108BFloat16EfLj64ELj16ELj128ELb0ELb0ELb1EEEvllPKT_S7_PKT0_SA_PS5_SB_, .Lfunc_end195-_ZN2at6native12_GLOBAL__N_135GammaBetaBackwardCUDAKernelTemplateIN3c108BFloat16EfLj64ELj16ELj128ELb0ELb0ELb1EEEvllPKT_S7_PKT0_SA_PS5_SB_
                                        ; -- End function
	.section	.AMDGPU.csdata,"",@progbits
; Kernel info:
; codeLenInByte = 7252
; NumSgprs: 46
; NumVgprs: 96
; NumAgprs: 0
; TotalNumVgprs: 96
; ScratchSize: 0
; MemoryBound: 0
; FloatMode: 240
; IeeeMode: 1
; LDSByteSize: 0 bytes/workgroup (compile time only)
; SGPRBlocks: 5
; VGPRBlocks: 11
; NumSGPRsForWavesPerEU: 46
; NumVGPRsForWavesPerEU: 96
; AccumOffset: 96
; Occupancy: 5
; WaveLimiterHint : 0
; COMPUTE_PGM_RSRC2:SCRATCH_EN: 0
; COMPUTE_PGM_RSRC2:USER_SGPR: 6
; COMPUTE_PGM_RSRC2:TRAP_HANDLER: 0
; COMPUTE_PGM_RSRC2:TGID_X_EN: 1
; COMPUTE_PGM_RSRC2:TGID_Y_EN: 1
; COMPUTE_PGM_RSRC2:TGID_Z_EN: 0
; COMPUTE_PGM_RSRC2:TIDIG_COMP_CNT: 1
; COMPUTE_PGM_RSRC3_GFX90A:ACCUM_OFFSET: 23
; COMPUTE_PGM_RSRC3_GFX90A:TG_SPLIT: 0
	.section	.text._ZN2at6native12_GLOBAL__N_135GammaBetaBackwardCUDAKernelTemplateIN3c108BFloat16EfLj64ELj16ELj256ELb0ELb1ELb1EEEvllPKT_S7_PKT0_SA_PS5_SB_,"axG",@progbits,_ZN2at6native12_GLOBAL__N_135GammaBetaBackwardCUDAKernelTemplateIN3c108BFloat16EfLj64ELj16ELj256ELb0ELb1ELb1EEEvllPKT_S7_PKT0_SA_PS5_SB_,comdat
	.globl	_ZN2at6native12_GLOBAL__N_135GammaBetaBackwardCUDAKernelTemplateIN3c108BFloat16EfLj64ELj16ELj256ELb0ELb1ELb1EEEvllPKT_S7_PKT0_SA_PS5_SB_ ; -- Begin function _ZN2at6native12_GLOBAL__N_135GammaBetaBackwardCUDAKernelTemplateIN3c108BFloat16EfLj64ELj16ELj256ELb0ELb1ELb1EEEvllPKT_S7_PKT0_SA_PS5_SB_
	.p2align	8
	.type	_ZN2at6native12_GLOBAL__N_135GammaBetaBackwardCUDAKernelTemplateIN3c108BFloat16EfLj64ELj16ELj256ELb0ELb1ELb1EEEvllPKT_S7_PKT0_SA_PS5_SB_,@function
_ZN2at6native12_GLOBAL__N_135GammaBetaBackwardCUDAKernelTemplateIN3c108BFloat16EfLj64ELj16ELj256ELb0ELb1ELb1EEEvllPKT_S7_PKT0_SA_PS5_SB_: ; @_ZN2at6native12_GLOBAL__N_135GammaBetaBackwardCUDAKernelTemplateIN3c108BFloat16EfLj64ELj16ELj256ELb0ELb1ELb1EEEvllPKT_S7_PKT0_SA_PS5_SB_
; %bb.0:
	s_load_dwordx4 s[8:11], s[4:5], 0x0
	s_lshl_b32 s16, s7, 8
	s_mov_b32 s17, 0
	v_bfe_u32 v11, v0, 10, 10
	s_waitcnt lgkmcnt(0)
	v_pk_mov_b32 v[2:3], s[8:9], s[8:9] op_sel:[0,1]
	v_cmp_lt_i64_e32 vcc, s[16:17], v[2:3]
	s_cbranch_vccnz .LBB196_2
; %bb.1:
	s_mov_b64 s[0:1], 0
	v_bfe_u32 v1, v0, 10, 10
	s_branch .LBB196_3
.LBB196_2:
	s_mov_b64 s[0:1], -1
                                        ; implicit-def: $vgpr1
.LBB196_3:
	s_load_dwordx2 s[2:3], s[4:5], 0x30
	v_and_b32_e32 v6, 0x3ff, v0
	s_andn2_b64 vcc, exec, s[0:1]
	v_mov_b32_e32 v3, s17
	v_mbcnt_lo_u32_b32 v10, -1, 0
	s_cbranch_vccnz .LBB196_11
; %bb.4:
	s_load_dword s0, s[4:5], 0x4c
	s_load_dword s7, s[4:5], 0x44
	s_load_dwordx4 s[12:15], s[4:5], 0x10
	s_load_dwordx2 s[18:19], s[4:5], 0x28
	v_mbcnt_hi_u32_b32 v4, -1, v10
	v_lshlrev_b32_e32 v0, 4, v11
	s_waitcnt lgkmcnt(0)
	s_and_b32 s0, s0, 0xffff
	v_lshlrev_b32_e32 v4, 2, v4
	v_mad_u32_u24 v1, v11, s0, v6
	v_and_b32_e32 v12, 0x100, v4
	v_mov_b32_e32 v4, s17
	v_add_co_u32_e32 v7, vcc, s16, v0
	v_and_b32_e32 v1, 63, v1
	v_addc_co_u32_e32 v8, vcc, 0, v4, vcc
	v_add_co_u32_e32 v0, vcc, v7, v1
	v_cmp_gt_u32_e64 s[0:1], 16, v1
	v_addc_co_u32_e32 v1, vcc, 0, v8, vcc
	v_lshlrev_b64 v[4:5], 2, v[0:1]
	v_mov_b32_e32 v9, s19
	v_add_co_u32_e32 v4, vcc, s18, v4
	s_lshl_b32 s4, s7, 8
	v_addc_co_u32_e32 v5, vcc, v9, v5, vcc
	v_mul_lo_u32 v28, s11, v7
	v_mul_lo_u32 v29, s10, v8
	v_mad_u64_u32 v[8:9], s[20:21], s10, v7, 0
	v_mov_b32_e32 v3, 0
	v_lshl_add_u32 v2, s6, 6, v6
	v_add3_u32 v9, v9, v29, v28
	s_mul_i32 s7, s11, s4
	s_mul_hi_u32 s20, s10, s4
	s_mov_b32 s5, 0
	v_lshlrev_b64 v[8:9], 1, v[8:9]
	v_lshlrev_b64 v[28:29], 1, v[2:3]
	s_add_i32 s21, s20, s7
	s_mul_i32 s20, s10, s4
	s_lshl_b64 s[18:19], s[4:5], 2
	v_add_co_u32_e32 v2, vcc, v8, v28
	s_lshl_b64 s[20:21], s[20:21], 1
	s_lshl_b64 s[10:11], s[10:11], 1
	v_or_b32_e32 v13, 4, v12
	v_or_b32_e32 v14, 8, v12
	;; [unrolled: 1-line block ×15, first 2 shown]
	v_addc_co_u32_e32 v7, vcc, v9, v29, vcc
	v_mov_b32_e32 v28, s13
	v_mov_b32_e32 v29, s15
	;; [unrolled: 1-line block ×6, first 2 shown]
	v_pk_mov_b32 v[8:9], s[8:9], s[8:9] op_sel:[0,1]
	s_branch .LBB196_7
.LBB196_5:                              ;   in Loop: Header=BB196_7 Depth=1
	s_or_b64 exec, exec, s[24:25]
.LBB196_6:                              ;   in Loop: Header=BB196_7 Depth=1
	s_or_b64 exec, exec, s[22:23]
	v_add_co_u32_e32 v36, vcc, s12, v2
	v_addc_co_u32_e32 v37, vcc, v28, v7, vcc
	v_add_co_u32_e32 v38, vcc, s14, v2
	v_addc_co_u32_e32 v39, vcc, v29, v7, vcc
	global_load_ushort v35, v[36:37], off
	v_add_co_u32_e32 v36, vcc, s10, v36
	v_addc_co_u32_e32 v37, vcc, v37, v30, vcc
	global_load_ushort v50, v[38:39], off
	;; [unrolled: 3-line block ×6, first 2 shown]
	global_load_ushort v55, v[38:39], off
	v_add_co_u32_e32 v38, vcc, s10, v38
	v_addc_co_u32_e32 v39, vcc, v39, v30, vcc
	global_load_ushort v57, v[38:39], off
	v_add_co_u32_e32 v36, vcc, s10, v36
	s_waitcnt vmcnt(8)
	ds_bpermute_b32 v58, v12, v34
	v_addc_co_u32_e32 v37, vcc, v37, v30, vcc
	ds_bpermute_b32 v59, v13, v34
	v_add_co_u32_e32 v38, vcc, s10, v38
	v_addc_co_u32_e32 v39, vcc, v39, v30, vcc
	v_add_co_u32_e32 v40, vcc, s10, v36
	v_addc_co_u32_e32 v41, vcc, v37, v30, vcc
	;; [unrolled: 2-line block ×6, first 2 shown]
	s_add_u32 s16, s16, s4
	s_addc_u32 s17, s17, 0
	s_waitcnt vmcnt(7)
	v_lshlrev_b32_e32 v35, 16, v35
	s_waitcnt vmcnt(6)
	v_lshlrev_b32_e32 v50, 16, v50
	v_mul_f32_e32 v35, v35, v50
	s_waitcnt lgkmcnt(1)
	v_fmac_f32_e32 v3, v35, v58
	v_add_co_u32_e32 v50, vcc, s10, v46
	s_waitcnt vmcnt(5)
	v_lshlrev_b32_e32 v60, 16, v52
	v_addc_co_u32_e32 v51, vcc, v47, v30, vcc
	v_add_co_u32_e32 v52, vcc, s10, v48
	s_waitcnt vmcnt(4)
	v_lshlrev_b32_e32 v61, 16, v53
	v_addc_co_u32_e32 v53, vcc, v49, v30, vcc
	s_waitcnt vmcnt(3)
	v_lshlrev_b32_e32 v62, 16, v54
	v_mul_f32_e32 v54, v60, v61
	s_waitcnt lgkmcnt(0)
	v_fmac_f32_e32 v3, v54, v59
	ds_bpermute_b32 v59, v15, v34
	v_add_co_u32_e32 v54, vcc, s10, v50
	s_waitcnt vmcnt(2)
	v_lshlrev_b32_e32 v35, 16, v56
	ds_bpermute_b32 v56, v14, v34
	s_waitcnt vmcnt(1)
	v_lshlrev_b32_e32 v63, 16, v55
	v_addc_co_u32_e32 v55, vcc, v51, v30, vcc
	s_waitcnt vmcnt(0)
	v_lshlrev_b32_e32 v58, 16, v57
	v_mul_f32_e32 v57, v62, v63
	s_waitcnt lgkmcnt(0)
	v_fmac_f32_e32 v3, v57, v56
	v_mul_f32_e32 v35, v35, v58
	v_fmac_f32_e32 v3, v35, v59
	global_load_ushort v35, v[40:41], off
	global_load_ushort v60, v[36:37], off
	;; [unrolled: 1-line block ×5, first 2 shown]
	v_add_co_u32_e32 v56, vcc, s10, v52
	v_addc_co_u32_e32 v57, vcc, v53, v30, vcc
	v_add_co_u32_e32 v58, vcc, s10, v54
	global_load_ushort v48, v[44:45], off
	global_load_ushort v49, v[50:51], off
	v_addc_co_u32_e32 v59, vcc, v55, v30, vcc
	global_load_ushort v50, v[46:47], off
	global_load_ushort v51, v[56:57], off
	v_add_co_u32_e32 v40, vcc, s10, v56
	v_addc_co_u32_e32 v41, vcc, v57, v30, vcc
	v_add_co_u32_e32 v36, vcc, s10, v58
	v_addc_co_u32_e32 v37, vcc, v59, v30, vcc
	;; [unrolled: 2-line block ×3, first 2 shown]
	global_load_ushort v56, v[52:53], off
	global_load_ushort v57, v[58:59], off
	v_add_co_u32_e32 v42, vcc, s10, v36
	global_load_ushort v52, v[54:55], off
	global_load_ushort v53, v[38:39], off
	v_addc_co_u32_e32 v43, vcc, v37, v30, vcc
	v_add_co_u32_e32 v44, vcc, s10, v38
	v_addc_co_u32_e32 v45, vcc, v39, v30, vcc
	v_add_co_u32_e32 v46, vcc, s10, v42
	;; [unrolled: 2-line block ×3, first 2 shown]
	global_load_ushort v54, v[40:41], off
	global_load_ushort v55, v[42:43], off
	v_addc_co_u32_e32 v39, vcc, v45, v30, vcc
	global_load_ushort v42, v[36:37], off
	global_load_ushort v43, v[38:39], off
	v_add_co_u32_e32 v40, vcc, s10, v38
	v_addc_co_u32_e32 v41, vcc, v39, v30, vcc
	v_add_co_u32_e32 v36, vcc, s10, v46
	v_addc_co_u32_e32 v37, vcc, v47, v30, vcc
	global_load_ushort v44, v[44:45], off
	s_nop 0
	global_load_ushort v45, v[36:37], off
	global_load_ushort v58, v[46:47], off
	v_add_co_u32_e32 v38, vcc, s10, v36
	v_addc_co_u32_e32 v39, vcc, v37, v30, vcc
	v_add_co_u32_e32 v36, vcc, s10, v40
	v_addc_co_u32_e32 v37, vcc, v41, v30, vcc
	global_load_ushort v46, v[36:37], off
	global_load_ushort v47, v[40:41], off
	v_add_co_u32_e32 v36, vcc, s10, v38
	v_addc_co_u32_e32 v37, vcc, v39, v30, vcc
	global_load_ushort v59, v[38:39], off
	global_load_ushort v64, v[36:37], off
	v_add_co_u32_e32 v4, vcc, s18, v4
	v_addc_co_u32_e32 v5, vcc, v5, v31, vcc
	v_add_co_u32_e32 v0, vcc, s4, v0
	v_addc_co_u32_e32 v1, vcc, v1, v32, vcc
	;; [unrolled: 2-line block ×3, first 2 shown]
	s_waitcnt vmcnt(22)
	v_lshlrev_b32_e32 v36, 16, v60
	v_lshlrev_b32_e32 v37, 16, v35
	s_waitcnt vmcnt(20)
	v_lshlrev_b32_e32 v38, 16, v62
	v_lshlrev_b32_e32 v39, 16, v61
	v_pk_mul_f32 v[36:37], v[36:37], v[38:39]
	ds_bpermute_b32 v38, v16, v34
	ds_bpermute_b32 v39, v17, v34
	v_cmp_lt_i64_e32 vcc, s[16:17], v[8:9]
	s_waitcnt vmcnt(17)
	v_lshlrev_b32_e32 v41, 16, v49
	s_and_b64 vcc, exec, vcc
	s_waitcnt vmcnt(16)
	v_lshlrev_b32_e32 v40, 16, v50
	s_waitcnt lgkmcnt(0)
	v_pk_mul_f32 v[36:37], v[36:37], v[38:39]
	v_add_f32_e32 v3, v3, v36
	v_add_f32_e32 v3, v3, v37
	ds_bpermute_b32 v36, v18, v34
	ds_bpermute_b32 v37, v19, v34
	v_lshlrev_b32_e32 v38, 16, v48
	v_lshlrev_b32_e32 v39, 16, v63
	v_pk_mul_f32 v[38:39], v[38:39], v[40:41]
	s_waitcnt lgkmcnt(0)
	v_pk_mul_f32 v[36:37], v[38:39], v[36:37]
	v_add_f32_e32 v3, v3, v36
	v_add_f32_e32 v3, v3, v37
	ds_bpermute_b32 v36, v20, v34
	ds_bpermute_b32 v37, v21, v34
	s_waitcnt vmcnt(14)
	v_lshlrev_b32_e32 v38, 16, v56
	v_lshlrev_b32_e32 v39, 16, v51
	s_waitcnt vmcnt(12)
	v_lshlrev_b32_e32 v40, 16, v52
	v_lshlrev_b32_e32 v41, 16, v57
	v_pk_mul_f32 v[38:39], v[38:39], v[40:41]
	s_waitcnt lgkmcnt(0)
	v_pk_mul_f32 v[36:37], v[38:39], v[36:37]
	v_add_f32_e32 v3, v3, v36
	v_add_f32_e32 v3, v3, v37
	ds_bpermute_b32 v36, v22, v34
	ds_bpermute_b32 v37, v23, v34
	s_waitcnt vmcnt(11)
	v_lshlrev_b32_e32 v39, 16, v53
	s_waitcnt vmcnt(10)
	v_lshlrev_b32_e32 v38, 16, v54
	;; [unrolled: 2-line block ×4, first 2 shown]
	v_pk_mul_f32 v[38:39], v[38:39], v[40:41]
	s_waitcnt lgkmcnt(0)
	v_pk_mul_f32 v[36:37], v[38:39], v[36:37]
	v_add_f32_e32 v3, v3, v36
	v_add_f32_e32 v3, v3, v37
	ds_bpermute_b32 v36, v24, v34
	ds_bpermute_b32 v37, v25, v34
	s_waitcnt vmcnt(7)
	v_lshlrev_b32_e32 v39, 16, v43
	s_waitcnt vmcnt(6)
	v_lshlrev_b32_e32 v38, 16, v44
	;; [unrolled: 2-line block ×3, first 2 shown]
	v_lshlrev_b32_e32 v41, 16, v45
	v_pk_mul_f32 v[38:39], v[38:39], v[40:41]
	s_waitcnt lgkmcnt(0)
	v_pk_mul_f32 v[36:37], v[38:39], v[36:37]
	v_add_f32_e32 v3, v3, v36
	v_add_f32_e32 v3, v3, v37
	ds_bpermute_b32 v36, v26, v34
	ds_bpermute_b32 v37, v27, v34
	s_waitcnt vmcnt(3)
	v_lshlrev_b32_e32 v35, 16, v46
	s_waitcnt vmcnt(2)
	v_lshlrev_b32_e32 v34, 16, v47
	s_waitcnt vmcnt(1)
	v_lshlrev_b32_e32 v38, 16, v59
	s_waitcnt vmcnt(0)
	v_lshlrev_b32_e32 v39, 16, v64
	v_pk_mul_f32 v[34:35], v[34:35], v[38:39]
	s_waitcnt lgkmcnt(0)
	v_pk_mul_f32 v[34:35], v[34:35], v[36:37]
	v_add_f32_e32 v3, v3, v34
	v_add_f32_e32 v3, v3, v35
	s_cbranch_vccz .LBB196_10
.LBB196_7:                              ; =>This Inner Loop Header: Depth=1
	v_mov_b32_e32 v34, 0
	s_and_saveexec_b64 s[22:23], s[0:1]
	s_cbranch_execz .LBB196_6
; %bb.8:                                ;   in Loop: Header=BB196_7 Depth=1
	v_cmp_gt_i64_e32 vcc, s[8:9], v[0:1]
	v_mov_b32_e32 v34, 0
	s_and_saveexec_b64 s[24:25], vcc
	s_cbranch_execz .LBB196_5
; %bb.9:                                ;   in Loop: Header=BB196_7 Depth=1
	global_load_dword v34, v[4:5], off
	s_branch .LBB196_5
.LBB196_10:
	v_mov_b32_e32 v1, v11
.LBB196_11:
	s_movk_i32 s0, 0x41
	v_mad_u32_u24 v0, v1, s0, v6
	v_lshl_add_u32 v0, v0, 2, 0
	v_mov_b32_e32 v2, 0
	ds_write_b32 v0, v3
	ds_write_b32 v0, v2 offset:4160
	v_lshrrev_b32_e32 v0, 6, v6
	v_add_u32_e32 v7, v0, v1
	s_mov_b32 s7, 0
	v_cmp_gt_u32_e32 vcc, 64, v7
	s_waitcnt lgkmcnt(0)
	s_barrier
	s_and_saveexec_b64 s[0:1], vcc
	s_cbranch_execz .LBB196_18
; %bb.12:
	v_mbcnt_hi_u32_b32 v5, -1, v10
	v_and_b32_e32 v2, 63, v6
	v_and_b32_e32 v3, 64, v5
	s_cmp_lg_u64 s[2:3], 0
	v_cmp_gt_u32_e32 vcc, 16, v2
	v_add_u32_e32 v8, 64, v3
	v_cmp_eq_u32_e64 s[0:1], 0, v6
	s_cselect_b64 s[8:9], -1, 0
	v_mul_u32_u24_e32 v6, 0x104, v2
	v_xor_b32_e32 v2, 8, v5
	s_and_b64 s[8:9], s[0:1], s[8:9]
	v_cmp_lt_i32_e64 s[0:1], v2, v8
	v_xor_b32_e32 v3, 4, v5
	v_cndmask_b32_e64 v2, v5, v2, s[0:1]
	v_cmp_lt_i32_e64 s[0:1], v3, v8
	v_xor_b32_e32 v4, 2, v5
	v_cndmask_b32_e64 v3, v5, v3, s[0:1]
	;; [unrolled: 3-line block ×3, first 2 shown]
	v_cmp_lt_i32_e64 s[0:1], v9, v8
	v_cndmask_b32_e64 v5, v5, v9, s[0:1]
	v_add_co_u32_e64 v0, s[0:1], v0, v1
	s_lshl_b64 s[6:7], s[6:7], 7
	v_addc_co_u32_e64 v1, s[0:1], 0, 0, s[0:1]
	s_add_u32 s0, s2, s6
	v_lshlrev_b32_e32 v8, 2, v7
	v_lshlrev_b64 v[0:1], 1, v[0:1]
	s_addc_u32 s1, s3, s7
	v_add3_u32 v6, v6, v8, 0
	v_mov_b32_e32 v8, s1
	v_add_co_u32_e64 v0, s[0:1], s0, v0
	s_mov_b64 s[4:5], 0
	v_lshlrev_b32_e32 v2, 2, v2
	v_lshlrev_b32_e32 v3, 2, v3
	;; [unrolled: 1-line block ×4, first 2 shown]
	v_add_u32_e32 v7, -16, v7
	v_addc_co_u32_e64 v1, s[0:1], v8, v1, s[0:1]
	s_movk_i32 s6, 0x7fff
	v_mov_b32_e32 v8, 0x7fc0
                                        ; implicit-def: $vgpr9
	s_branch .LBB196_14
.LBB196_13:                             ;   in Loop: Header=BB196_14 Depth=1
	s_or_b64 exec, exec, s[2:3]
	v_add_u32_e32 v7, 16, v7
	v_cmp_lt_u32_e64 s[0:1], 47, v7
	s_or_b64 s[4:5], s[0:1], s[4:5]
	v_add_co_u32_e64 v0, s[0:1], 32, v0
	v_add_u32_e32 v6, 64, v6
	v_addc_co_u32_e64 v1, s[0:1], 0, v1, s[0:1]
	s_andn2_b64 exec, exec, s[4:5]
	s_cbranch_execz .LBB196_18
.LBB196_14:                             ; =>This Inner Loop Header: Depth=1
	s_and_saveexec_b64 s[0:1], vcc
	s_cbranch_execz .LBB196_16
; %bb.15:                               ;   in Loop: Header=BB196_14 Depth=1
	ds_read_b32 v9, v6
.LBB196_16:                             ;   in Loop: Header=BB196_14 Depth=1
	s_or_b64 exec, exec, s[0:1]
	s_waitcnt lgkmcnt(0)
	ds_bpermute_b32 v10, v2, v9
	s_waitcnt lgkmcnt(0)
	v_add_f32_e32 v9, v9, v10
	ds_bpermute_b32 v10, v3, v9
	s_waitcnt lgkmcnt(0)
	v_add_f32_e32 v9, v9, v10
	;; [unrolled: 3-line block ×4, first 2 shown]
	s_and_saveexec_b64 s[2:3], s[8:9]
	s_cbranch_execz .LBB196_13
; %bb.17:                               ;   in Loop: Header=BB196_14 Depth=1
	v_bfe_u32 v10, v9, 16, 1
	v_add3_u32 v10, v9, v10, s6
	v_lshrrev_b32_e32 v10, 16, v10
	v_cmp_o_f32_e64 s[0:1], v9, v9
	v_cndmask_b32_e64 v10, v8, v10, s[0:1]
	global_store_short v[0:1], v10, off
	s_branch .LBB196_13
.LBB196_18:
	s_endpgm
	.section	.rodata,"a",@progbits
	.p2align	6, 0x0
	.amdhsa_kernel _ZN2at6native12_GLOBAL__N_135GammaBetaBackwardCUDAKernelTemplateIN3c108BFloat16EfLj64ELj16ELj256ELb0ELb1ELb1EEEvllPKT_S7_PKT0_SA_PS5_SB_
		.amdhsa_group_segment_fixed_size 0
		.amdhsa_private_segment_fixed_size 0
		.amdhsa_kernarg_size 320
		.amdhsa_user_sgpr_count 6
		.amdhsa_user_sgpr_private_segment_buffer 1
		.amdhsa_user_sgpr_dispatch_ptr 0
		.amdhsa_user_sgpr_queue_ptr 0
		.amdhsa_user_sgpr_kernarg_segment_ptr 1
		.amdhsa_user_sgpr_dispatch_id 0
		.amdhsa_user_sgpr_flat_scratch_init 0
		.amdhsa_user_sgpr_kernarg_preload_length 0
		.amdhsa_user_sgpr_kernarg_preload_offset 0
		.amdhsa_user_sgpr_private_segment_size 0
		.amdhsa_uses_dynamic_stack 0
		.amdhsa_system_sgpr_private_segment_wavefront_offset 0
		.amdhsa_system_sgpr_workgroup_id_x 1
		.amdhsa_system_sgpr_workgroup_id_y 1
		.amdhsa_system_sgpr_workgroup_id_z 0
		.amdhsa_system_sgpr_workgroup_info 0
		.amdhsa_system_vgpr_workitem_id 1
		.amdhsa_next_free_vgpr 65
		.amdhsa_next_free_sgpr 26
		.amdhsa_accum_offset 68
		.amdhsa_reserve_vcc 1
		.amdhsa_reserve_flat_scratch 0
		.amdhsa_float_round_mode_32 0
		.amdhsa_float_round_mode_16_64 0
		.amdhsa_float_denorm_mode_32 3
		.amdhsa_float_denorm_mode_16_64 3
		.amdhsa_dx10_clamp 1
		.amdhsa_ieee_mode 1
		.amdhsa_fp16_overflow 0
		.amdhsa_tg_split 0
		.amdhsa_exception_fp_ieee_invalid_op 0
		.amdhsa_exception_fp_denorm_src 0
		.amdhsa_exception_fp_ieee_div_zero 0
		.amdhsa_exception_fp_ieee_overflow 0
		.amdhsa_exception_fp_ieee_underflow 0
		.amdhsa_exception_fp_ieee_inexact 0
		.amdhsa_exception_int_div_zero 0
	.end_amdhsa_kernel
	.section	.text._ZN2at6native12_GLOBAL__N_135GammaBetaBackwardCUDAKernelTemplateIN3c108BFloat16EfLj64ELj16ELj256ELb0ELb1ELb1EEEvllPKT_S7_PKT0_SA_PS5_SB_,"axG",@progbits,_ZN2at6native12_GLOBAL__N_135GammaBetaBackwardCUDAKernelTemplateIN3c108BFloat16EfLj64ELj16ELj256ELb0ELb1ELb1EEEvllPKT_S7_PKT0_SA_PS5_SB_,comdat
.Lfunc_end196:
	.size	_ZN2at6native12_GLOBAL__N_135GammaBetaBackwardCUDAKernelTemplateIN3c108BFloat16EfLj64ELj16ELj256ELb0ELb1ELb1EEEvllPKT_S7_PKT0_SA_PS5_SB_, .Lfunc_end196-_ZN2at6native12_GLOBAL__N_135GammaBetaBackwardCUDAKernelTemplateIN3c108BFloat16EfLj64ELj16ELj256ELb0ELb1ELb1EEEvllPKT_S7_PKT0_SA_PS5_SB_
                                        ; -- End function
	.section	.AMDGPU.csdata,"",@progbits
; Kernel info:
; codeLenInByte = 2120
; NumSgprs: 30
; NumVgprs: 65
; NumAgprs: 0
; TotalNumVgprs: 65
; ScratchSize: 0
; MemoryBound: 0
; FloatMode: 240
; IeeeMode: 1
; LDSByteSize: 0 bytes/workgroup (compile time only)
; SGPRBlocks: 3
; VGPRBlocks: 8
; NumSGPRsForWavesPerEU: 30
; NumVGPRsForWavesPerEU: 65
; AccumOffset: 68
; Occupancy: 7
; WaveLimiterHint : 0
; COMPUTE_PGM_RSRC2:SCRATCH_EN: 0
; COMPUTE_PGM_RSRC2:USER_SGPR: 6
; COMPUTE_PGM_RSRC2:TRAP_HANDLER: 0
; COMPUTE_PGM_RSRC2:TGID_X_EN: 1
; COMPUTE_PGM_RSRC2:TGID_Y_EN: 1
; COMPUTE_PGM_RSRC2:TGID_Z_EN: 0
; COMPUTE_PGM_RSRC2:TIDIG_COMP_CNT: 1
; COMPUTE_PGM_RSRC3_GFX90A:ACCUM_OFFSET: 16
; COMPUTE_PGM_RSRC3_GFX90A:TG_SPLIT: 0
	.section	.text._ZN2at6native12_GLOBAL__N_135GammaBetaBackwardCUDAKernelTemplateIN3c108BFloat16EfLj64ELj16ELj256ELb0ELb0ELb1EEEvllPKT_S7_PKT0_SA_PS5_SB_,"axG",@progbits,_ZN2at6native12_GLOBAL__N_135GammaBetaBackwardCUDAKernelTemplateIN3c108BFloat16EfLj64ELj16ELj256ELb0ELb0ELb1EEEvllPKT_S7_PKT0_SA_PS5_SB_,comdat
	.globl	_ZN2at6native12_GLOBAL__N_135GammaBetaBackwardCUDAKernelTemplateIN3c108BFloat16EfLj64ELj16ELj256ELb0ELb0ELb1EEEvllPKT_S7_PKT0_SA_PS5_SB_ ; -- Begin function _ZN2at6native12_GLOBAL__N_135GammaBetaBackwardCUDAKernelTemplateIN3c108BFloat16EfLj64ELj16ELj256ELb0ELb0ELb1EEEvllPKT_S7_PKT0_SA_PS5_SB_
	.p2align	8
	.type	_ZN2at6native12_GLOBAL__N_135GammaBetaBackwardCUDAKernelTemplateIN3c108BFloat16EfLj64ELj16ELj256ELb0ELb0ELb1EEEvllPKT_S7_PKT0_SA_PS5_SB_,@function
_ZN2at6native12_GLOBAL__N_135GammaBetaBackwardCUDAKernelTemplateIN3c108BFloat16EfLj64ELj16ELj256ELb0ELb0ELb1EEEvllPKT_S7_PKT0_SA_PS5_SB_: ; @_ZN2at6native12_GLOBAL__N_135GammaBetaBackwardCUDAKernelTemplateIN3c108BFloat16EfLj64ELj16ELj256ELb0ELb0ELb1EEEvllPKT_S7_PKT0_SA_PS5_SB_
; %bb.0:
	s_mov_b64 s[54:55], s[2:3]
	s_load_dwordx8 s[36:43], s[4:5], 0x0
	s_load_dwordx2 s[28:29], s[4:5], 0x28
	s_mov_b64 s[52:53], s[0:1]
	s_add_u32 s52, s52, s8
	s_addc_u32 s53, s53, 0
	s_lshl_b32 s33, s6, 6
	v_mov_b32_e32 v122, v0
	s_or_b32 s30, s33, 63
	s_mov_b32 s31, 0
	s_waitcnt lgkmcnt(0)
	v_pk_mov_b32 v[0:1], s[38:39], s[38:39] op_sel:[0,1]
	v_cmp_ge_i64_e32 vcc, s[30:31], v[0:1]
	s_lshl_b32 s30, s7, 8
	v_pk_mov_b32 v[0:1], s[36:37], s[36:37] op_sel:[0,1]
	v_cmp_lt_i64_e64 s[0:1], s[30:31], v[0:1]
	v_cndmask_b32_e64 v0, 0, 1, s[0:1]
	v_cmp_ne_u32_e64 s[0:1], 1, v0
	s_cbranch_vccz .LBB197_81
; %bb.1:
	s_and_b64 vcc, exec, s[0:1]
	v_mov_b32_e32 v2, 0
	s_cbranch_vccnz .LBB197_82
; %bb.2:
	v_bfe_u32 v0, v122, 10, 10
	v_lshlrev_b32_e32 v50, 4, v0
	v_mov_b32_e32 v1, s31
	v_add_co_u32_e32 v2, vcc, s30, v50
	v_addc_co_u32_e32 v8, vcc, 0, v1, vcc
	v_add_co_u32_e32 v1, vcc, 15, v2
	v_addc_co_u32_e32 v3, vcc, 0, v8, vcc
	v_mul_lo_u32 v6, s39, v1
	v_mul_lo_u32 v3, s38, v3
	v_mad_u64_u32 v[4:5], s[2:3], s38, v1, 0
	v_add3_u32 v5, v5, v3, v6
	v_lshlrev_b64 v[6:7], 1, v[4:5]
	v_mov_b32_e32 v3, s41
	v_add_co_u32_e32 v52, vcc, s40, v6
	v_addc_co_u32_e32 v1, vcc, v3, v7, vcc
	v_mov_b32_e32 v4, s43
	v_add_co_u32_e32 v54, vcc, s42, v6
	v_addc_co_u32_e32 v51, vcc, v4, v7, vcc
	v_add_co_u32_e32 v5, vcc, 14, v2
	v_addc_co_u32_e32 v6, vcc, 0, v8, vcc
	v_mul_lo_u32 v9, s39, v5
	v_mul_lo_u32 v10, s38, v6
	v_mad_u64_u32 v[6:7], s[2:3], s38, v5, 0
	v_add3_u32 v7, v7, v10, v9
	v_lshlrev_b64 v[6:7], 1, v[6:7]
	v_add_co_u32_e32 v56, vcc, s40, v6
	v_addc_co_u32_e32 v53, vcc, v3, v7, vcc
	v_add_co_u32_e32 v58, vcc, s42, v6
	v_addc_co_u32_e32 v55, vcc, v4, v7, vcc
	v_add_co_u32_e32 v5, vcc, 13, v2
	v_addc_co_u32_e32 v6, vcc, 0, v8, vcc
	v_mul_lo_u32 v9, s39, v5
	v_mul_lo_u32 v10, s38, v6
	v_mad_u64_u32 v[6:7], s[2:3], s38, v5, 0
	v_add3_u32 v7, v7, v10, v9
	v_lshlrev_b64 v[6:7], 1, v[6:7]
	v_add_co_u32_e32 v60, vcc, s40, v6
	v_addc_co_u32_e32 v57, vcc, v3, v7, vcc
	;; [unrolled: 11-line block ×13, first 2 shown]
	v_add_co_u32_e32 v106, vcc, s42, v6
	v_addc_co_u32_e32 v103, vcc, v4, v7, vcc
	v_pk_mov_b32 v[6:7], s[38:39], s[38:39] op_sel:[0,1]
	v_mad_u64_u32 v[6:7], s[2:3], s38, v2, v[6:7]
	v_mul_lo_u32 v5, s38, v8
	v_mul_lo_u32 v10, s39, v2
	v_add3_u32 v7, v10, v7, v5
	v_lshlrev_b64 v[6:7], 1, v[6:7]
	v_add_co_u32_e32 v108, vcc, s40, v6
	s_load_dword s7, s[4:5], 0x44
	v_mad_u64_u32 v[8:9], s[2:3], s38, v2, 0
	v_addc_co_u32_e32 v105, vcc, v3, v7, vcc
	v_add3_u32 v9, v9, v5, v10
	v_add_co_u32_e32 v110, vcc, s42, v6
	v_addc_co_u32_e32 v107, vcc, v4, v7, vcc
	v_lshlrev_b64 v[6:7], 1, v[8:9]
	v_add_co_u32_e32 v112, vcc, s40, v6
	s_add_u32 s10, s4, 64
	v_addc_co_u32_e32 v109, vcc, v3, v7, vcc
	s_addc_u32 s11, s5, 0
	s_waitcnt lgkmcnt(0)
	s_lshl_b32 s7, s7, 8
	v_add_co_u32_e32 v114, vcc, s42, v6
	s_mul_i32 s8, s39, s7
	s_mul_hi_u32 s9, s38, s7
	v_addc_co_u32_e32 v111, vcc, v4, v7, vcc
	s_add_i32 s9, s9, s8
	s_mul_i32 s8, s38, s7
	v_mbcnt_lo_u32_b32 v4, -1, 0
	v_and_b32_e32 v113, 0x3ff, v122
	s_lshl_b64 s[34:35], s[8:9], 1
	v_mbcnt_hi_u32_b32 v4, -1, v4
	v_add_u32_e32 v2, s33, v113
	v_mov_b32_e32 v3, 0
	s_add_u32 s44, s30, 0xff
	v_lshlrev_b32_e32 v4, 2, v4
	s_mov_b32 s12, 0
	v_cmp_gt_i64_e64 s[2:3], s[38:39], v[2:3]
	s_addc_u32 s45, 0, 0
	v_and_b32_e32 v115, 0x100, v4
	s_mov_b64 s[46:47], s[30:31]
	v_mov_b32_e32 v118, 0
	v_lshlrev_b64 v[116:117], 1, v[2:3]
.LBB197_3:                              ; =>This Inner Loop Header: Depth=1
	v_pk_mov_b32 v[4:5], s[36:37], s[36:37] op_sel:[0,1]
	v_cmp_ge_i64_e32 vcc, s[44:45], v[4:5]
	v_mov_b32_e32 v2, s45
	v_add_co_u32_e64 v119, s[8:9], s44, v50
	v_addc_co_u32_e64 v120, s[8:9], 0, v2, s[8:9]
	s_cbranch_vccz .LBB197_41
; %bb.4:                                ;   in Loop: Header=BB197_3 Depth=1
	s_load_dword s8, s[10:11], 0xc
	v_mov_b32_e32 v121, 0
	s_waitcnt lgkmcnt(0)
	s_and_b32 s8, s8, 0xffff
	v_mad_u32_u24 v2, v0, s8, v113
	v_and_b32_e32 v2, 63, v2
	v_cmp_gt_u32_e32 vcc, 16, v2
	s_and_saveexec_b64 s[8:9], vcc
	s_cbranch_execz .LBB197_8
; %bb.5:                                ;   in Loop: Header=BB197_3 Depth=1
	v_add_co_u32_e32 v2, vcc, v119, v2
	v_addc_co_u32_e32 v5, vcc, 0, v120, vcc
	v_add_co_u32_e32 v4, vcc, 0xffffff01, v2
	v_addc_co_u32_e32 v5, vcc, -1, v5, vcc
	v_cmp_gt_i64_e32 vcc, s[36:37], v[4:5]
	v_mov_b32_e32 v121, 0
	s_and_saveexec_b64 s[14:15], vcc
	s_cbranch_execz .LBB197_7
; %bb.6:                                ;   in Loop: Header=BB197_3 Depth=1
	v_lshlrev_b64 v[4:5], 2, v[4:5]
	v_mov_b32_e32 v2, s29
	v_add_co_u32_e32 v4, vcc, s28, v4
	v_addc_co_u32_e32 v5, vcc, v2, v5, vcc
	global_load_dword v121, v[4:5], off
.LBB197_7:                              ;   in Loop: Header=BB197_3 Depth=1
	s_or_b64 exec, exec, s[14:15]
.LBB197_8:                              ;   in Loop: Header=BB197_3 Depth=1
	s_or_b64 exec, exec, s[8:9]
	v_add_co_u32_e32 v4, vcc, 0xffffff01, v119
	s_mov_b32 s26, s12
	s_mov_b32 s27, s12
	v_addc_co_u32_e32 v5, vcc, -1, v120, vcc
	s_mov_b32 s13, s12
	s_mov_b32 s14, s12
	s_mov_b32 s15, s12
	s_mov_b32 s16, s12
	s_mov_b32 s17, s12
	s_mov_b32 s18, s12
	s_mov_b32 s19, s12
	s_mov_b32 s20, s12
	s_mov_b32 s21, s12
	s_mov_b32 s22, s12
	s_mov_b32 s23, s12
	s_mov_b32 s24, s12
	s_mov_b32 s25, s12
	v_pk_mov_b32 v[32:33], s[26:27], s[26:27] op_sel:[0,1]
	v_cmp_gt_i64_e32 vcc, s[36:37], v[4:5]
	v_pk_mov_b32 v[30:31], s[24:25], s[24:25] op_sel:[0,1]
	v_pk_mov_b32 v[28:29], s[22:23], s[22:23] op_sel:[0,1]
	;; [unrolled: 1-line block ×8, first 2 shown]
	s_and_b64 s[48:49], s[2:3], vcc
	v_pk_mov_b32 v[46:47], v[30:31], v[30:31] op_sel:[0,1]
	v_pk_mov_b32 v[44:45], v[28:29], v[28:29] op_sel:[0,1]
	;; [unrolled: 1-line block ×7, first 2 shown]
	s_and_saveexec_b64 s[8:9], s[48:49]
	s_cbranch_execz .LBB197_10
; %bb.9:                                ;   in Loop: Header=BB197_3 Depth=1
	v_add_co_u32_e32 v4, vcc, v112, v116
	v_addc_co_u32_e32 v5, vcc, v109, v117, vcc
	global_load_ushort v2, v[4:5], off
	v_add_co_u32_e32 v4, vcc, v114, v116
	v_addc_co_u32_e32 v5, vcc, v111, v117, vcc
	global_load_ushort v18, v[4:5], off
	v_mov_b32_e32 v16, v3
	v_mov_b32_e32 v17, v3
	;; [unrolled: 1-line block ×29, first 2 shown]
	s_waitcnt vmcnt(1)
	v_lshlrev_b32_e32 v2, 16, v2
	v_pk_mov_b32 v[48:49], v[16:17], v[16:17] op_sel:[0,1]
	v_pk_mov_b32 v[46:47], v[14:15], v[14:15] op_sel:[0,1]
	;; [unrolled: 1-line block ×4, first 2 shown]
	s_waitcnt vmcnt(0)
	v_lshlrev_b32_e32 v18, 16, v18
	v_pk_mov_b32 v[40:41], v[8:9], v[8:9] op_sel:[0,1]
	v_pk_mov_b32 v[38:39], v[6:7], v[6:7] op_sel:[0,1]
	v_pk_mov_b32 v[36:37], v[4:5], v[4:5] op_sel:[0,1]
	v_pk_mov_b32 v[34:35], v[2:3], v[2:3] op_sel:[0,1]
.LBB197_10:                             ;   in Loop: Header=BB197_3 Depth=1
	s_or_b64 exec, exec, s[8:9]
	v_add_co_u32_e32 v4, vcc, 0xffffff02, v119
	v_addc_co_u32_e32 v5, vcc, -1, v120, vcc
	v_cmp_gt_i64_e32 vcc, s[36:37], v[4:5]
	s_and_b64 s[14:15], s[2:3], vcc
	s_and_saveexec_b64 s[8:9], s[14:15]
	s_cbranch_execz .LBB197_12
; %bb.11:                               ;   in Loop: Header=BB197_3 Depth=1
	v_add_co_u32_e32 v4, vcc, v108, v116
	v_addc_co_u32_e32 v5, vcc, v105, v117, vcc
	global_load_ushort v2, v[4:5], off
	v_add_co_u32_e32 v4, vcc, v110, v116
	v_addc_co_u32_e32 v5, vcc, v107, v117, vcc
	global_load_ushort v4, v[4:5], off
	s_waitcnt vmcnt(1)
	v_lshlrev_b32_e32 v35, 16, v2
	s_waitcnt vmcnt(0)
	v_lshlrev_b32_e32 v19, 16, v4
.LBB197_12:                             ;   in Loop: Header=BB197_3 Depth=1
	s_or_b64 exec, exec, s[8:9]
	v_add_co_u32_e32 v4, vcc, 0xffffff03, v119
	v_addc_co_u32_e32 v5, vcc, -1, v120, vcc
	v_cmp_gt_i64_e32 vcc, s[36:37], v[4:5]
	s_and_b64 s[14:15], s[2:3], vcc
	s_and_saveexec_b64 s[8:9], s[14:15]
	s_cbranch_execz .LBB197_14
; %bb.13:                               ;   in Loop: Header=BB197_3 Depth=1
	v_add_co_u32_e32 v4, vcc, v104, v116
	v_addc_co_u32_e32 v5, vcc, v101, v117, vcc
	global_load_ushort v2, v[4:5], off
	v_add_co_u32_e32 v4, vcc, v106, v116
	v_addc_co_u32_e32 v5, vcc, v103, v117, vcc
	global_load_ushort v4, v[4:5], off
	s_waitcnt vmcnt(1)
	v_lshlrev_b32_e32 v36, 16, v2
	s_waitcnt vmcnt(0)
	v_lshlrev_b32_e32 v20, 16, v4
.LBB197_14:                             ;   in Loop: Header=BB197_3 Depth=1
	;; [unrolled: 19-line block ×15, first 2 shown]
	s_or_b64 exec, exec, s[8:9]
	s_waitcnt vmcnt(0)
	ds_bpermute_b32 v2, v115, v121
	ds_bpermute_b32 v4, v115, v121 offset:4
	ds_bpermute_b32 v6, v115, v121 offset:8
	v_mul_f32_e32 v5, v18, v34
	v_mul_f32_e32 v7, v19, v35
	s_waitcnt lgkmcnt(2)
	v_fma_f32 v2, v5, v2, v118
	s_waitcnt lgkmcnt(1)
	v_fmac_f32_e32 v2, v7, v4
	v_mul_f32_e32 v4, v20, v36
	s_waitcnt lgkmcnt(0)
	v_fmac_f32_e32 v2, v4, v6
	ds_bpermute_b32 v4, v115, v121 offset:12
	ds_bpermute_b32 v5, v115, v121 offset:16
	v_pk_mul_f32 v[16:17], v[20:21], v[36:37]
	v_pk_mul_f32 v[18:19], v[22:23], v[38:39]
	v_mov_b32_e32 v16, v17
	v_mov_b32_e32 v17, v18
	s_waitcnt lgkmcnt(0)
	v_pk_mul_f32 v[4:5], v[16:17], v[4:5]
	ds_bpermute_b32 v16, v115, v121 offset:20
	ds_bpermute_b32 v17, v115, v121 offset:24
	v_pk_mul_f32 v[14:15], v[24:25], v[40:41]
	v_add_f32_e32 v2, v2, v4
	v_add_f32_e32 v2, v2, v5
	v_mov_b32_e32 v4, v19
	v_mov_b32_e32 v5, v14
	s_waitcnt lgkmcnt(0)
	v_pk_mul_f32 v[4:5], v[4:5], v[16:17]
	ds_bpermute_b32 v16, v115, v121 offset:28
	ds_bpermute_b32 v17, v115, v121 offset:32
	v_pk_mul_f32 v[12:13], v[26:27], v[42:43]
	v_add_f32_e32 v2, v2, v4
	v_mov_b32_e32 v4, v15
	ds_bpermute_b32 v14, v115, v121 offset:36
	ds_bpermute_b32 v15, v115, v121 offset:40
	v_add_f32_e32 v2, v2, v5
	v_mov_b32_e32 v5, v12
	s_waitcnt lgkmcnt(2)
	v_pk_mul_f32 v[4:5], v[4:5], v[16:17]
	v_pk_mul_f32 v[10:11], v[28:29], v[44:45]
	v_add_f32_e32 v2, v2, v4
	v_mov_b32_e32 v4, v13
	ds_bpermute_b32 v12, v115, v121 offset:44
	ds_bpermute_b32 v13, v115, v121 offset:48
	v_add_f32_e32 v2, v2, v5
	v_mov_b32_e32 v5, v10
	s_waitcnt lgkmcnt(2)
	v_pk_mul_f32 v[4:5], v[4:5], v[14:15]
	;; [unrolled: 9-line block ×3, first 2 shown]
	v_pk_mul_f32 v[6:7], v[32:33], v[48:49]
	v_add_f32_e32 v2, v2, v4
	ds_bpermute_b32 v4, v115, v121 offset:60
	v_mov_b32_e32 v8, v9
	v_mov_b32_e32 v9, v6
	v_add_f32_e32 v2, v2, v5
	s_waitcnt lgkmcnt(1)
	v_pk_mul_f32 v[6:7], v[8:9], v[10:11]
	v_add_f32_e32 v2, v2, v6
	v_add_f32_e32 v2, v2, v7
	s_branch .LBB197_64
.LBB197_41:                             ;   in Loop: Header=BB197_3 Depth=1
                                        ; implicit-def: $vgpr2
                                        ; implicit-def: $vgpr18_vgpr19_vgpr20_vgpr21_vgpr22_vgpr23_vgpr24_vgpr25_vgpr26_vgpr27_vgpr28_vgpr29_vgpr30_vgpr31_vgpr32_vgpr33
                                        ; implicit-def: $vgpr34_vgpr35_vgpr36_vgpr37_vgpr38_vgpr39_vgpr40_vgpr41_vgpr42_vgpr43_vgpr44_vgpr45_vgpr46_vgpr47_vgpr48_vgpr49
                                        ; implicit-def: $vgpr4
	s_cbranch_execz .LBB197_64
; %bb.42:                               ;   in Loop: Header=BB197_3 Depth=1
	s_load_dword s8, s[10:11], 0x0
	v_mov_b32_e32 v121, 0
	s_waitcnt lgkmcnt(0)
	s_cmp_lt_u32 s6, s8
	s_cselect_b32 s8, 12, 18
	s_add_u32 s8, s10, s8
	s_addc_u32 s9, s11, 0
	global_load_ushort v2, v3, s[8:9]
	s_waitcnt vmcnt(0)
	v_mad_u32_u24 v2, v0, v2, v113
	v_and_b32_e32 v2, 63, v2
	v_cmp_gt_u32_e32 vcc, 16, v2
	s_and_saveexec_b64 s[8:9], vcc
	s_cbranch_execz .LBB197_46
; %bb.43:                               ;   in Loop: Header=BB197_3 Depth=1
	v_add_co_u32_e32 v2, vcc, v119, v2
	v_addc_co_u32_e32 v5, vcc, 0, v120, vcc
	v_add_co_u32_e32 v4, vcc, 0xffffff01, v2
	v_addc_co_u32_e32 v5, vcc, -1, v5, vcc
	v_cmp_gt_i64_e32 vcc, s[36:37], v[4:5]
	v_mov_b32_e32 v121, 0
	s_and_saveexec_b64 s[14:15], vcc
	s_cbranch_execz .LBB197_45
; %bb.44:                               ;   in Loop: Header=BB197_3 Depth=1
	v_lshlrev_b64 v[4:5], 2, v[4:5]
	v_mov_b32_e32 v2, s29
	v_add_co_u32_e32 v4, vcc, s28, v4
	v_addc_co_u32_e32 v5, vcc, v2, v5, vcc
	global_load_dword v121, v[4:5], off
.LBB197_45:                             ;   in Loop: Header=BB197_3 Depth=1
	s_or_b64 exec, exec, s[14:15]
.LBB197_46:                             ;   in Loop: Header=BB197_3 Depth=1
	s_or_b64 exec, exec, s[8:9]
	s_mov_b32 s26, s12
	s_mov_b32 s27, s12
	;; [unrolled: 1-line block ×15, first 2 shown]
	v_pk_mov_b32 v[32:33], s[26:27], s[26:27] op_sel:[0,1]
	v_pk_mov_b32 v[30:31], s[24:25], s[24:25] op_sel:[0,1]
	;; [unrolled: 1-line block ×16, first 2 shown]
	s_and_saveexec_b64 s[8:9], s[2:3]
	s_cbranch_execnz .LBB197_66
; %bb.47:                               ;   in Loop: Header=BB197_3 Depth=1
	s_or_b64 exec, exec, s[8:9]
	s_and_saveexec_b64 s[8:9], s[2:3]
	s_cbranch_execnz .LBB197_67
.LBB197_48:                             ;   in Loop: Header=BB197_3 Depth=1
	s_or_b64 exec, exec, s[8:9]
	s_and_saveexec_b64 s[8:9], s[2:3]
	s_cbranch_execnz .LBB197_68
.LBB197_49:                             ;   in Loop: Header=BB197_3 Depth=1
	s_or_b64 exec, exec, s[8:9]
	s_and_saveexec_b64 s[8:9], s[2:3]
	s_cbranch_execnz .LBB197_69
.LBB197_50:                             ;   in Loop: Header=BB197_3 Depth=1
	s_or_b64 exec, exec, s[8:9]
	s_and_saveexec_b64 s[8:9], s[2:3]
	s_cbranch_execnz .LBB197_70
.LBB197_51:                             ;   in Loop: Header=BB197_3 Depth=1
	s_or_b64 exec, exec, s[8:9]
	s_and_saveexec_b64 s[8:9], s[2:3]
	s_cbranch_execnz .LBB197_71
.LBB197_52:                             ;   in Loop: Header=BB197_3 Depth=1
	s_or_b64 exec, exec, s[8:9]
	s_and_saveexec_b64 s[8:9], s[2:3]
	s_cbranch_execnz .LBB197_72
.LBB197_53:                             ;   in Loop: Header=BB197_3 Depth=1
	s_or_b64 exec, exec, s[8:9]
	s_and_saveexec_b64 s[8:9], s[2:3]
	s_cbranch_execnz .LBB197_73
.LBB197_54:                             ;   in Loop: Header=BB197_3 Depth=1
	s_or_b64 exec, exec, s[8:9]
	s_and_saveexec_b64 s[8:9], s[2:3]
	s_cbranch_execnz .LBB197_74
.LBB197_55:                             ;   in Loop: Header=BB197_3 Depth=1
	s_or_b64 exec, exec, s[8:9]
	s_and_saveexec_b64 s[8:9], s[2:3]
	s_cbranch_execnz .LBB197_75
.LBB197_56:                             ;   in Loop: Header=BB197_3 Depth=1
	s_or_b64 exec, exec, s[8:9]
	s_and_saveexec_b64 s[8:9], s[2:3]
	s_cbranch_execnz .LBB197_76
.LBB197_57:                             ;   in Loop: Header=BB197_3 Depth=1
	s_or_b64 exec, exec, s[8:9]
	s_and_saveexec_b64 s[8:9], s[2:3]
	s_cbranch_execnz .LBB197_77
.LBB197_58:                             ;   in Loop: Header=BB197_3 Depth=1
	s_or_b64 exec, exec, s[8:9]
	s_and_saveexec_b64 s[8:9], s[2:3]
	s_cbranch_execnz .LBB197_78
.LBB197_59:                             ;   in Loop: Header=BB197_3 Depth=1
	s_or_b64 exec, exec, s[8:9]
	s_and_saveexec_b64 s[8:9], s[2:3]
	s_cbranch_execnz .LBB197_79
.LBB197_60:                             ;   in Loop: Header=BB197_3 Depth=1
	s_or_b64 exec, exec, s[8:9]
	s_and_saveexec_b64 s[8:9], s[2:3]
	s_cbranch_execnz .LBB197_80
.LBB197_61:                             ;   in Loop: Header=BB197_3 Depth=1
	s_or_b64 exec, exec, s[8:9]
	s_and_saveexec_b64 s[8:9], s[2:3]
	s_cbranch_execz .LBB197_63
.LBB197_62:                             ;   in Loop: Header=BB197_3 Depth=1
	v_add_co_u32_e32 v4, vcc, v52, v116
	v_addc_co_u32_e32 v5, vcc, v1, v117, vcc
	global_load_ushort v2, v[4:5], off
	v_add_co_u32_e32 v4, vcc, v54, v116
	v_addc_co_u32_e32 v5, vcc, v51, v117, vcc
	global_load_ushort v4, v[4:5], off
	s_waitcnt vmcnt(1)
	v_lshlrev_b32_e32 v49, 16, v2
	s_waitcnt vmcnt(0)
	v_lshlrev_b32_e32 v33, 16, v4
.LBB197_63:                             ;   in Loop: Header=BB197_3 Depth=1
	s_or_b64 exec, exec, s[8:9]
	s_waitcnt vmcnt(0)
	ds_bpermute_b32 v2, v115, v121
	ds_bpermute_b32 v4, v115, v121 offset:4
	v_mul_f32_e32 v5, v18, v34
	v_mul_f32_e32 v7, v19, v35
	ds_bpermute_b32 v6, v115, v121 offset:8
	s_waitcnt lgkmcnt(2)
	v_fmac_f32_e32 v118, v5, v2
	s_waitcnt lgkmcnt(1)
	v_fmac_f32_e32 v118, v7, v4
	ds_bpermute_b32 v4, v115, v121 offset:12
	ds_bpermute_b32 v5, v115, v121 offset:16
	v_pk_mul_f32 v[16:17], v[20:21], v[36:37]
	v_pk_mul_f32 v[18:19], v[22:23], v[38:39]
	v_mov_b32_e32 v16, v17
	v_mov_b32_e32 v17, v18
	s_waitcnt lgkmcnt(0)
	v_pk_mul_f32 v[4:5], v[16:17], v[4:5]
	ds_bpermute_b32 v16, v115, v121 offset:20
	ds_bpermute_b32 v17, v115, v121 offset:24
	v_mul_f32_e32 v2, v20, v36
	v_fmac_f32_e32 v118, v2, v6
	v_pk_mul_f32 v[14:15], v[24:25], v[40:41]
	v_add_f32_e32 v2, v118, v4
	v_add_f32_e32 v2, v2, v5
	v_mov_b32_e32 v4, v19
	v_mov_b32_e32 v5, v14
	s_waitcnt lgkmcnt(0)
	v_pk_mul_f32 v[4:5], v[4:5], v[16:17]
	ds_bpermute_b32 v16, v115, v121 offset:28
	ds_bpermute_b32 v17, v115, v121 offset:32
	v_pk_mul_f32 v[12:13], v[26:27], v[42:43]
	v_add_f32_e32 v2, v2, v4
	v_mov_b32_e32 v4, v15
	ds_bpermute_b32 v14, v115, v121 offset:36
	ds_bpermute_b32 v15, v115, v121 offset:40
	v_add_f32_e32 v2, v2, v5
	v_mov_b32_e32 v5, v12
	s_waitcnt lgkmcnt(2)
	v_pk_mul_f32 v[4:5], v[4:5], v[16:17]
	v_pk_mul_f32 v[10:11], v[28:29], v[44:45]
	v_add_f32_e32 v2, v2, v4
	v_add_f32_e32 v2, v2, v5
	v_mov_b32_e32 v4, v13
	v_mov_b32_e32 v5, v10
	ds_bpermute_b32 v12, v115, v121 offset:44
	ds_bpermute_b32 v13, v115, v121 offset:48
	s_waitcnt lgkmcnt(2)
	v_pk_mul_f32 v[4:5], v[4:5], v[14:15]
	v_add_f32_e32 v2, v2, v4
	v_mov_b32_e32 v4, v11
	ds_bpermute_b32 v10, v115, v121 offset:52
	ds_bpermute_b32 v11, v115, v121 offset:56
	v_pk_mul_f32 v[8:9], v[30:31], v[46:47]
	v_add_f32_e32 v2, v2, v5
	v_mov_b32_e32 v5, v8
	v_pk_mul_f32 v[6:7], v[32:33], v[48:49]
	s_waitcnt lgkmcnt(2)
	v_pk_mul_f32 v[4:5], v[4:5], v[12:13]
	v_add_f32_e32 v2, v2, v4
	v_mov_b32_e32 v8, v9
	v_mov_b32_e32 v9, v6
	v_add_f32_e32 v2, v2, v5
	s_waitcnt lgkmcnt(0)
	v_pk_mul_f32 v[6:7], v[8:9], v[10:11]
	v_add_f32_e32 v2, v2, v6
	ds_bpermute_b32 v4, v115, v121 offset:60
	v_add_f32_e32 v2, v2, v7
.LBB197_64:                             ;   in Loop: Header=BB197_3 Depth=1
	v_mul_f32_e32 v5, v49, v33
	s_add_u32 s46, s46, s7
	s_waitcnt lgkmcnt(0)
	v_fmac_f32_e32 v2, v5, v4
	s_addc_u32 s47, s47, 0
	v_pk_mov_b32 v[4:5], s[36:37], s[36:37] op_sel:[0,1]
	v_cmp_lt_i64_e32 vcc, s[46:47], v[4:5]
	v_mov_b32_e32 v4, s35
	v_add_co_u32_e64 v52, s[8:9], s34, v52
	v_addc_co_u32_e64 v1, s[8:9], v1, v4, s[8:9]
	v_add_co_u32_e64 v54, s[8:9], s34, v54
	v_addc_co_u32_e64 v51, s[8:9], v51, v4, s[8:9]
	;; [unrolled: 2-line block ×31, first 2 shown]
	v_add_co_u32_e64 v114, s[8:9], s34, v114
	s_add_u32 s44, s44, s7
	v_addc_co_u32_e64 v111, s[8:9], v111, v4, s[8:9]
	s_addc_u32 s45, s45, 0
	s_cbranch_vccz .LBB197_82
; %bb.65:                               ;   in Loop: Header=BB197_3 Depth=1
	v_mov_b32_e32 v118, v2
	s_branch .LBB197_3
.LBB197_66:                             ;   in Loop: Header=BB197_3 Depth=1
	v_add_co_u32_e32 v4, vcc, v112, v116
	v_addc_co_u32_e32 v5, vcc, v109, v117, vcc
	global_load_ushort v2, v[4:5], off
	v_add_co_u32_e32 v4, vcc, v114, v116
	v_addc_co_u32_e32 v5, vcc, v111, v117, vcc
	global_load_ushort v18, v[4:5], off
	v_mov_b32_e32 v16, v3
	v_mov_b32_e32 v17, v3
	;; [unrolled: 1-line block ×29, first 2 shown]
	s_waitcnt vmcnt(1)
	v_lshlrev_b32_e32 v2, 16, v2
	v_pk_mov_b32 v[48:49], v[16:17], v[16:17] op_sel:[0,1]
	v_pk_mov_b32 v[46:47], v[14:15], v[14:15] op_sel:[0,1]
	;; [unrolled: 1-line block ×4, first 2 shown]
	s_waitcnt vmcnt(0)
	v_lshlrev_b32_e32 v18, 16, v18
	v_pk_mov_b32 v[40:41], v[8:9], v[8:9] op_sel:[0,1]
	v_pk_mov_b32 v[38:39], v[6:7], v[6:7] op_sel:[0,1]
	;; [unrolled: 1-line block ×4, first 2 shown]
	s_or_b64 exec, exec, s[8:9]
	s_and_saveexec_b64 s[8:9], s[2:3]
	s_cbranch_execz .LBB197_48
.LBB197_67:                             ;   in Loop: Header=BB197_3 Depth=1
	v_add_co_u32_e32 v4, vcc, v108, v116
	v_addc_co_u32_e32 v5, vcc, v105, v117, vcc
	global_load_ushort v2, v[4:5], off
	v_add_co_u32_e32 v4, vcc, v110, v116
	v_addc_co_u32_e32 v5, vcc, v107, v117, vcc
	global_load_ushort v4, v[4:5], off
	s_waitcnt vmcnt(1)
	v_lshlrev_b32_e32 v35, 16, v2
	s_waitcnt vmcnt(0)
	v_lshlrev_b32_e32 v19, 16, v4
	s_or_b64 exec, exec, s[8:9]
	s_and_saveexec_b64 s[8:9], s[2:3]
	s_cbranch_execz .LBB197_49
.LBB197_68:                             ;   in Loop: Header=BB197_3 Depth=1
	v_add_co_u32_e32 v4, vcc, v104, v116
	v_addc_co_u32_e32 v5, vcc, v101, v117, vcc
	global_load_ushort v2, v[4:5], off
	v_add_co_u32_e32 v4, vcc, v106, v116
	v_addc_co_u32_e32 v5, vcc, v103, v117, vcc
	global_load_ushort v4, v[4:5], off
	s_waitcnt vmcnt(1)
	v_lshlrev_b32_e32 v36, 16, v2
	s_waitcnt vmcnt(0)
	v_lshlrev_b32_e32 v20, 16, v4
	s_or_b64 exec, exec, s[8:9]
	s_and_saveexec_b64 s[8:9], s[2:3]
	s_cbranch_execz .LBB197_50
.LBB197_69:                             ;   in Loop: Header=BB197_3 Depth=1
	v_add_co_u32_e32 v4, vcc, v100, v116
	v_addc_co_u32_e32 v5, vcc, v97, v117, vcc
	global_load_ushort v2, v[4:5], off
	v_add_co_u32_e32 v4, vcc, v102, v116
	v_addc_co_u32_e32 v5, vcc, v99, v117, vcc
	global_load_ushort v4, v[4:5], off
	s_waitcnt vmcnt(1)
	v_lshlrev_b32_e32 v37, 16, v2
	s_waitcnt vmcnt(0)
	v_lshlrev_b32_e32 v21, 16, v4
	s_or_b64 exec, exec, s[8:9]
	s_and_saveexec_b64 s[8:9], s[2:3]
	s_cbranch_execz .LBB197_51
.LBB197_70:                             ;   in Loop: Header=BB197_3 Depth=1
	v_add_co_u32_e32 v4, vcc, v96, v116
	v_addc_co_u32_e32 v5, vcc, v93, v117, vcc
	global_load_ushort v2, v[4:5], off
	v_add_co_u32_e32 v4, vcc, v98, v116
	v_addc_co_u32_e32 v5, vcc, v95, v117, vcc
	global_load_ushort v4, v[4:5], off
	s_waitcnt vmcnt(1)
	v_lshlrev_b32_e32 v38, 16, v2
	s_waitcnt vmcnt(0)
	v_lshlrev_b32_e32 v22, 16, v4
	s_or_b64 exec, exec, s[8:9]
	s_and_saveexec_b64 s[8:9], s[2:3]
	s_cbranch_execz .LBB197_52
.LBB197_71:                             ;   in Loop: Header=BB197_3 Depth=1
	v_add_co_u32_e32 v4, vcc, v92, v116
	v_addc_co_u32_e32 v5, vcc, v89, v117, vcc
	global_load_ushort v2, v[4:5], off
	v_add_co_u32_e32 v4, vcc, v94, v116
	v_addc_co_u32_e32 v5, vcc, v91, v117, vcc
	global_load_ushort v4, v[4:5], off
	s_waitcnt vmcnt(1)
	v_lshlrev_b32_e32 v39, 16, v2
	s_waitcnt vmcnt(0)
	v_lshlrev_b32_e32 v23, 16, v4
	s_or_b64 exec, exec, s[8:9]
	s_and_saveexec_b64 s[8:9], s[2:3]
	s_cbranch_execz .LBB197_53
.LBB197_72:                             ;   in Loop: Header=BB197_3 Depth=1
	v_add_co_u32_e32 v4, vcc, v88, v116
	v_addc_co_u32_e32 v5, vcc, v85, v117, vcc
	global_load_ushort v2, v[4:5], off
	v_add_co_u32_e32 v4, vcc, v90, v116
	v_addc_co_u32_e32 v5, vcc, v87, v117, vcc
	global_load_ushort v4, v[4:5], off
	s_waitcnt vmcnt(1)
	v_lshlrev_b32_e32 v40, 16, v2
	s_waitcnt vmcnt(0)
	v_lshlrev_b32_e32 v24, 16, v4
	s_or_b64 exec, exec, s[8:9]
	s_and_saveexec_b64 s[8:9], s[2:3]
	s_cbranch_execz .LBB197_54
.LBB197_73:                             ;   in Loop: Header=BB197_3 Depth=1
	v_add_co_u32_e32 v4, vcc, v84, v116
	v_addc_co_u32_e32 v5, vcc, v81, v117, vcc
	global_load_ushort v2, v[4:5], off
	v_add_co_u32_e32 v4, vcc, v86, v116
	v_addc_co_u32_e32 v5, vcc, v83, v117, vcc
	global_load_ushort v4, v[4:5], off
	s_waitcnt vmcnt(1)
	v_lshlrev_b32_e32 v41, 16, v2
	s_waitcnt vmcnt(0)
	v_lshlrev_b32_e32 v25, 16, v4
	s_or_b64 exec, exec, s[8:9]
	s_and_saveexec_b64 s[8:9], s[2:3]
	s_cbranch_execz .LBB197_55
.LBB197_74:                             ;   in Loop: Header=BB197_3 Depth=1
	v_add_co_u32_e32 v4, vcc, v80, v116
	v_addc_co_u32_e32 v5, vcc, v77, v117, vcc
	global_load_ushort v2, v[4:5], off
	v_add_co_u32_e32 v4, vcc, v82, v116
	v_addc_co_u32_e32 v5, vcc, v79, v117, vcc
	global_load_ushort v4, v[4:5], off
	s_waitcnt vmcnt(1)
	v_lshlrev_b32_e32 v42, 16, v2
	s_waitcnt vmcnt(0)
	v_lshlrev_b32_e32 v26, 16, v4
	s_or_b64 exec, exec, s[8:9]
	s_and_saveexec_b64 s[8:9], s[2:3]
	s_cbranch_execz .LBB197_56
.LBB197_75:                             ;   in Loop: Header=BB197_3 Depth=1
	v_add_co_u32_e32 v4, vcc, v76, v116
	v_addc_co_u32_e32 v5, vcc, v73, v117, vcc
	global_load_ushort v2, v[4:5], off
	v_add_co_u32_e32 v4, vcc, v78, v116
	v_addc_co_u32_e32 v5, vcc, v75, v117, vcc
	global_load_ushort v4, v[4:5], off
	s_waitcnt vmcnt(1)
	v_lshlrev_b32_e32 v43, 16, v2
	s_waitcnt vmcnt(0)
	v_lshlrev_b32_e32 v27, 16, v4
	s_or_b64 exec, exec, s[8:9]
	s_and_saveexec_b64 s[8:9], s[2:3]
	s_cbranch_execz .LBB197_57
.LBB197_76:                             ;   in Loop: Header=BB197_3 Depth=1
	v_add_co_u32_e32 v4, vcc, v72, v116
	v_addc_co_u32_e32 v5, vcc, v69, v117, vcc
	global_load_ushort v2, v[4:5], off
	v_add_co_u32_e32 v4, vcc, v74, v116
	v_addc_co_u32_e32 v5, vcc, v71, v117, vcc
	global_load_ushort v4, v[4:5], off
	s_waitcnt vmcnt(1)
	v_lshlrev_b32_e32 v44, 16, v2
	s_waitcnt vmcnt(0)
	v_lshlrev_b32_e32 v28, 16, v4
	s_or_b64 exec, exec, s[8:9]
	s_and_saveexec_b64 s[8:9], s[2:3]
	s_cbranch_execz .LBB197_58
.LBB197_77:                             ;   in Loop: Header=BB197_3 Depth=1
	v_add_co_u32_e32 v4, vcc, v68, v116
	v_addc_co_u32_e32 v5, vcc, v65, v117, vcc
	global_load_ushort v2, v[4:5], off
	v_add_co_u32_e32 v4, vcc, v70, v116
	v_addc_co_u32_e32 v5, vcc, v67, v117, vcc
	global_load_ushort v4, v[4:5], off
	s_waitcnt vmcnt(1)
	v_lshlrev_b32_e32 v45, 16, v2
	s_waitcnt vmcnt(0)
	v_lshlrev_b32_e32 v29, 16, v4
	s_or_b64 exec, exec, s[8:9]
	s_and_saveexec_b64 s[8:9], s[2:3]
	s_cbranch_execz .LBB197_59
.LBB197_78:                             ;   in Loop: Header=BB197_3 Depth=1
	v_add_co_u32_e32 v4, vcc, v64, v116
	v_addc_co_u32_e32 v5, vcc, v61, v117, vcc
	global_load_ushort v2, v[4:5], off
	v_add_co_u32_e32 v4, vcc, v66, v116
	v_addc_co_u32_e32 v5, vcc, v63, v117, vcc
	global_load_ushort v4, v[4:5], off
	s_waitcnt vmcnt(1)
	v_lshlrev_b32_e32 v46, 16, v2
	s_waitcnt vmcnt(0)
	v_lshlrev_b32_e32 v30, 16, v4
	s_or_b64 exec, exec, s[8:9]
	s_and_saveexec_b64 s[8:9], s[2:3]
	s_cbranch_execz .LBB197_60
.LBB197_79:                             ;   in Loop: Header=BB197_3 Depth=1
	v_add_co_u32_e32 v4, vcc, v60, v116
	v_addc_co_u32_e32 v5, vcc, v57, v117, vcc
	global_load_ushort v2, v[4:5], off
	v_add_co_u32_e32 v4, vcc, v62, v116
	v_addc_co_u32_e32 v5, vcc, v59, v117, vcc
	global_load_ushort v4, v[4:5], off
	s_waitcnt vmcnt(1)
	v_lshlrev_b32_e32 v47, 16, v2
	s_waitcnt vmcnt(0)
	v_lshlrev_b32_e32 v31, 16, v4
	s_or_b64 exec, exec, s[8:9]
	s_and_saveexec_b64 s[8:9], s[2:3]
	s_cbranch_execz .LBB197_61
.LBB197_80:                             ;   in Loop: Header=BB197_3 Depth=1
	v_add_co_u32_e32 v4, vcc, v56, v116
	v_addc_co_u32_e32 v5, vcc, v53, v117, vcc
	global_load_ushort v2, v[4:5], off
	v_add_co_u32_e32 v4, vcc, v58, v116
	v_addc_co_u32_e32 v5, vcc, v55, v117, vcc
	global_load_ushort v4, v[4:5], off
	s_waitcnt vmcnt(1)
	v_lshlrev_b32_e32 v48, 16, v2
	s_waitcnt vmcnt(0)
	v_lshlrev_b32_e32 v32, 16, v4
	s_or_b64 exec, exec, s[8:9]
	s_and_saveexec_b64 s[8:9], s[2:3]
	s_cbranch_execnz .LBB197_62
	s_branch .LBB197_63
.LBB197_81:
                                        ; implicit-def: $vgpr2
	s_branch .LBB197_83
.LBB197_82:
	s_cbranch_execnz .LBB197_132
.LBB197_83:
	s_and_b64 vcc, exec, s[0:1]
	v_mov_b32_e32 v2, 0
	s_cbranch_vccnz .LBB197_132
; %bb.84:
	s_load_dword s0, s[4:5], 0x44
	s_add_u32 s2, s4, 64
	s_addc_u32 s3, s5, 0
	v_bfe_u32 v36, v122, 10, 10
	v_lshlrev_b32_e32 v0, 5, v36
	s_waitcnt lgkmcnt(0)
	s_lshl_b32 s7, s0, 8
	s_add_u32 s24, s30, 0xff
	s_addc_u32 s25, 0, 0
	s_lshl_b64 s[0:1], s[30:31], 1
	v_mov_b32_e32 v1, s1
	v_add_co_u32_e32 v4, vcc, s0, v0
	v_addc_co_u32_e32 v5, vcc, 0, v1, vcc
	v_add_co_u32_e32 v6, vcc, 2, v4
	v_addc_co_u32_e32 v0, vcc, 0, v5, vcc
	v_add_co_u32_e32 v9, vcc, 4, v4
	v_mul_lo_u32 v7, s38, v0
	v_addc_co_u32_e32 v0, vcc, 0, v5, vcc
	v_add_co_u32_e32 v12, vcc, 6, v4
	v_mul_lo_u32 v10, s38, v0
	;; [unrolled: 3-line block ×9, first 2 shown]
	v_addc_co_u32_e32 v0, vcc, 0, v5, vcc
	v_pk_mov_b32 v[2:3], s[40:41], s[40:41] op_sel:[0,1]
	v_mul_lo_u32 v34, s38, v0
	v_pk_mov_b32 v[0:1], s[42:43], s[42:43] op_sel:[0,1]
	v_mad_u64_u32 v[50:51], s[0:1], s38, v6, v[2:3]
	v_mul_lo_u32 v8, s39, v6
	v_mad_u64_u32 v[70:71], s[0:1], s38, v6, v[0:1]
	v_add_co_u32_e32 v6, vcc, 22, v4
	v_add3_u32 v51, v8, v51, v7
	v_add3_u32 v71, v8, v71, v7
	v_addc_co_u32_e32 v7, vcc, 0, v5, vcc
	v_mad_u64_u32 v[52:53], s[0:1], s38, v9, v[2:3]
	v_mul_lo_u32 v11, s39, v9
	v_mad_u64_u32 v[72:73], s[0:1], s38, v9, v[0:1]
	v_add_co_u32_e32 v9, vcc, 24, v4
	v_add3_u32 v53, v11, v53, v10
	v_add3_u32 v73, v11, v73, v10
	v_addc_co_u32_e32 v10, vcc, 0, v5, vcc
	v_mad_u64_u32 v[76:77], s[0:1], s38, v6, v[2:3]
	v_mul_lo_u32 v7, s38, v7
	v_mul_lo_u32 v8, s39, v6
	v_mad_u64_u32 v[94:95], s[0:1], s38, v6, v[0:1]
	v_add_co_u32_e32 v6, vcc, 26, v4
	v_add3_u32 v77, v8, v77, v7
	v_add3_u32 v95, v8, v95, v7
	v_addc_co_u32_e32 v7, vcc, 0, v5, vcc
	v_mad_u64_u32 v[98:99], s[0:1], s38, v6, v[2:3]
	v_mul_lo_u32 v7, s38, v7
	v_mul_lo_u32 v8, s39, v6
	v_mad_u64_u32 v[100:101], s[0:1], s38, v6, v[0:1]
	v_add_co_u32_e32 v6, vcc, 28, v4
	v_add3_u32 v99, v8, v99, v7
	v_add3_u32 v101, v8, v101, v7
	v_addc_co_u32_e32 v7, vcc, 0, v5, vcc
	v_add_co_u32_e32 v4, vcc, 30, v4
	v_addc_co_u32_e32 v5, vcc, 0, v5, vcc
	v_mad_u64_u32 v[54:55], s[0:1], s38, v12, v[2:3]
	v_mad_u64_u32 v[56:57], s[0:1], s38, v15, v[2:3]
	;; [unrolled: 1-line block ×21, first 2 shown]
	v_mul_lo_u32 v2, s38, v5
	v_mad_u64_u32 v[108:109], s[0:1], s38, v4, v[0:1]
	v_mul_lo_u32 v0, s39, v4
	v_add3_u32 v107, v0, v107, v2
	v_add3_u32 v109, v0, v109, v2
	v_lshlrev_b32_e32 v2, 4, v36
	v_mov_b32_e32 v1, s31
	v_mov_b32_e32 v0, v2
	buffer_store_dword v36, off, s[52:55], 0 offset:408 ; 4-byte Folded Spill
	buffer_store_dword v0, off, s[52:55], 0 offset:412 ; 4-byte Folded Spill
	s_nop 0
	buffer_store_dword v1, off, s[52:55], 0 offset:416 ; 4-byte Folded Spill
	v_add_co_u32_e32 v0, vcc, s30, v2
	v_mul_lo_u32 v7, s38, v7
	v_mul_lo_u32 v8, s39, v6
	v_add3_u32 v103, v8, v103, v7
	v_add3_u32 v105, v8, v105, v7
	v_mul_lo_u32 v11, s39, v9
	v_mul_lo_u32 v10, s38, v10
	v_add3_u32 v89, v11, v89, v10
	v_add3_u32 v97, v11, v97, v10
	v_mul_lo_u32 v14, s39, v12
	v_add3_u32 v55, v14, v55, v13
	v_add3_u32 v75, v14, v75, v13
	v_mul_lo_u32 v17, s39, v15
	v_add3_u32 v57, v17, v57, v16
	v_add3_u32 v79, v17, v79, v16
	v_mul_lo_u32 v20, s39, v18
	v_add3_u32 v59, v20, v59, v19
	v_add3_u32 v81, v20, v81, v19
	v_mul_lo_u32 v23, s39, v21
	v_add3_u32 v61, v23, v61, v22
	v_add3_u32 v83, v23, v83, v22
	v_mul_lo_u32 v26, s39, v24
	v_add3_u32 v63, v26, v63, v25
	v_add3_u32 v85, v26, v85, v25
	v_mul_lo_u32 v29, s39, v27
	v_add3_u32 v65, v29, v65, v28
	v_add3_u32 v87, v29, v87, v28
	v_mul_lo_u32 v32, s39, v30
	v_add3_u32 v67, v32, v67, v31
	v_add3_u32 v91, v32, v91, v31
	v_mul_lo_u32 v35, s39, v33
	v_mul_lo_u32 v33, s39, v0
	v_add3_u32 v69, v35, v69, v34
	v_add3_u32 v93, v35, v93, v34
	v_mov_b32_e32 v34, s43
	s_mov_b32 s8, 0
	v_addc_co_u32_e32 v1, vcc, 0, v1, vcc
	v_add_co_u32_e32 v2, vcc, 15, v0
	v_addc_co_u32_e32 v3, vcc, 0, v1, vcc
	v_mul_lo_u32 v4, s38, v3
	v_mul_lo_u32 v5, s39, v2
	v_mad_u64_u32 v[2:3], s[0:1], s38, v2, 0
	v_add3_u32 v3, v3, v4, v5
	v_add_co_u32_e32 v4, vcc, 14, v0
	v_addc_co_u32_e32 v5, vcc, 0, v1, vcc
	v_mul_lo_u32 v6, s38, v5
	v_mul_lo_u32 v7, s39, v4
	v_mad_u64_u32 v[4:5], s[0:1], s38, v4, 0
	v_add3_u32 v5, v5, v6, v7
	;; [unrolled: 6-line block ×14, first 2 shown]
	v_pk_mov_b32 v[30:31], s[38:39], s[38:39] op_sel:[0,1]
	v_mul_lo_u32 v32, s38, v1
	v_mad_u64_u32 v[30:31], s[0:1], s38, v0, v[30:31]
	v_mad_u64_u32 v[0:1], s[0:1], s38, v0, 0
	v_add3_u32 v1, v1, v32, v33
	v_add3_u32 v31, v33, v31, v32
	v_lshlrev_b64 v[32:33], 1, v[0:1]
	v_mov_b32_e32 v0, s41
	v_add_co_u32_e32 v112, vcc, s40, v32
	v_addc_co_u32_e32 v1, vcc, v0, v33, vcc
	v_add_co_u32_e32 v114, vcc, s42, v32
	v_addc_co_u32_e32 v111, vcc, v34, v33, vcc
	v_lshlrev_b64 v[2:3], 1, v[2:3]
	v_add_co_u32_e32 v32, vcc, s40, v2
	buffer_store_dword v32, off, s[52:55], 0 ; 4-byte Folded Spill
	s_nop 0
	buffer_store_dword v33, off, s[52:55], 0 offset:4 ; 4-byte Folded Spill
	v_addc_co_u32_e32 v33, vcc, v0, v3, vcc
	v_add_co_u32_e32 v2, vcc, s42, v2
	buffer_store_dword v32, off, s[52:55], 0 offset:8 ; 4-byte Folded Spill
	s_nop 0
	buffer_store_dword v33, off, s[52:55], 0 offset:12 ; 4-byte Folded Spill
	buffer_store_dword v2, off, s[52:55], 0 offset:16 ; 4-byte Folded Spill
	s_nop 0
	buffer_store_dword v3, off, s[52:55], 0 offset:20 ; 4-byte Folded Spill
	s_mul_i32 s0, s39, s7
	s_mul_hi_u32 s1, s38, s7
	s_add_i32 s1, s1, s0
	s_mul_i32 s0, s38, s7
	s_lshl_b64 s[26:27], s[0:1], 1
	v_addc_co_u32_e32 v3, vcc, v34, v3, vcc
	buffer_store_dword v2, off, s[52:55], 0 offset:24 ; 4-byte Folded Spill
	s_nop 0
	buffer_store_dword v3, off, s[52:55], 0 offset:28 ; 4-byte Folded Spill
	v_lshlrev_b64 v[2:3], 1, v[4:5]
	v_add_co_u32_e32 v4, vcc, s40, v2
	buffer_store_dword v4, off, s[52:55], 0 offset:32 ; 4-byte Folded Spill
	s_nop 0
	buffer_store_dword v5, off, s[52:55], 0 offset:36 ; 4-byte Folded Spill
	v_addc_co_u32_e32 v5, vcc, v0, v3, vcc
	v_add_co_u32_e32 v2, vcc, s42, v2
	buffer_store_dword v4, off, s[52:55], 0 offset:40 ; 4-byte Folded Spill
	s_nop 0
	buffer_store_dword v5, off, s[52:55], 0 offset:44 ; 4-byte Folded Spill
	buffer_store_dword v2, off, s[52:55], 0 offset:48 ; 4-byte Folded Spill
	s_nop 0
	buffer_store_dword v3, off, s[52:55], 0 offset:52 ; 4-byte Folded Spill
	v_addc_co_u32_e32 v119, vcc, v34, v3, vcc
	v_lshlrev_b64 v[2:3], 1, v[6:7]
	v_add_co_u32_e32 v124, vcc, s40, v2
	v_addc_co_u32_e32 v121, vcc, v0, v3, vcc
	v_add_co_u32_e32 v126, vcc, s42, v2
	v_addc_co_u32_e32 v3, vcc, v34, v3, vcc
	buffer_store_dword v2, off, s[52:55], 0 offset:56 ; 4-byte Folded Spill
	s_nop 0
	buffer_store_dword v3, off, s[52:55], 0 offset:60 ; 4-byte Folded Spill
	v_lshlrev_b64 v[2:3], 1, v[8:9]
	v_add_co_u32_e32 v4, vcc, s40, v2
	buffer_store_dword v4, off, s[52:55], 0 offset:64 ; 4-byte Folded Spill
	s_nop 0
	buffer_store_dword v5, off, s[52:55], 0 offset:68 ; 4-byte Folded Spill
	v_addc_co_u32_e32 v5, vcc, v0, v3, vcc
	v_add_co_u32_e32 v2, vcc, s42, v2
	buffer_store_dword v4, off, s[52:55], 0 offset:72 ; 4-byte Folded Spill
	s_nop 0
	buffer_store_dword v5, off, s[52:55], 0 offset:76 ; 4-byte Folded Spill
	buffer_store_dword v2, off, s[52:55], 0 offset:80 ; 4-byte Folded Spill
	s_nop 0
	buffer_store_dword v3, off, s[52:55], 0 offset:84 ; 4-byte Folded Spill
	v_addc_co_u32_e32 v3, vcc, v34, v3, vcc
	buffer_store_dword v2, off, s[52:55], 0 offset:88 ; 4-byte Folded Spill
	s_nop 0
	buffer_store_dword v3, off, s[52:55], 0 offset:92 ; 4-byte Folded Spill
	v_lshlrev_b64 v[2:3], 1, v[10:11]
	v_add_co_u32_e32 v4, vcc, s40, v2
	buffer_store_dword v4, off, s[52:55], 0 offset:96 ; 4-byte Folded Spill
	s_nop 0
	buffer_store_dword v5, off, s[52:55], 0 offset:100 ; 4-byte Folded Spill
	v_addc_co_u32_e32 v5, vcc, v0, v3, vcc
	v_add_co_u32_e32 v2, vcc, s42, v2
	buffer_store_dword v4, off, s[52:55], 0 offset:104 ; 4-byte Folded Spill
	s_nop 0
	buffer_store_dword v5, off, s[52:55], 0 offset:108 ; 4-byte Folded Spill
	buffer_store_dword v2, off, s[52:55], 0 offset:112 ; 4-byte Folded Spill
	s_nop 0
	buffer_store_dword v3, off, s[52:55], 0 offset:116 ; 4-byte Folded Spill
	;; [unrolled: 17-line block ×11, first 2 shown]
	buffer_store_dword v122, off, s[52:55], 0 offset:424 ; 4-byte Folded Spill
	v_addc_co_u32_e32 v125, vcc, v34, v3, vcc
	v_lshlrev_b64 v[2:3], 1, v[30:31]
	v_add_co_u32_e32 v118, vcc, s40, v2
	v_addc_co_u32_e32 v127, vcc, v0, v3, vcc
	v_and_b32_e32 v0, 0x3ff, v122
	v_add_co_u32_e32 v120, vcc, s42, v2
	buffer_store_dword v0, off, s[52:55], 0 offset:420 ; 4-byte Folded Spill
	v_add_u32_e32 v2, s33, v0
	v_mbcnt_lo_u32_b32 v0, -1, 0
	v_mbcnt_hi_u32_b32 v0, -1, v0
	v_addc_co_u32_e32 v123, vcc, v34, v3, vcc
	v_mov_b32_e32 v3, 0
	v_lshlrev_b32_e32 v0, 2, v0
	v_and_b32_e32 v110, 0x100, v0
	v_mov_b32_e32 v0, 0
	v_lshlrev_b64 v[116:117], 1, v[2:3]
.LBB197_85:                             ; =>This Inner Loop Header: Depth=1
	v_pk_mov_b32 v[4:5], s[36:37], s[36:37] op_sel:[0,1]
	v_cmp_ge_i64_e32 vcc, s[24:25], v[4:5]
	buffer_load_dword v4, off, s[52:55], 0 offset:412 ; 4-byte Folded Reload
	buffer_load_dword v5, off, s[52:55], 0 offset:416 ; 4-byte Folded Reload
	v_mov_b32_e32 v2, s25
	s_waitcnt vmcnt(1)
	v_add_co_u32_e64 v113, s[0:1], s24, v4
	v_addc_co_u32_e64 v115, s[0:1], 0, v2, s[0:1]
	s_cbranch_vccz .LBB197_123
; %bb.86:                               ;   in Loop: Header=BB197_85 Depth=1
	s_load_dword s0, s[2:3], 0xc
	buffer_load_dword v2, off, s[52:55], 0 offset:408 ; 4-byte Folded Reload
	buffer_load_dword v4, off, s[52:55], 0 offset:420 ; 4-byte Folded Reload
	v_mov_b32_e32 v122, 0
	s_waitcnt lgkmcnt(0)
	s_and_b32 s0, s0, 0xffff
	s_waitcnt vmcnt(0)
	v_mad_u32_u24 v2, v2, s0, v4
	v_and_b32_e32 v2, 63, v2
	v_cmp_gt_u32_e32 vcc, 16, v2
	s_and_saveexec_b64 s[0:1], vcc
	s_cbranch_execz .LBB197_90
; %bb.87:                               ;   in Loop: Header=BB197_85 Depth=1
	v_add_co_u32_e32 v2, vcc, v113, v2
	v_addc_co_u32_e32 v5, vcc, 0, v115, vcc
	v_add_co_u32_e32 v4, vcc, 0xffffff01, v2
	v_addc_co_u32_e32 v5, vcc, -1, v5, vcc
	v_cmp_gt_i64_e32 vcc, s[36:37], v[4:5]
	v_mov_b32_e32 v122, 0
	s_and_saveexec_b64 s[10:11], vcc
	s_cbranch_execz .LBB197_89
; %bb.88:                               ;   in Loop: Header=BB197_85 Depth=1
	v_lshlrev_b64 v[4:5], 2, v[4:5]
	v_mov_b32_e32 v2, s29
	v_add_co_u32_e32 v4, vcc, s28, v4
	v_addc_co_u32_e32 v5, vcc, v2, v5, vcc
	global_load_dword v122, v[4:5], off
.LBB197_89:                             ;   in Loop: Header=BB197_85 Depth=1
	s_or_b64 exec, exec, s[10:11]
.LBB197_90:                             ;   in Loop: Header=BB197_85 Depth=1
	s_or_b64 exec, exec, s[0:1]
	s_mov_b32 s22, s8
	s_mov_b32 s23, s8
	v_add_co_u32_e32 v4, vcc, 0xffffff01, v113
	s_mov_b32 s9, s8
	s_mov_b32 s10, s8
	;; [unrolled: 1-line block ×13, first 2 shown]
	v_pk_mov_b32 v[32:33], s[22:23], s[22:23] op_sel:[0,1]
	v_addc_co_u32_e32 v5, vcc, -1, v115, vcc
	v_pk_mov_b32 v[30:31], s[20:21], s[20:21] op_sel:[0,1]
	v_pk_mov_b32 v[28:29], s[18:19], s[18:19] op_sel:[0,1]
	;; [unrolled: 1-line block ×8, first 2 shown]
	v_cmp_gt_i64_e32 vcc, s[36:37], v[4:5]
	v_pk_mov_b32 v[46:47], v[30:31], v[30:31] op_sel:[0,1]
	v_pk_mov_b32 v[44:45], v[28:29], v[28:29] op_sel:[0,1]
	;; [unrolled: 1-line block ×7, first 2 shown]
	s_and_saveexec_b64 s[0:1], vcc
	s_cbranch_execz .LBB197_92
; %bb.91:                               ;   in Loop: Header=BB197_85 Depth=1
	v_add_co_u32_e32 v4, vcc, v112, v116
	v_addc_co_u32_e32 v5, vcc, v1, v117, vcc
	global_load_ushort v2, v[4:5], off
	v_add_co_u32_e32 v4, vcc, v114, v116
	v_addc_co_u32_e32 v5, vcc, v111, v117, vcc
	global_load_ushort v18, v[4:5], off
	v_mov_b32_e32 v16, v3
	v_mov_b32_e32 v17, v3
	;; [unrolled: 1-line block ×29, first 2 shown]
	s_waitcnt vmcnt(1)
	v_lshlrev_b32_e32 v2, 16, v2
	v_pk_mov_b32 v[48:49], v[16:17], v[16:17] op_sel:[0,1]
	v_pk_mov_b32 v[46:47], v[14:15], v[14:15] op_sel:[0,1]
	;; [unrolled: 1-line block ×4, first 2 shown]
	s_waitcnt vmcnt(0)
	v_lshlrev_b32_e32 v18, 16, v18
	v_pk_mov_b32 v[40:41], v[8:9], v[8:9] op_sel:[0,1]
	v_pk_mov_b32 v[38:39], v[6:7], v[6:7] op_sel:[0,1]
	;; [unrolled: 1-line block ×4, first 2 shown]
.LBB197_92:                             ;   in Loop: Header=BB197_85 Depth=1
	s_or_b64 exec, exec, s[0:1]
	v_add_co_u32_e32 v4, vcc, 0xffffff02, v113
	v_addc_co_u32_e32 v5, vcc, -1, v115, vcc
	v_cmp_gt_i64_e32 vcc, s[36:37], v[4:5]
	s_and_saveexec_b64 s[0:1], vcc
	s_cbranch_execz .LBB197_94
; %bb.93:                               ;   in Loop: Header=BB197_85 Depth=1
	v_add_co_u32_e32 v4, vcc, v118, v116
	v_addc_co_u32_e32 v5, vcc, v127, v117, vcc
	global_load_ushort v2, v[4:5], off
	v_add_co_u32_e32 v4, vcc, v120, v116
	v_addc_co_u32_e32 v5, vcc, v123, v117, vcc
	global_load_ushort v4, v[4:5], off
	s_waitcnt vmcnt(1)
	v_lshlrev_b32_e32 v35, 16, v2
	s_waitcnt vmcnt(0)
	v_lshlrev_b32_e32 v19, 16, v4
.LBB197_94:                             ;   in Loop: Header=BB197_85 Depth=1
	s_or_b64 exec, exec, s[0:1]
	v_add_co_u32_e32 v4, vcc, 0xffffff03, v113
	v_addc_co_u32_e32 v5, vcc, -1, v115, vcc
	v_cmp_gt_i64_e32 vcc, s[36:37], v[4:5]
	s_and_saveexec_b64 s[0:1], vcc
	s_cbranch_execz .LBB197_96
; %bb.95:                               ;   in Loop: Header=BB197_85 Depth=1
	buffer_load_dword v4, off, s[52:55], 0 offset:384 ; 4-byte Folded Reload
	buffer_load_dword v5, off, s[52:55], 0 offset:388 ; 4-byte Folded Reload
	;; [unrolled: 1-line block ×4, first 2 shown]
	s_waitcnt vmcnt(3)
	v_add_co_u32_e32 v4, vcc, v4, v116
	s_waitcnt vmcnt(0)
	v_addc_co_u32_e32 v5, vcc, v7, v117, vcc
	global_load_ushort v2, v[4:5], off
	s_nop 0
	buffer_load_dword v4, off, s[52:55], 0 offset:400 ; 4-byte Folded Reload
	buffer_load_dword v5, off, s[52:55], 0 offset:404 ; 4-byte Folded Reload
	s_waitcnt vmcnt(2)
	v_lshlrev_b32_e32 v36, 16, v2
	s_waitcnt vmcnt(1)
	v_add_co_u32_e32 v4, vcc, v4, v116
	s_waitcnt vmcnt(0)
	v_addc_co_u32_e32 v5, vcc, v125, v117, vcc
	global_load_ushort v4, v[4:5], off
	s_waitcnt vmcnt(0)
	v_lshlrev_b32_e32 v20, 16, v4
.LBB197_96:                             ;   in Loop: Header=BB197_85 Depth=1
	s_or_b64 exec, exec, s[0:1]
	v_add_co_u32_e32 v4, vcc, 0xffffff04, v113
	v_addc_co_u32_e32 v5, vcc, -1, v115, vcc
	v_cmp_gt_i64_e32 vcc, s[36:37], v[4:5]
	s_and_saveexec_b64 s[0:1], vcc
	s_cbranch_execz .LBB197_98
; %bb.97:                               ;   in Loop: Header=BB197_85 Depth=1
	buffer_load_dword v4, off, s[52:55], 0 offset:352 ; 4-byte Folded Reload
	buffer_load_dword v5, off, s[52:55], 0 offset:356 ; 4-byte Folded Reload
	;; [unrolled: 1-line block ×4, first 2 shown]
	s_waitcnt vmcnt(3)
	v_add_co_u32_e32 v4, vcc, v4, v116
	s_waitcnt vmcnt(0)
	v_addc_co_u32_e32 v5, vcc, v7, v117, vcc
	global_load_ushort v2, v[4:5], off
	s_nop 0
	buffer_load_dword v4, off, s[52:55], 0 offset:368 ; 4-byte Folded Reload
	buffer_load_dword v5, off, s[52:55], 0 offset:372 ; 4-byte Folded Reload
	;; [unrolled: 1-line block ×4, first 2 shown]
	s_waitcnt vmcnt(4)
	v_lshlrev_b32_e32 v37, 16, v2
	s_waitcnt vmcnt(3)
	v_add_co_u32_e32 v4, vcc, v4, v116
	s_waitcnt vmcnt(0)
	v_addc_co_u32_e32 v5, vcc, v7, v117, vcc
	global_load_ushort v4, v[4:5], off
	s_waitcnt vmcnt(0)
	v_lshlrev_b32_e32 v21, 16, v4
.LBB197_98:                             ;   in Loop: Header=BB197_85 Depth=1
	s_or_b64 exec, exec, s[0:1]
	v_add_co_u32_e32 v4, vcc, 0xffffff05, v113
	v_addc_co_u32_e32 v5, vcc, -1, v115, vcc
	v_cmp_gt_i64_e32 vcc, s[36:37], v[4:5]
	s_and_saveexec_b64 s[0:1], vcc
	s_cbranch_execz .LBB197_100
; %bb.99:                               ;   in Loop: Header=BB197_85 Depth=1
	buffer_load_dword v4, off, s[52:55], 0 offset:320 ; 4-byte Folded Reload
	buffer_load_dword v5, off, s[52:55], 0 offset:324 ; 4-byte Folded Reload
	;; [unrolled: 1-line block ×4, first 2 shown]
	s_waitcnt vmcnt(3)
	v_add_co_u32_e32 v4, vcc, v4, v116
	s_waitcnt vmcnt(0)
	v_addc_co_u32_e32 v5, vcc, v7, v117, vcc
	global_load_ushort v2, v[4:5], off
	s_nop 0
	buffer_load_dword v4, off, s[52:55], 0 offset:336 ; 4-byte Folded Reload
	buffer_load_dword v5, off, s[52:55], 0 offset:340 ; 4-byte Folded Reload
	;; [unrolled: 1-line block ×4, first 2 shown]
	s_waitcnt vmcnt(4)
	v_lshlrev_b32_e32 v38, 16, v2
	s_waitcnt vmcnt(3)
	v_add_co_u32_e32 v4, vcc, v4, v116
	s_waitcnt vmcnt(0)
	v_addc_co_u32_e32 v5, vcc, v7, v117, vcc
	global_load_ushort v4, v[4:5], off
	s_waitcnt vmcnt(0)
	v_lshlrev_b32_e32 v22, 16, v4
.LBB197_100:                            ;   in Loop: Header=BB197_85 Depth=1
	s_or_b64 exec, exec, s[0:1]
	v_add_co_u32_e32 v4, vcc, 0xffffff06, v113
	v_addc_co_u32_e32 v5, vcc, -1, v115, vcc
	v_cmp_gt_i64_e32 vcc, s[36:37], v[4:5]
	s_and_saveexec_b64 s[0:1], vcc
	s_cbranch_execz .LBB197_102
; %bb.101:                              ;   in Loop: Header=BB197_85 Depth=1
	buffer_load_dword v4, off, s[52:55], 0 offset:288 ; 4-byte Folded Reload
	buffer_load_dword v5, off, s[52:55], 0 offset:292 ; 4-byte Folded Reload
	buffer_load_dword v6, off, s[52:55], 0 offset:296 ; 4-byte Folded Reload
	buffer_load_dword v7, off, s[52:55], 0 offset:300 ; 4-byte Folded Reload
	s_waitcnt vmcnt(3)
	v_add_co_u32_e32 v4, vcc, v4, v116
	s_waitcnt vmcnt(0)
	v_addc_co_u32_e32 v5, vcc, v7, v117, vcc
	global_load_ushort v2, v[4:5], off
	s_nop 0
	buffer_load_dword v4, off, s[52:55], 0 offset:304 ; 4-byte Folded Reload
	buffer_load_dword v5, off, s[52:55], 0 offset:308 ; 4-byte Folded Reload
	buffer_load_dword v6, off, s[52:55], 0 offset:312 ; 4-byte Folded Reload
	buffer_load_dword v7, off, s[52:55], 0 offset:316 ; 4-byte Folded Reload
	s_waitcnt vmcnt(4)
	v_lshlrev_b32_e32 v39, 16, v2
	s_waitcnt vmcnt(3)
	v_add_co_u32_e32 v4, vcc, v4, v116
	s_waitcnt vmcnt(0)
	v_addc_co_u32_e32 v5, vcc, v7, v117, vcc
	global_load_ushort v4, v[4:5], off
	s_waitcnt vmcnt(0)
	v_lshlrev_b32_e32 v23, 16, v4
.LBB197_102:                            ;   in Loop: Header=BB197_85 Depth=1
	s_or_b64 exec, exec, s[0:1]
	v_add_co_u32_e32 v4, vcc, 0xffffff07, v113
	v_addc_co_u32_e32 v5, vcc, -1, v115, vcc
	v_cmp_gt_i64_e32 vcc, s[36:37], v[4:5]
	s_and_saveexec_b64 s[0:1], vcc
	s_cbranch_execz .LBB197_104
; %bb.103:                              ;   in Loop: Header=BB197_85 Depth=1
	buffer_load_dword v4, off, s[52:55], 0 offset:256 ; 4-byte Folded Reload
	buffer_load_dword v5, off, s[52:55], 0 offset:260 ; 4-byte Folded Reload
	buffer_load_dword v6, off, s[52:55], 0 offset:264 ; 4-byte Folded Reload
	buffer_load_dword v7, off, s[52:55], 0 offset:268 ; 4-byte Folded Reload
	s_waitcnt vmcnt(3)
	v_add_co_u32_e32 v4, vcc, v4, v116
	s_waitcnt vmcnt(0)
	v_addc_co_u32_e32 v5, vcc, v7, v117, vcc
	global_load_ushort v2, v[4:5], off
	s_nop 0
	buffer_load_dword v4, off, s[52:55], 0 offset:272 ; 4-byte Folded Reload
	buffer_load_dword v5, off, s[52:55], 0 offset:276 ; 4-byte Folded Reload
	buffer_load_dword v6, off, s[52:55], 0 offset:280 ; 4-byte Folded Reload
	buffer_load_dword v7, off, s[52:55], 0 offset:284 ; 4-byte Folded Reload
	s_waitcnt vmcnt(4)
	v_lshlrev_b32_e32 v40, 16, v2
	s_waitcnt vmcnt(3)
	v_add_co_u32_e32 v4, vcc, v4, v116
	s_waitcnt vmcnt(0)
	v_addc_co_u32_e32 v5, vcc, v7, v117, vcc
	global_load_ushort v4, v[4:5], off
	s_waitcnt vmcnt(0)
	v_lshlrev_b32_e32 v24, 16, v4
.LBB197_104:                            ;   in Loop: Header=BB197_85 Depth=1
	;; [unrolled: 31-line block ×8, first 2 shown]
	s_or_b64 exec, exec, s[0:1]
	v_add_co_u32_e32 v4, vcc, 0xffffff0e, v113
	v_addc_co_u32_e32 v5, vcc, -1, v115, vcc
	v_cmp_gt_i64_e32 vcc, s[36:37], v[4:5]
	s_and_saveexec_b64 s[0:1], vcc
	s_cbranch_execz .LBB197_118
; %bb.117:                              ;   in Loop: Header=BB197_85 Depth=1
	v_add_co_u32_e32 v4, vcc, v124, v116
	v_addc_co_u32_e32 v5, vcc, v121, v117, vcc
	global_load_ushort v2, v[4:5], off
	buffer_load_dword v6, off, s[52:55], 0 offset:56 ; 4-byte Folded Reload
	buffer_load_dword v7, off, s[52:55], 0 offset:60 ; 4-byte Folded Reload
	v_add_co_u32_e32 v4, vcc, v126, v116
	s_waitcnt vmcnt(2)
	v_lshlrev_b32_e32 v47, 16, v2
	s_waitcnt vmcnt(0)
	v_addc_co_u32_e32 v5, vcc, v7, v117, vcc
	global_load_ushort v4, v[4:5], off
	s_waitcnt vmcnt(0)
	v_lshlrev_b32_e32 v31, 16, v4
.LBB197_118:                            ;   in Loop: Header=BB197_85 Depth=1
	s_or_b64 exec, exec, s[0:1]
	v_add_co_u32_e32 v4, vcc, 0xffffff0f, v113
	v_addc_co_u32_e32 v5, vcc, -1, v115, vcc
	v_cmp_gt_i64_e32 vcc, s[36:37], v[4:5]
	s_and_saveexec_b64 s[0:1], vcc
	s_cbranch_execz .LBB197_120
; %bb.119:                              ;   in Loop: Header=BB197_85 Depth=1
	buffer_load_dword v4, off, s[52:55], 0 offset:32 ; 4-byte Folded Reload
	buffer_load_dword v5, off, s[52:55], 0 offset:36 ; 4-byte Folded Reload
	;; [unrolled: 1-line block ×4, first 2 shown]
	s_waitcnt vmcnt(3)
	v_add_co_u32_e32 v4, vcc, v4, v116
	s_waitcnt vmcnt(0)
	v_addc_co_u32_e32 v5, vcc, v7, v117, vcc
	global_load_ushort v2, v[4:5], off
	s_nop 0
	buffer_load_dword v4, off, s[52:55], 0 offset:48 ; 4-byte Folded Reload
	buffer_load_dword v5, off, s[52:55], 0 offset:52 ; 4-byte Folded Reload
	s_waitcnt vmcnt(2)
	v_lshlrev_b32_e32 v48, 16, v2
	s_waitcnt vmcnt(1)
	v_add_co_u32_e32 v4, vcc, v4, v116
	s_waitcnt vmcnt(0)
	v_addc_co_u32_e32 v5, vcc, v119, v117, vcc
	global_load_ushort v4, v[4:5], off
	s_waitcnt vmcnt(0)
	v_lshlrev_b32_e32 v32, 16, v4
.LBB197_120:                            ;   in Loop: Header=BB197_85 Depth=1
	s_or_b64 exec, exec, s[0:1]
	v_add_co_u32_e32 v4, vcc, 0xffffff10, v113
	v_addc_co_u32_e32 v5, vcc, -1, v115, vcc
	v_cmp_gt_i64_e32 vcc, s[36:37], v[4:5]
	s_and_saveexec_b64 s[0:1], vcc
	s_cbranch_execz .LBB197_122
; %bb.121:                              ;   in Loop: Header=BB197_85 Depth=1
	buffer_load_dword v4, off, s[52:55], 0  ; 4-byte Folded Reload
	buffer_load_dword v5, off, s[52:55], 0 offset:4 ; 4-byte Folded Reload
	buffer_load_dword v6, off, s[52:55], 0 offset:8 ; 4-byte Folded Reload
	;; [unrolled: 1-line block ×3, first 2 shown]
	s_waitcnt vmcnt(3)
	v_add_co_u32_e32 v4, vcc, v4, v116
	s_waitcnt vmcnt(0)
	v_addc_co_u32_e32 v5, vcc, v7, v117, vcc
	global_load_ushort v2, v[4:5], off
	s_nop 0
	buffer_load_dword v4, off, s[52:55], 0 offset:16 ; 4-byte Folded Reload
	buffer_load_dword v5, off, s[52:55], 0 offset:20 ; 4-byte Folded Reload
	;; [unrolled: 1-line block ×4, first 2 shown]
	s_waitcnt vmcnt(4)
	v_lshlrev_b32_e32 v49, 16, v2
	s_waitcnt vmcnt(3)
	v_add_co_u32_e32 v4, vcc, v4, v116
	s_waitcnt vmcnt(0)
	v_addc_co_u32_e32 v5, vcc, v7, v117, vcc
	global_load_ushort v4, v[4:5], off
	s_waitcnt vmcnt(0)
	v_lshlrev_b32_e32 v33, 16, v4
.LBB197_122:                            ;   in Loop: Header=BB197_85 Depth=1
	s_or_b64 exec, exec, s[0:1]
	s_waitcnt vmcnt(0)
	ds_bpermute_b32 v2, v110, v122
	v_mul_f32_e32 v4, v18, v34
	v_mul_f32_e32 v5, v19, v35
	ds_bpermute_b32 v6, v110, v122 offset:16
	ds_bpermute_b32 v7, v110, v122 offset:20
	s_waitcnt lgkmcnt(2)
	v_fma_f32 v2, v4, v2, v0
	ds_bpermute_b32 v4, v110, v122 offset:4
	v_pk_mul_f32 v[16:17], v[22:23], v[38:39]
	v_pk_mul_f32 v[14:15], v[24:25], v[40:41]
	s_waitcnt lgkmcnt(1)
	v_pk_mul_f32 v[6:7], v[16:17], v[6:7]
	v_pk_mul_f32 v[12:13], v[26:27], v[42:43]
	s_waitcnt lgkmcnt(0)
	v_fmac_f32_e32 v2, v5, v4
	ds_bpermute_b32 v4, v110, v122 offset:8
	v_mul_f32_e32 v5, v20, v36
	v_pk_mul_f32 v[10:11], v[28:29], v[44:45]
	v_pk_mul_f32 v[8:9], v[30:31], v[46:47]
	s_waitcnt lgkmcnt(0)
	v_fmac_f32_e32 v2, v5, v4
	ds_bpermute_b32 v4, v110, v122 offset:12
	v_mul_f32_e32 v5, v21, v37
	s_waitcnt lgkmcnt(0)
	v_fmac_f32_e32 v2, v5, v4
	v_add_f32_e32 v2, v2, v6
	v_add_f32_e32 v2, v2, v7
	ds_bpermute_b32 v6, v110, v122 offset:24
	ds_bpermute_b32 v7, v110, v122 offset:28
	v_pk_mul_f32 v[4:5], v[32:33], v[48:49]
	s_waitcnt lgkmcnt(0)
	v_pk_mul_f32 v[6:7], v[14:15], v[6:7]
	v_add_f32_e32 v2, v2, v6
	v_add_f32_e32 v2, v2, v7
	ds_bpermute_b32 v6, v110, v122 offset:32
	ds_bpermute_b32 v7, v110, v122 offset:36
	s_waitcnt lgkmcnt(0)
	v_pk_mul_f32 v[6:7], v[12:13], v[6:7]
	v_add_f32_e32 v2, v2, v6
	v_add_f32_e32 v2, v2, v7
	ds_bpermute_b32 v6, v110, v122 offset:40
	ds_bpermute_b32 v7, v110, v122 offset:44
	;; [unrolled: 6-line block ×4, first 2 shown]
	s_waitcnt lgkmcnt(0)
	v_pk_mul_f32 v[4:5], v[4:5], v[6:7]
	v_add_f32_e32 v2, v2, v4
	v_add_f32_e32 v2, v2, v5
	s_branch .LBB197_129
.LBB197_123:                            ;   in Loop: Header=BB197_85 Depth=1
                                        ; implicit-def: $vgpr2
	s_cbranch_execz .LBB197_129
; %bb.124:                              ;   in Loop: Header=BB197_85 Depth=1
	s_load_dword s0, s[2:3], 0x0
	s_waitcnt lgkmcnt(0)
	s_cmp_lt_u32 s6, s0
	s_cselect_b32 s0, 12, 18
	s_add_u32 s0, s2, s0
	s_addc_u32 s1, s3, 0
	global_load_ushort v2, v3, s[0:1]
	buffer_load_dword v4, off, s[52:55], 0 offset:408 ; 4-byte Folded Reload
	buffer_load_dword v5, off, s[52:55], 0 offset:420 ; 4-byte Folded Reload
	s_waitcnt vmcnt(0)
	v_mad_u32_u24 v2, v4, v2, v5
	v_and_b32_e32 v4, 63, v2
	v_cmp_gt_u32_e32 vcc, 16, v4
	v_mov_b32_e32 v2, 0
	s_and_saveexec_b64 s[0:1], vcc
	s_cbranch_execz .LBB197_128
; %bb.125:                              ;   in Loop: Header=BB197_85 Depth=1
	v_add_co_u32_e32 v2, vcc, v113, v4
	v_addc_co_u32_e32 v5, vcc, 0, v115, vcc
	v_add_co_u32_e32 v4, vcc, 0xffffff01, v2
	v_addc_co_u32_e32 v5, vcc, -1, v5, vcc
	v_cmp_gt_i64_e32 vcc, s[36:37], v[4:5]
	v_mov_b32_e32 v2, 0
	s_and_saveexec_b64 s[10:11], vcc
	s_cbranch_execz .LBB197_127
; %bb.126:                              ;   in Loop: Header=BB197_85 Depth=1
	v_lshlrev_b64 v[4:5], 2, v[4:5]
	v_mov_b32_e32 v2, s29
	v_add_co_u32_e32 v4, vcc, s28, v4
	v_addc_co_u32_e32 v5, vcc, v2, v5, vcc
	global_load_dword v2, v[4:5], off
.LBB197_127:                            ;   in Loop: Header=BB197_85 Depth=1
	s_or_b64 exec, exec, s[10:11]
.LBB197_128:                            ;   in Loop: Header=BB197_85 Depth=1
	s_or_b64 exec, exec, s[0:1]
	v_add_co_u32_e32 v4, vcc, v112, v116
	v_addc_co_u32_e32 v5, vcc, v1, v117, vcc
	global_load_ushort v16, v[4:5], off
	v_add_co_u32_e32 v4, vcc, v114, v116
	v_addc_co_u32_e32 v5, vcc, v111, v117, vcc
	global_load_ushort v17, v[4:5], off
	;; [unrolled: 3-line block ×7, first 2 shown]
	v_add_co_u32_e32 v4, vcc, v74, v116
	v_addc_co_u32_e32 v5, vcc, v75, v117, vcc
	v_add_co_u32_e32 v24, vcc, v56, v116
	v_addc_co_u32_e32 v25, vcc, v57, v117, vcc
	;; [unrolled: 2-line block ×4, first 2 shown]
	v_add_co_u32_e32 v30, vcc, v80, v116
	global_load_ushort v23, v[4:5], off
	v_addc_co_u32_e32 v31, vcc, v81, v117, vcc
	v_add_co_u32_e32 v32, vcc, v60, v116
	v_addc_co_u32_e32 v33, vcc, v61, v117, vcc
	v_add_co_u32_e32 v34, vcc, v82, v116
	;; [unrolled: 2-line block ×3, first 2 shown]
	global_load_ushort v44, v[24:25], off
	global_load_ushort v45, v[28:29], off
	;; [unrolled: 1-line block ×3, first 2 shown]
	s_nop 0
	global_load_ushort v30, v[30:31], off
	v_addc_co_u32_e32 v37, vcc, v63, v117, vcc
	v_add_co_u32_e32 v38, vcc, v84, v116
	v_addc_co_u32_e32 v39, vcc, v85, v117, vcc
	v_add_co_u32_e32 v14, vcc, v64, v116
	;; [unrolled: 2-line block ×3, first 2 shown]
	v_addc_co_u32_e32 v11, vcc, v87, v117, vcc
	global_load_ushort v31, v[36:37], off
	s_nop 0
	global_load_ushort v32, v[32:33], off
	s_nop 0
	;; [unrolled: 2-line block ×3, first 2 shown]
	global_load_ushort v34, v[34:35], off
	v_add_co_u32_e32 v40, vcc, v66, v116
	v_addc_co_u32_e32 v41, vcc, v67, v117, vcc
	v_add_co_u32_e32 v42, vcc, v90, v116
	v_addc_co_u32_e32 v43, vcc, v91, v117, vcc
	;; [unrolled: 2-line block ×3, first 2 shown]
	v_add_co_u32_e32 v4, vcc, v92, v116
	global_load_ushort v35, v[14:15], off
	global_load_ushort v36, v[40:41], off
	global_load_ushort v37, v[10:11], off
	global_load_ushort v38, v[42:43], off
	v_addc_co_u32_e32 v5, vcc, v93, v117, vcc
	v_add_co_u32_e32 v12, vcc, v76, v116
	v_addc_co_u32_e32 v13, vcc, v77, v117, vcc
	v_add_co_u32_e32 v8, vcc, v94, v116
	;; [unrolled: 2-line block ×3, first 2 shown]
	v_addc_co_u32_e32 v25, vcc, v89, v117, vcc
	global_load_ushort v12, v[12:13], off
	s_nop 0
	global_load_ushort v13, v[6:7], off
	global_load_ushort v39, v[8:9], off
	;; [unrolled: 1-line block ×3, first 2 shown]
	v_add_co_u32_e32 v26, vcc, v96, v116
	v_addc_co_u32_e32 v27, vcc, v97, v117, vcc
	v_add_co_u32_e32 v28, vcc, v98, v116
	v_addc_co_u32_e32 v29, vcc, v99, v117, vcc
	;; [unrolled: 2-line block ×3, first 2 shown]
	v_add_co_u32_e32 v14, vcc, v102, v116
	global_load_ushort v24, v[24:25], off
	s_nop 0
	global_load_ushort v25, v[28:29], off
	s_nop 0
	;; [unrolled: 2-line block ×3, first 2 shown]
	global_load_ushort v10, v[10:11], off
	v_addc_co_u32_e32 v15, vcc, v103, v117, vcc
	v_add_co_u32_e32 v4, vcc, v104, v116
	v_addc_co_u32_e32 v5, vcc, v105, v117, vcc
	v_add_co_u32_e32 v6, vcc, v106, v116
	;; [unrolled: 2-line block ×3, first 2 shown]
	v_addc_co_u32_e32 v9, vcc, v109, v117, vcc
	global_load_ushort v11, v[6:7], off
	s_nop 0
	global_load_ushort v14, v[14:15], off
	s_nop 0
	global_load_ushort v15, v[8:9], off
	global_load_ushort v27, v[4:5], off
	s_waitcnt vmcnt(31)
	v_lshlrev_b32_e32 v4, 16, v16
	ds_bpermute_b32 v16, v110, v2
	s_waitcnt vmcnt(30)
	v_lshlrev_b32_e32 v5, 16, v17
	v_mul_f32_e32 v4, v4, v5
	ds_bpermute_b32 v5, v110, v2 offset:4
	s_waitcnt vmcnt(29)
	v_lshlrev_b32_e32 v6, 16, v18
	s_waitcnt vmcnt(28)
	v_lshlrev_b32_e32 v7, 16, v19
	s_waitcnt lgkmcnt(1)
	v_fmac_f32_e32 v0, v4, v16
	ds_bpermute_b32 v4, v110, v2 offset:8
	v_mul_f32_e32 v6, v6, v7
	ds_bpermute_b32 v7, v110, v2 offset:12
	s_waitcnt vmcnt(27)
	v_lshlrev_b32_e32 v8, 16, v20
	s_waitcnt vmcnt(26)
	v_lshlrev_b32_e32 v9, 16, v21
	;; [unrolled: 2-line block ×4, first 2 shown]
	s_waitcnt lgkmcnt(2)
	v_fmac_f32_e32 v0, v6, v5
	v_mul_f32_e32 v5, v8, v9
	s_waitcnt lgkmcnt(1)
	v_fmac_f32_e32 v0, v5, v4
	v_mul_f32_e32 v4, v17, v18
	s_waitcnt lgkmcnt(0)
	v_fmac_f32_e32 v0, v4, v7
	ds_bpermute_b32 v4, v110, v2 offset:16
	ds_bpermute_b32 v5, v110, v2 offset:20
	s_waitcnt vmcnt(22)
	v_lshlrev_b32_e32 v7, 16, v45
	v_lshlrev_b32_e32 v6, 16, v44
	s_waitcnt vmcnt(20)
	v_lshlrev_b32_e32 v9, 16, v30
	v_lshlrev_b32_e32 v8, 16, v46
	v_pk_mul_f32 v[6:7], v[6:7], v[8:9]
	s_waitcnt lgkmcnt(0)
	v_pk_mul_f32 v[4:5], v[6:7], v[4:5]
	v_add_f32_e32 v0, v0, v4
	v_add_f32_e32 v0, v0, v5
	ds_bpermute_b32 v4, v110, v2 offset:24
	ds_bpermute_b32 v5, v110, v2 offset:28
	s_waitcnt vmcnt(19)
	v_lshlrev_b32_e32 v7, 16, v31
	s_waitcnt vmcnt(18)
	v_lshlrev_b32_e32 v6, 16, v32
	s_waitcnt vmcnt(17)
	v_lshlrev_b32_e32 v9, 16, v33
	s_waitcnt vmcnt(16)
	v_lshlrev_b32_e32 v8, 16, v34
	v_pk_mul_f32 v[6:7], v[6:7], v[8:9]
	s_waitcnt lgkmcnt(0)
	v_pk_mul_f32 v[4:5], v[6:7], v[4:5]
	v_add_f32_e32 v0, v0, v4
	v_add_f32_e32 v0, v0, v5
	ds_bpermute_b32 v4, v110, v2 offset:32
	ds_bpermute_b32 v5, v110, v2 offset:36
	s_waitcnt vmcnt(14)
	v_lshlrev_b32_e32 v7, 16, v36
	v_lshlrev_b32_e32 v6, 16, v35
	s_waitcnt vmcnt(12)
	v_lshlrev_b32_e32 v9, 16, v38
	v_lshlrev_b32_e32 v8, 16, v37
	v_pk_mul_f32 v[6:7], v[6:7], v[8:9]
	s_waitcnt lgkmcnt(0)
	v_pk_mul_f32 v[4:5], v[6:7], v[4:5]
	v_add_f32_e32 v0, v0, v4
	v_add_f32_e32 v0, v0, v5
	ds_bpermute_b32 v4, v110, v2 offset:40
	ds_bpermute_b32 v5, v110, v2 offset:44
	s_waitcnt vmcnt(11)
	v_lshlrev_b32_e32 v7, 16, v12
	s_waitcnt vmcnt(10)
	v_lshlrev_b32_e32 v6, 16, v13
	s_waitcnt vmcnt(9)
	v_lshlrev_b32_e32 v9, 16, v39
	s_waitcnt vmcnt(8)
	v_lshlrev_b32_e32 v8, 16, v40
	v_pk_mul_f32 v[6:7], v[6:7], v[8:9]
	s_waitcnt lgkmcnt(0)
	v_pk_mul_f32 v[4:5], v[6:7], v[4:5]
	v_add_f32_e32 v0, v0, v4
	v_add_f32_e32 v0, v0, v5
	;; [unrolled: 28-line block ×3, first 2 shown]
.LBB197_129:                            ;   in Loop: Header=BB197_85 Depth=1
	buffer_load_dword v4, off, s[52:55], 0  ; 4-byte Folded Reload
	buffer_load_dword v5, off, s[52:55], 0 offset:4 ; 4-byte Folded Reload
	v_add_co_u32_e32 v50, vcc, s26, v50
	v_mov_b32_e32 v0, s27
	v_addc_co_u32_e32 v51, vcc, v51, v0, vcc
	v_add_co_u32_e32 v52, vcc, s26, v52
	v_addc_co_u32_e32 v53, vcc, v53, v0, vcc
	v_add_co_u32_e32 v54, vcc, s26, v54
	;; [unrolled: 2-line block ×31, first 2 shown]
	v_addc_co_u32_e32 v111, vcc, v111, v0, vcc
	s_waitcnt vmcnt(1)
	v_add_co_u32_e32 v4, vcc, s26, v4
	s_waitcnt vmcnt(0)
	buffer_store_dword v4, off, s[52:55], 0 ; 4-byte Folded Spill
	s_nop 0
	buffer_store_dword v5, off, s[52:55], 0 offset:4 ; 4-byte Folded Spill
	buffer_load_dword v4, off, s[52:55], 0 offset:8 ; 4-byte Folded Reload
	s_nop 0
	buffer_load_dword v5, off, s[52:55], 0 offset:12 ; 4-byte Folded Reload
	s_add_u32 s30, s30, s7
	s_addc_u32 s31, s31, 0
	s_add_u32 s24, s24, s7
	s_addc_u32 s25, s25, 0
	s_waitcnt vmcnt(0)
	v_addc_co_u32_e32 v5, vcc, v5, v0, vcc
	buffer_store_dword v4, off, s[52:55], 0 offset:8 ; 4-byte Folded Spill
	s_nop 0
	buffer_store_dword v5, off, s[52:55], 0 offset:12 ; 4-byte Folded Spill
	buffer_load_dword v4, off, s[52:55], 0 offset:16 ; 4-byte Folded Reload
	s_nop 0
	buffer_load_dword v5, off, s[52:55], 0 offset:20 ; 4-byte Folded Reload
	s_waitcnt vmcnt(1)
	v_add_co_u32_e32 v4, vcc, s26, v4
	s_waitcnt vmcnt(0)
	buffer_store_dword v4, off, s[52:55], 0 offset:16 ; 4-byte Folded Spill
	s_nop 0
	buffer_store_dword v5, off, s[52:55], 0 offset:20 ; 4-byte Folded Spill
	buffer_load_dword v4, off, s[52:55], 0 offset:24 ; 4-byte Folded Reload
	s_nop 0
	buffer_load_dword v5, off, s[52:55], 0 offset:28 ; 4-byte Folded Reload
	s_waitcnt vmcnt(0)
	v_addc_co_u32_e32 v5, vcc, v5, v0, vcc
	buffer_store_dword v4, off, s[52:55], 0 offset:24 ; 4-byte Folded Spill
	s_nop 0
	buffer_store_dword v5, off, s[52:55], 0 offset:28 ; 4-byte Folded Spill
	buffer_load_dword v4, off, s[52:55], 0 offset:32 ; 4-byte Folded Reload
	s_nop 0
	buffer_load_dword v5, off, s[52:55], 0 offset:36 ; 4-byte Folded Reload
	s_waitcnt vmcnt(1)
	v_add_co_u32_e32 v4, vcc, s26, v4
	s_waitcnt vmcnt(0)
	buffer_store_dword v4, off, s[52:55], 0 offset:32 ; 4-byte Folded Spill
	s_nop 0
	buffer_store_dword v5, off, s[52:55], 0 offset:36 ; 4-byte Folded Spill
	buffer_load_dword v4, off, s[52:55], 0 offset:40 ; 4-byte Folded Reload
	s_nop 0
	buffer_load_dword v5, off, s[52:55], 0 offset:44 ; 4-byte Folded Reload
	;; [unrolled: 17-line block ×3, first 2 shown]
	v_addc_co_u32_e32 v119, vcc, v119, v0, vcc
	v_add_co_u32_e32 v124, vcc, s26, v124
	v_addc_co_u32_e32 v121, vcc, v121, v0, vcc
	v_add_co_u32_e32 v126, vcc, s26, v126
	s_waitcnt vmcnt(0)
	v_addc_co_u32_e32 v5, vcc, v5, v0, vcc
	buffer_store_dword v4, off, s[52:55], 0 offset:56 ; 4-byte Folded Spill
	s_nop 0
	buffer_store_dword v5, off, s[52:55], 0 offset:60 ; 4-byte Folded Spill
	buffer_load_dword v4, off, s[52:55], 0 offset:64 ; 4-byte Folded Reload
	s_nop 0
	buffer_load_dword v5, off, s[52:55], 0 offset:68 ; 4-byte Folded Reload
	s_waitcnt vmcnt(1)
	v_add_co_u32_e32 v4, vcc, s26, v4
	s_waitcnt vmcnt(0)
	buffer_store_dword v4, off, s[52:55], 0 offset:64 ; 4-byte Folded Spill
	s_nop 0
	buffer_store_dword v5, off, s[52:55], 0 offset:68 ; 4-byte Folded Spill
	buffer_load_dword v4, off, s[52:55], 0 offset:72 ; 4-byte Folded Reload
	s_nop 0
	buffer_load_dword v5, off, s[52:55], 0 offset:76 ; 4-byte Folded Reload
	s_waitcnt vmcnt(0)
	v_addc_co_u32_e32 v5, vcc, v5, v0, vcc
	buffer_store_dword v4, off, s[52:55], 0 offset:72 ; 4-byte Folded Spill
	s_nop 0
	buffer_store_dword v5, off, s[52:55], 0 offset:76 ; 4-byte Folded Spill
	buffer_load_dword v4, off, s[52:55], 0 offset:80 ; 4-byte Folded Reload
	s_nop 0
	buffer_load_dword v5, off, s[52:55], 0 offset:84 ; 4-byte Folded Reload
	s_waitcnt vmcnt(1)
	v_add_co_u32_e32 v4, vcc, s26, v4
	s_waitcnt vmcnt(0)
	buffer_store_dword v4, off, s[52:55], 0 offset:80 ; 4-byte Folded Spill
	s_nop 0
	buffer_store_dword v5, off, s[52:55], 0 offset:84 ; 4-byte Folded Spill
	buffer_load_dword v4, off, s[52:55], 0 offset:88 ; 4-byte Folded Reload
	s_nop 0
	buffer_load_dword v5, off, s[52:55], 0 offset:92 ; 4-byte Folded Reload
	;; [unrolled: 17-line block ×21, first 2 shown]
	s_waitcnt vmcnt(0)
	v_addc_co_u32_e32 v5, vcc, v5, v0, vcc
	buffer_store_dword v4, off, s[52:55], 0 offset:392 ; 4-byte Folded Spill
	s_nop 0
	buffer_store_dword v5, off, s[52:55], 0 offset:396 ; 4-byte Folded Spill
	buffer_load_dword v4, off, s[52:55], 0 offset:400 ; 4-byte Folded Reload
	s_nop 0
	buffer_load_dword v5, off, s[52:55], 0 offset:404 ; 4-byte Folded Reload
	s_waitcnt vmcnt(1)
	v_add_co_u32_e32 v4, vcc, s26, v4
	v_addc_co_u32_e32 v125, vcc, v125, v0, vcc
	v_add_co_u32_e32 v118, vcc, s26, v118
	v_addc_co_u32_e32 v127, vcc, v127, v0, vcc
	s_waitcnt vmcnt(0)
	buffer_store_dword v4, off, s[52:55], 0 offset:400 ; 4-byte Folded Spill
	s_nop 0
	buffer_store_dword v5, off, s[52:55], 0 offset:404 ; 4-byte Folded Spill
	v_add_co_u32_e32 v120, vcc, s26, v120
	v_addc_co_u32_e32 v123, vcc, v123, v0, vcc
	v_pk_mov_b32 v[4:5], s[36:37], s[36:37] op_sel:[0,1]
	v_cmp_ge_i64_e32 vcc, s[30:31], v[4:5]
	s_cbranch_vccnz .LBB197_131
; %bb.130:                              ;   in Loop: Header=BB197_85 Depth=1
	v_mov_b32_e32 v0, v2
	s_branch .LBB197_85
.LBB197_131:
	buffer_load_dword v122, off, s[52:55], 0 offset:424 ; 4-byte Folded Reload
.LBB197_132:
	s_waitcnt vmcnt(0)
	v_bfe_u32 v0, v122, 10, 10
	v_and_b32_e32 v3, 0x3ff, v122
	s_movk_i32 s0, 0x41
	v_mad_u32_u24 v1, v0, s0, v3
	v_lshl_add_u32 v1, v1, 2, 0
	ds_write_b32 v1, v2
	v_mov_b32_e32 v2, 0
	ds_write_b32 v1, v2 offset:4160
	v_lshrrev_b32_e32 v1, 6, v3
	v_add_u32_e32 v2, v1, v0
	s_mov_b32 s7, 0
	v_cmp_gt_u32_e32 vcc, 64, v2
	s_waitcnt lgkmcnt(0)
	s_barrier
	s_and_saveexec_b64 s[0:1], vcc
	s_cbranch_execz .LBB197_139
; %bb.133:
	v_mbcnt_lo_u32_b32 v5, -1, 0
	v_mbcnt_hi_u32_b32 v7, -1, v5
	v_and_b32_e32 v4, 63, v3
	v_and_b32_e32 v5, 64, v7
	v_cmp_gt_u32_e32 vcc, 16, v4
	v_add_u32_e32 v8, 64, v5
	v_cmp_ne_u32_e64 s[0:1], 0, v3
	v_mul_u32_u24_e32 v3, 0x104, v4
	v_xor_b32_e32 v4, 8, v7
	v_cmp_lt_i32_e64 s[2:3], v4, v8
	v_xor_b32_e32 v5, 4, v7
	v_cndmask_b32_e64 v4, v7, v4, s[2:3]
	v_cmp_lt_i32_e64 s[2:3], v5, v8
	v_xor_b32_e32 v6, 2, v7
	v_cndmask_b32_e64 v5, v7, v5, s[2:3]
	;; [unrolled: 3-line block ×3, first 2 shown]
	v_cmp_lt_i32_e64 s[2:3], v9, v8
	s_load_dwordx2 s[10:11], s[4:5], 0x30
	v_cndmask_b32_e64 v7, v7, v9, s[2:3]
	v_add_co_u32_e64 v0, s[2:3], v1, v0
	s_lshl_b64 s[4:5], s[6:7], 6
	v_lshlrev_b32_e32 v2, 2, v2
	v_addc_co_u32_e64 v1, s[2:3], 0, 0, s[2:3]
	v_add3_u32 v8, v3, v2, 0
	v_mov_b32_e32 v3, s5
	v_add_co_u32_e64 v2, s[2:3], s4, v0
	v_addc_co_u32_e64 v3, s[2:3], v1, v3, s[2:3]
	v_lshlrev_b64 v[2:3], 1, v[2:3]
	s_waitcnt lgkmcnt(0)
	s_cmp_eq_u64 s[10:11], 0
	v_mov_b32_e32 v9, s11
	v_add_co_u32_e64 v2, s[2:3], s10, v2
	s_mov_b64 s[6:7], 0
	s_cselect_b64 s[8:9], -1, 0
	v_lshlrev_b32_e32 v4, 2, v4
	v_lshlrev_b32_e32 v5, 2, v5
	;; [unrolled: 1-line block ×4, first 2 shown]
	v_addc_co_u32_e64 v3, s[2:3], v9, v3, s[2:3]
	v_mov_b32_e32 v9, s5
	s_movk_i32 s5, 0x7fff
	v_mov_b32_e32 v10, 0x7fc0
                                        ; implicit-def: $vgpr11
	s_branch .LBB197_135
.LBB197_134:                            ;   in Loop: Header=BB197_135 Depth=1
	s_or_b64 exec, exec, s[10:11]
	v_add_co_u32_e64 v0, s[2:3], 16, v0
	v_addc_co_u32_e64 v1, s[2:3], 0, v1, s[2:3]
	v_add_u32_e32 v12, -16, v0
	v_cmp_lt_u32_e64 s[2:3], 47, v12
	s_or_b64 s[6:7], s[2:3], s[6:7]
	v_add_co_u32_e64 v2, s[2:3], 32, v2
	v_add_u32_e32 v8, 64, v8
	v_addc_co_u32_e64 v3, s[2:3], 0, v3, s[2:3]
	s_andn2_b64 exec, exec, s[6:7]
	s_cbranch_execz .LBB197_139
.LBB197_135:                            ; =>This Inner Loop Header: Depth=1
	s_and_saveexec_b64 s[2:3], vcc
	s_cbranch_execz .LBB197_137
; %bb.136:                              ;   in Loop: Header=BB197_135 Depth=1
	ds_read_b32 v11, v8
.LBB197_137:                            ;   in Loop: Header=BB197_135 Depth=1
	s_or_b64 exec, exec, s[2:3]
	s_waitcnt lgkmcnt(0)
	ds_bpermute_b32 v12, v4, v11
	s_waitcnt lgkmcnt(0)
	v_add_f32_e32 v11, v11, v12
	ds_bpermute_b32 v12, v5, v11
	s_waitcnt lgkmcnt(0)
	v_add_f32_e32 v11, v11, v12
	;; [unrolled: 3-line block ×3, first 2 shown]
	ds_bpermute_b32 v14, v7, v11
	v_add_co_u32_e64 v12, s[2:3], s4, v0
	v_addc_co_u32_e64 v13, s[2:3], v9, v1, s[2:3]
	v_cmp_le_i64_e64 s[2:3], s[38:39], v[12:13]
	s_or_b64 s[2:3], s[0:1], s[2:3]
	s_or_b64 s[2:3], s[8:9], s[2:3]
	s_waitcnt lgkmcnt(0)
	v_add_f32_e32 v11, v11, v14
	s_xor_b64 s[2:3], s[2:3], -1
	s_and_saveexec_b64 s[10:11], s[2:3]
	s_cbranch_execz .LBB197_134
; %bb.138:                              ;   in Loop: Header=BB197_135 Depth=1
	v_bfe_u32 v12, v11, 16, 1
	v_add3_u32 v12, v11, v12, s5
	v_lshrrev_b32_e32 v12, 16, v12
	v_cmp_o_f32_e64 s[2:3], v11, v11
	v_cndmask_b32_e64 v12, v10, v12, s[2:3]
	global_store_short v[2:3], v12, off
	s_branch .LBB197_134
.LBB197_139:
	s_endpgm
	.section	.rodata,"a",@progbits
	.p2align	6, 0x0
	.amdhsa_kernel _ZN2at6native12_GLOBAL__N_135GammaBetaBackwardCUDAKernelTemplateIN3c108BFloat16EfLj64ELj16ELj256ELb0ELb0ELb1EEEvllPKT_S7_PKT0_SA_PS5_SB_
		.amdhsa_group_segment_fixed_size 0
		.amdhsa_private_segment_fixed_size 432
		.amdhsa_kernarg_size 320
		.amdhsa_user_sgpr_count 6
		.amdhsa_user_sgpr_private_segment_buffer 1
		.amdhsa_user_sgpr_dispatch_ptr 0
		.amdhsa_user_sgpr_queue_ptr 0
		.amdhsa_user_sgpr_kernarg_segment_ptr 1
		.amdhsa_user_sgpr_dispatch_id 0
		.amdhsa_user_sgpr_flat_scratch_init 0
		.amdhsa_user_sgpr_kernarg_preload_length 0
		.amdhsa_user_sgpr_kernarg_preload_offset 0
		.amdhsa_user_sgpr_private_segment_size 0
		.amdhsa_uses_dynamic_stack 0
		.amdhsa_system_sgpr_private_segment_wavefront_offset 1
		.amdhsa_system_sgpr_workgroup_id_x 1
		.amdhsa_system_sgpr_workgroup_id_y 1
		.amdhsa_system_sgpr_workgroup_id_z 0
		.amdhsa_system_sgpr_workgroup_info 0
		.amdhsa_system_vgpr_workitem_id 1
		.amdhsa_next_free_vgpr 128
		.amdhsa_next_free_sgpr 56
		.amdhsa_accum_offset 128
		.amdhsa_reserve_vcc 1
		.amdhsa_reserve_flat_scratch 0
		.amdhsa_float_round_mode_32 0
		.amdhsa_float_round_mode_16_64 0
		.amdhsa_float_denorm_mode_32 3
		.amdhsa_float_denorm_mode_16_64 3
		.amdhsa_dx10_clamp 1
		.amdhsa_ieee_mode 1
		.amdhsa_fp16_overflow 0
		.amdhsa_tg_split 0
		.amdhsa_exception_fp_ieee_invalid_op 0
		.amdhsa_exception_fp_denorm_src 0
		.amdhsa_exception_fp_ieee_div_zero 0
		.amdhsa_exception_fp_ieee_overflow 0
		.amdhsa_exception_fp_ieee_underflow 0
		.amdhsa_exception_fp_ieee_inexact 0
		.amdhsa_exception_int_div_zero 0
	.end_amdhsa_kernel
	.section	.text._ZN2at6native12_GLOBAL__N_135GammaBetaBackwardCUDAKernelTemplateIN3c108BFloat16EfLj64ELj16ELj256ELb0ELb0ELb1EEEvllPKT_S7_PKT0_SA_PS5_SB_,"axG",@progbits,_ZN2at6native12_GLOBAL__N_135GammaBetaBackwardCUDAKernelTemplateIN3c108BFloat16EfLj64ELj16ELj256ELb0ELb0ELb1EEEvllPKT_S7_PKT0_SA_PS5_SB_,comdat
.Lfunc_end197:
	.size	_ZN2at6native12_GLOBAL__N_135GammaBetaBackwardCUDAKernelTemplateIN3c108BFloat16EfLj64ELj16ELj256ELb0ELb0ELb1EEEvllPKT_S7_PKT0_SA_PS5_SB_, .Lfunc_end197-_ZN2at6native12_GLOBAL__N_135GammaBetaBackwardCUDAKernelTemplateIN3c108BFloat16EfLj64ELj16ELj256ELb0ELb0ELb1EEEvllPKT_S7_PKT0_SA_PS5_SB_
                                        ; -- End function
	.section	.AMDGPU.csdata,"",@progbits
; Kernel info:
; codeLenInByte = 17208
; NumSgprs: 60
; NumVgprs: 128
; NumAgprs: 0
; TotalNumVgprs: 128
; ScratchSize: 432
; MemoryBound: 0
; FloatMode: 240
; IeeeMode: 1
; LDSByteSize: 0 bytes/workgroup (compile time only)
; SGPRBlocks: 7
; VGPRBlocks: 15
; NumSGPRsForWavesPerEU: 60
; NumVGPRsForWavesPerEU: 128
; AccumOffset: 128
; Occupancy: 4
; WaveLimiterHint : 0
; COMPUTE_PGM_RSRC2:SCRATCH_EN: 1
; COMPUTE_PGM_RSRC2:USER_SGPR: 6
; COMPUTE_PGM_RSRC2:TRAP_HANDLER: 0
; COMPUTE_PGM_RSRC2:TGID_X_EN: 1
; COMPUTE_PGM_RSRC2:TGID_Y_EN: 1
; COMPUTE_PGM_RSRC2:TGID_Z_EN: 0
; COMPUTE_PGM_RSRC2:TIDIG_COMP_CNT: 1
; COMPUTE_PGM_RSRC3_GFX90A:ACCUM_OFFSET: 31
; COMPUTE_PGM_RSRC3_GFX90A:TG_SPLIT: 0
	.section	.text._ZN2at6native12_GLOBAL__N_135GammaBetaBackwardCUDAKernelTemplateIN3c108BFloat16EfLj32ELj1ELj32ELb1ELb1ELb1EEEvllPKT_S7_PKT0_SA_PS5_SB_,"axG",@progbits,_ZN2at6native12_GLOBAL__N_135GammaBetaBackwardCUDAKernelTemplateIN3c108BFloat16EfLj32ELj1ELj32ELb1ELb1ELb1EEEvllPKT_S7_PKT0_SA_PS5_SB_,comdat
	.globl	_ZN2at6native12_GLOBAL__N_135GammaBetaBackwardCUDAKernelTemplateIN3c108BFloat16EfLj32ELj1ELj32ELb1ELb1ELb1EEEvllPKT_S7_PKT0_SA_PS5_SB_ ; -- Begin function _ZN2at6native12_GLOBAL__N_135GammaBetaBackwardCUDAKernelTemplateIN3c108BFloat16EfLj32ELj1ELj32ELb1ELb1ELb1EEEvllPKT_S7_PKT0_SA_PS5_SB_
	.p2align	8
	.type	_ZN2at6native12_GLOBAL__N_135GammaBetaBackwardCUDAKernelTemplateIN3c108BFloat16EfLj32ELj1ELj32ELb1ELb1ELb1EEEvllPKT_S7_PKT0_SA_PS5_SB_,@function
_ZN2at6native12_GLOBAL__N_135GammaBetaBackwardCUDAKernelTemplateIN3c108BFloat16EfLj32ELj1ELj32ELb1ELb1ELb1EEEvllPKT_S7_PKT0_SA_PS5_SB_: ; @_ZN2at6native12_GLOBAL__N_135GammaBetaBackwardCUDAKernelTemplateIN3c108BFloat16EfLj32ELj1ELj32ELb1ELb1ELb1EEEvllPKT_S7_PKT0_SA_PS5_SB_
; %bb.0:
	s_load_dwordx4 s[8:11], s[4:5], 0x0
	s_load_dwordx2 s[16:17], s[4:5], 0x30
	s_lshl_b32 s18, s7, 5
	s_mov_b32 s19, 0
	s_mov_b32 s2, s7
	s_waitcnt lgkmcnt(0)
	v_pk_mov_b32 v[2:3], s[8:9], s[8:9] op_sel:[0,1]
	v_cmp_ge_i64_e32 vcc, s[18:19], v[2:3]
	v_mov_b32_e32 v9, 0
	v_bfe_u32 v2, v0, 10, 10
	s_cbranch_vccnz .LBB198_7
; %bb.1:
	s_load_dword s0, s[4:5], 0x4c
	s_load_dword s3, s[4:5], 0x44
	s_load_dwordx4 s[12:15], s[4:5], 0x10
	s_load_dwordx2 s[22:23], s[4:5], 0x28
	v_and_b32_e32 v1, 0x3ff, v0
	s_waitcnt lgkmcnt(0)
	s_and_b32 s0, s0, 0xffff
	v_mad_u32_u24 v3, v2, s0, v1
	v_lshl_or_b32 v8, s6, 5, v1
	v_mbcnt_lo_u32_b32 v1, -1, 0
	v_mbcnt_hi_u32_b32 v1, -1, v1
	v_lshlrev_b32_e32 v5, 5, v2
	v_lshlrev_b32_e32 v1, 2, v1
	v_and_b32_e32 v4, 63, v3
	v_and_b32_e32 v3, 0x100, v1
	v_mov_b32_e32 v1, s19
	v_add_co_u32_e32 v10, vcc, s18, v5
	v_addc_co_u32_e32 v1, vcc, 0, v1, vcc
	v_cmp_gt_u32_e64 s[0:1], 32, v4
	v_add_co_u32_e32 v4, vcc, v10, v4
	v_addc_co_u32_e32 v5, vcc, 0, v1, vcc
	v_lshlrev_b64 v[6:7], 2, v[4:5]
	v_mov_b32_e32 v11, s23
	v_add_co_u32_e32 v6, vcc, s22, v6
	v_addc_co_u32_e32 v7, vcc, v11, v7, vcc
	v_mul_lo_u32 v12, s11, v10
	v_mul_lo_u32 v1, s10, v1
	v_mad_u64_u32 v[10:11], s[24:25], s10, v10, 0
	v_mov_b32_e32 v9, 0
	s_lshl_b32 s20, s3, 5
	v_add3_u32 v11, v11, v1, v12
	v_lshlrev_b64 v[10:11], 1, v[10:11]
	v_lshlrev_b64 v[12:13], 1, v[8:9]
	s_mul_i32 s3, s11, s20
	s_mul_hi_u32 s7, s10, s20
	s_mov_b32 s21, s19
	v_add_co_u32_e32 v8, vcc, v10, v12
	s_add_i32 s25, s7, s3
	s_mul_i32 s24, s10, s20
	v_or_b32_e32 v14, 4, v3
	v_or_b32_e32 v15, 8, v3
	;; [unrolled: 1-line block ×31, first 2 shown]
	s_lshl_b64 s[22:23], s[20:21], 2
	v_addc_co_u32_e32 v1, vcc, v11, v13, vcc
	s_lshl_b64 s[24:25], s[24:25], 1
	s_lshl_b64 s[26:27], s[10:11], 1
	s_branch .LBB198_4
.LBB198_2:                              ;   in Loop: Header=BB198_4 Depth=1
	s_or_b64 exec, exec, s[30:31]
.LBB198_3:                              ;   in Loop: Header=BB198_4 Depth=1
	s_or_b64 exec, exec, s[28:29]
	v_mov_b32_e32 v11, s13
	v_add_co_u32_e32 v10, vcc, s12, v8
	v_addc_co_u32_e32 v11, vcc, v11, v1, vcc
	v_mov_b32_e32 v13, s15
	v_add_co_u32_e32 v12, vcc, s14, v8
	v_addc_co_u32_e32 v13, vcc, v13, v1, vcc
	global_load_ushort v47, v[10:11], off
	global_load_ushort v52, v[12:13], off
	v_mov_b32_e32 v46, s27
	v_add_co_u32_e32 v10, vcc, s26, v10
	v_addc_co_u32_e32 v11, vcc, v11, v46, vcc
	v_add_co_u32_e32 v12, vcc, s26, v12
	v_addc_co_u32_e32 v13, vcc, v13, v46, vcc
	global_load_ushort v53, v[10:11], off
	global_load_ushort v54, v[12:13], off
	v_add_co_u32_e32 v10, vcc, s26, v10
	v_addc_co_u32_e32 v11, vcc, v11, v46, vcc
	v_add_co_u32_e32 v12, vcc, s26, v12
	v_addc_co_u32_e32 v13, vcc, v13, v46, vcc
	global_load_ushort v55, v[10:11], off
	global_load_ushort v56, v[12:13], off
	;; [unrolled: 6-line block ×4, first 2 shown]
	v_add_co_u32_e32 v48, vcc, s26, v10
	v_addc_co_u32_e32 v49, vcc, v11, v46, vcc
	v_add_co_u32_e32 v50, vcc, s26, v12
	v_addc_co_u32_e32 v51, vcc, v13, v46, vcc
	;; [unrolled: 2-line block ×3, first 2 shown]
	v_add_co_u32_e32 v12, vcc, s26, v50
	global_load_ushort v50, v[50:51], off
	v_addc_co_u32_e32 v13, vcc, v51, v46, vcc
	global_load_ushort v61, v[48:49], off
	global_load_ushort v51, v[12:13], off
	s_add_u32 s18, s18, s20
	s_addc_u32 s19, s19, 0
	s_waitcnt vmcnt(12)
	v_lshlrev_b32_e32 v47, 16, v47
	s_waitcnt vmcnt(11)
	v_lshlrev_b32_e32 v48, 16, v52
	v_mul_f32_e32 v47, v47, v48
	ds_bpermute_b32 v48, v3, v45
	s_waitcnt lgkmcnt(0)
	v_fmac_f32_e32 v9, v47, v48
	global_load_ushort v47, v[10:11], off
	v_add_co_u32_e32 v48, vcc, s26, v10
	v_addc_co_u32_e32 v49, vcc, v11, v46, vcc
	v_add_co_u32_e32 v10, vcc, s26, v12
	v_addc_co_u32_e32 v11, vcc, v13, v46, vcc
	s_waitcnt vmcnt(11)
	v_lshlrev_b32_e32 v12, 16, v53
	s_waitcnt vmcnt(10)
	v_lshlrev_b32_e32 v13, 16, v54
	v_mul_f32_e32 v12, v12, v13
	ds_bpermute_b32 v13, v14, v45
	global_load_ushort v52, v[48:49], off
	global_load_ushort v53, v[10:11], off
	s_waitcnt lgkmcnt(0)
	v_fmac_f32_e32 v9, v12, v13
	v_add_co_u32_e32 v12, vcc, s26, v48
	v_addc_co_u32_e32 v13, vcc, v49, v46, vcc
	v_add_co_u32_e32 v48, vcc, s26, v10
	v_addc_co_u32_e32 v49, vcc, v11, v46, vcc
	s_waitcnt vmcnt(11)
	v_lshlrev_b32_e32 v10, 16, v55
	s_waitcnt vmcnt(10)
	v_lshlrev_b32_e32 v11, 16, v56
	v_mul_f32_e32 v10, v10, v11
	ds_bpermute_b32 v11, v15, v45
	global_load_ushort v54, v[12:13], off
	global_load_ushort v55, v[48:49], off
	s_waitcnt lgkmcnt(0)
	v_fmac_f32_e32 v9, v10, v11
	;; [unrolled: 14-line block ×4, first 2 shown]
	v_add_co_u32_e32 v12, vcc, s26, v48
	v_addc_co_u32_e32 v13, vcc, v49, v46, vcc
	v_add_co_u32_e32 v48, vcc, s26, v10
	v_addc_co_u32_e32 v49, vcc, v11, v46, vcc
	s_waitcnt vmcnt(11)
	v_lshlrev_b32_e32 v11, 16, v50
	global_load_ushort v50, v[12:13], off
	global_load_ushort v60, v[48:49], off
	s_waitcnt vmcnt(12)
	v_lshlrev_b32_e32 v10, 16, v61
	v_mul_f32_e32 v10, v10, v11
	ds_bpermute_b32 v11, v18, v45
	s_waitcnt vmcnt(10)
	v_lshlrev_b32_e32 v47, 16, v47
	s_waitcnt lgkmcnt(0)
	v_fmac_f32_e32 v9, v10, v11
	v_add_co_u32_e32 v10, vcc, s26, v12
	v_addc_co_u32_e32 v11, vcc, v13, v46, vcc
	v_add_co_u32_e32 v12, vcc, s26, v48
	v_lshlrev_b32_e32 v48, 16, v51
	v_mul_f32_e32 v47, v47, v48
	ds_bpermute_b32 v48, v19, v45
	v_addc_co_u32_e32 v13, vcc, v49, v46, vcc
	global_load_ushort v51, v[12:13], off
	s_waitcnt lgkmcnt(0)
	v_fmac_f32_e32 v9, v47, v48
	v_add_co_u32_e32 v48, vcc, s26, v10
	v_addc_co_u32_e32 v49, vcc, v11, v46, vcc
	global_load_ushort v47, v[10:11], off
	v_add_co_u32_e32 v10, vcc, s26, v12
	v_addc_co_u32_e32 v11, vcc, v13, v46, vcc
	s_waitcnt vmcnt(11)
	v_lshlrev_b32_e32 v12, 16, v52
	s_waitcnt vmcnt(10)
	v_lshlrev_b32_e32 v13, 16, v53
	v_mul_f32_e32 v12, v12, v13
	ds_bpermute_b32 v13, v20, v45
	global_load_ushort v52, v[48:49], off
	global_load_ushort v53, v[10:11], off
	s_waitcnt lgkmcnt(0)
	v_fmac_f32_e32 v9, v12, v13
	v_add_co_u32_e32 v12, vcc, s26, v48
	v_addc_co_u32_e32 v13, vcc, v49, v46, vcc
	v_add_co_u32_e32 v48, vcc, s26, v10
	v_addc_co_u32_e32 v49, vcc, v11, v46, vcc
	s_waitcnt vmcnt(11)
	v_lshlrev_b32_e32 v10, 16, v54
	s_waitcnt vmcnt(10)
	v_lshlrev_b32_e32 v11, 16, v55
	v_mul_f32_e32 v10, v10, v11
	ds_bpermute_b32 v11, v21, v45
	global_load_ushort v54, v[12:13], off
	global_load_ushort v55, v[48:49], off
	s_waitcnt lgkmcnt(0)
	v_fmac_f32_e32 v9, v10, v11
	v_add_co_u32_e32 v10, vcc, s26, v12
	v_addc_co_u32_e32 v11, vcc, v13, v46, vcc
	;; [unrolled: 14-line block ×4, first 2 shown]
	v_add_co_u32_e32 v48, vcc, s26, v10
	s_waitcnt vmcnt(11)
	v_lshlrev_b32_e32 v10, 16, v50
	global_load_ushort v50, v[12:13], off
	v_addc_co_u32_e32 v49, vcc, v11, v46, vcc
	s_waitcnt vmcnt(11)
	v_lshlrev_b32_e32 v11, 16, v60
	global_load_ushort v60, v[48:49], off
	v_mul_f32_e32 v10, v10, v11
	ds_bpermute_b32 v11, v24, v45
	s_waitcnt vmcnt(10)
	v_lshlrev_b32_e32 v47, 16, v47
	s_waitcnt lgkmcnt(0)
	v_fmac_f32_e32 v9, v10, v11
	v_add_co_u32_e32 v10, vcc, s26, v12
	v_addc_co_u32_e32 v11, vcc, v13, v46, vcc
	v_add_co_u32_e32 v12, vcc, s26, v48
	v_lshlrev_b32_e32 v48, 16, v51
	v_mul_f32_e32 v47, v47, v48
	ds_bpermute_b32 v48, v25, v45
	v_addc_co_u32_e32 v13, vcc, v49, v46, vcc
	global_load_ushort v61, v[12:13], off
	s_waitcnt lgkmcnt(0)
	v_fmac_f32_e32 v9, v47, v48
	v_add_co_u32_e32 v48, vcc, s26, v10
	v_addc_co_u32_e32 v49, vcc, v11, v46, vcc
	global_load_ushort v47, v[10:11], off
	v_add_co_u32_e32 v10, vcc, s26, v12
	v_addc_co_u32_e32 v11, vcc, v13, v46, vcc
	s_waitcnt vmcnt(11)
	v_lshlrev_b32_e32 v12, 16, v52
	s_waitcnt vmcnt(10)
	v_lshlrev_b32_e32 v13, 16, v53
	v_mul_f32_e32 v12, v12, v13
	ds_bpermute_b32 v13, v26, v45
	global_load_ushort v62, v[48:49], off
	global_load_ushort v63, v[10:11], off
	s_waitcnt lgkmcnt(0)
	v_fmac_f32_e32 v9, v12, v13
	v_add_co_u32_e32 v12, vcc, s26, v48
	v_addc_co_u32_e32 v13, vcc, v49, v46, vcc
	v_add_co_u32_e32 v48, vcc, s26, v10
	v_addc_co_u32_e32 v49, vcc, v11, v46, vcc
	s_waitcnt vmcnt(11)
	v_lshlrev_b32_e32 v10, 16, v54
	s_waitcnt vmcnt(10)
	v_lshlrev_b32_e32 v11, 16, v55
	v_mul_f32_e32 v10, v10, v11
	ds_bpermute_b32 v11, v27, v45
	s_waitcnt vmcnt(9)
	v_lshlrev_b32_e32 v51, 16, v56
	s_waitcnt vmcnt(8)
	v_lshlrev_b32_e32 v52, 16, v57
	v_mul_f32_e32 v51, v51, v52
	ds_bpermute_b32 v52, v29, v45
	s_waitcnt lgkmcnt(1)
	v_fmac_f32_e32 v9, v10, v11
	v_add_co_u32_e32 v10, vcc, s26, v12
	v_addc_co_u32_e32 v11, vcc, v13, v46, vcc
	ds_bpermute_b32 v57, v30, v45
	s_waitcnt vmcnt(7)
	v_lshlrev_b32_e32 v53, 16, v58
	s_waitcnt vmcnt(6)
	v_lshlrev_b32_e32 v54, 16, v59
	v_mul_f32_e32 v53, v53, v54
	s_waitcnt vmcnt(5)
	v_lshlrev_b32_e32 v55, 16, v50
	ds_bpermute_b32 v50, v28, v45
	s_waitcnt vmcnt(4)
	v_lshlrev_b32_e32 v56, 16, v60
	v_mul_f32_e32 v54, v55, v56
	s_waitcnt lgkmcnt(0)
	v_fmac_f32_e32 v9, v51, v50
	v_add_co_u32_e32 v50, vcc, s26, v48
	v_addc_co_u32_e32 v51, vcc, v49, v46, vcc
	v_fmac_f32_e32 v9, v53, v52
	v_add_co_u32_e32 v52, vcc, s26, v10
	v_addc_co_u32_e32 v53, vcc, v11, v46, vcc
	global_load_ushort v55, v[10:11], off
	v_add_co_u32_e32 v10, vcc, s26, v50
	v_addc_co_u32_e32 v11, vcc, v51, v46, vcc
	global_load_ushort v56, v[12:13], off
	global_load_ushort v58, v[50:51], off
	;; [unrolled: 1-line block ×3, first 2 shown]
	v_add_co_u32_e32 v12, vcc, s26, v52
	v_addc_co_u32_e32 v13, vcc, v53, v46, vcc
	v_add_co_u32_e32 v48, vcc, s26, v12
	v_addc_co_u32_e32 v49, vcc, v13, v46, vcc
	v_fmac_f32_e32 v9, v54, v57
	global_load_ushort v57, v[12:13], off
	global_load_ushort v60, v[52:53], off
	v_add_co_u32_e32 v12, vcc, s26, v10
	v_addc_co_u32_e32 v13, vcc, v11, v46, vcc
	global_load_ushort v64, v[10:11], off
	global_load_ushort v65, v[12:13], off
	v_add_co_u32_e32 v10, vcc, s26, v12
	v_addc_co_u32_e32 v11, vcc, v13, v46, vcc
	s_waitcnt vmcnt(10)
	v_lshlrev_b32_e32 v12, 16, v47
	v_lshlrev_b32_e32 v13, 16, v61
	v_mul_f32_e32 v12, v12, v13
	ds_bpermute_b32 v13, v31, v45
	ds_bpermute_b32 v51, v32, v45
	s_waitcnt vmcnt(9)
	v_lshlrev_b32_e32 v47, 16, v62
	s_waitcnt vmcnt(8)
	v_lshlrev_b32_e32 v50, 16, v63
	v_mul_f32_e32 v47, v47, v50
	s_waitcnt lgkmcnt(1)
	v_fmac_f32_e32 v9, v12, v13
	s_waitcnt lgkmcnt(0)
	v_fmac_f32_e32 v9, v47, v51
	ds_bpermute_b32 v54, v33, v45
	v_add_co_u32_e32 v12, vcc, s26, v48
	v_addc_co_u32_e32 v13, vcc, v49, v46, vcc
	global_load_ushort v47, v[12:13], off
	s_waitcnt vmcnt(8)
	v_lshlrev_b32_e32 v51, 16, v55
	ds_bpermute_b32 v55, v34, v45
	s_waitcnt vmcnt(7)
	v_lshlrev_b32_e32 v50, 16, v56
	s_waitcnt vmcnt(5)
	v_lshlrev_b32_e32 v52, 16, v59
	v_lshlrev_b32_e32 v53, 16, v58
	v_pk_mul_f32 v[50:51], v[50:51], v[52:53]
	s_waitcnt lgkmcnt(0)
	v_pk_mul_f32 v[50:51], v[50:51], v[54:55]
	v_add_co_u32_e32 v52, vcc, s26, v10
	v_add_f32_e32 v9, v9, v50
	v_addc_co_u32_e32 v53, vcc, v11, v46, vcc
	v_add_f32_e32 v9, v9, v51
	ds_bpermute_b32 v50, v35, v45
	ds_bpermute_b32 v51, v36, v45
	v_add_co_u32_e32 v54, vcc, s26, v12
	v_addc_co_u32_e32 v55, vcc, v13, v46, vcc
	s_waitcnt vmcnt(3)
	v_lshlrev_b32_e32 v56, 16, v60
	v_lshlrev_b32_e32 v57, 16, v57
	s_waitcnt vmcnt(2)
	v_lshlrev_b32_e32 v58, 16, v64
	s_waitcnt vmcnt(1)
	v_lshlrev_b32_e32 v59, 16, v65
	v_pk_mul_f32 v[56:57], v[56:57], v[58:59]
	v_add_co_u32_e32 v58, vcc, s26, v52
	v_addc_co_u32_e32 v59, vcc, v53, v46, vcc
	s_waitcnt lgkmcnt(0)
	v_pk_mul_f32 v[50:51], v[56:57], v[50:51]
	v_add_co_u32_e32 v56, vcc, s26, v54
	global_load_ushort v60, v[48:49], off
	global_load_ushort v61, v[52:53], off
	v_addc_co_u32_e32 v57, vcc, v55, v46, vcc
	global_load_ushort v62, v[10:11], off
	global_load_ushort v63, v[56:57], off
	v_add_co_u32_e32 v12, vcc, s26, v58
	v_addc_co_u32_e32 v13, vcc, v59, v46, vcc
	v_add_co_u32_e32 v48, vcc, s26, v56
	v_addc_co_u32_e32 v49, vcc, v57, v46, vcc
	v_add_co_u32_e32 v10, vcc, s26, v12
	v_addc_co_u32_e32 v11, vcc, v13, v46, vcc
	global_load_ushort v56, v[54:55], off
	global_load_ushort v57, v[12:13], off
	v_add_co_u32_e32 v12, vcc, s26, v48
	global_load_ushort v54, v[58:59], off
	v_addc_co_u32_e32 v13, vcc, v49, v46, vcc
	v_add_co_u32_e32 v52, vcc, s26, v12
	v_addc_co_u32_e32 v53, vcc, v13, v46, vcc
	global_load_ushort v55, v[12:13], off
	global_load_ushort v58, v[48:49], off
	v_add_co_u32_e32 v12, vcc, s26, v10
	v_addc_co_u32_e32 v13, vcc, v11, v46, vcc
	global_load_ushort v59, v[12:13], off
	global_load_ushort v64, v[10:11], off
	v_add_co_u32_e32 v48, vcc, s26, v12
	v_addc_co_u32_e32 v49, vcc, v13, v46, vcc
	v_add_co_u32_e32 v10, vcc, s26, v52
	v_addc_co_u32_e32 v11, vcc, v53, v46, vcc
	;; [unrolled: 2-line block ×3, first 2 shown]
	global_load_ushort v52, v[52:53], off
	s_nop 0
	global_load_ushort v53, v[10:11], off
	global_load_ushort v65, v[48:49], off
	;; [unrolled: 1-line block ×3, first 2 shown]
	s_waitcnt vmcnt(15)
	v_lshlrev_b32_e32 v11, 16, v47
	ds_bpermute_b32 v46, v37, v45
	ds_bpermute_b32 v47, v38, v45
	v_add_f32_e32 v9, v9, v50
	v_add_f32_e32 v9, v9, v51
	v_add_co_u32_e32 v6, vcc, s22, v6
	s_waitcnt vmcnt(14)
	v_lshlrev_b32_e32 v10, 16, v60
	s_waitcnt vmcnt(13)
	v_lshlrev_b32_e32 v13, 16, v61
	;; [unrolled: 2-line block ×3, first 2 shown]
	v_pk_mul_f32 v[10:11], v[10:11], v[12:13]
	s_waitcnt lgkmcnt(0)
	v_pk_mul_f32 v[10:11], v[10:11], v[46:47]
	v_add_f32_e32 v9, v9, v10
	v_add_f32_e32 v9, v9, v11
	ds_bpermute_b32 v10, v39, v45
	ds_bpermute_b32 v11, v40, v45
	s_waitcnt vmcnt(11)
	v_lshlrev_b32_e32 v13, 16, v63
	s_waitcnt vmcnt(10)
	v_lshlrev_b32_e32 v12, 16, v56
	;; [unrolled: 2-line block ×4, first 2 shown]
	v_pk_mul_f32 v[12:13], v[12:13], v[46:47]
	s_waitcnt lgkmcnt(0)
	v_pk_mul_f32 v[10:11], v[12:13], v[10:11]
	v_add_f32_e32 v9, v9, v10
	v_add_f32_e32 v9, v9, v11
	ds_bpermute_b32 v10, v41, v45
	ds_bpermute_b32 v11, v42, v45
	s_waitcnt vmcnt(6)
	v_lshlrev_b32_e32 v12, 16, v58
	v_lshlrev_b32_e32 v13, 16, v55
	s_waitcnt vmcnt(5)
	v_lshlrev_b32_e32 v47, 16, v59
	s_waitcnt vmcnt(4)
	v_lshlrev_b32_e32 v46, 16, v64
	v_pk_mul_f32 v[12:13], v[12:13], v[46:47]
	s_waitcnt lgkmcnt(0)
	v_pk_mul_f32 v[10:11], v[12:13], v[10:11]
	v_add_f32_e32 v9, v9, v10
	v_add_f32_e32 v9, v9, v11
	ds_bpermute_b32 v10, v43, v45
	ds_bpermute_b32 v11, v44, v45
	s_waitcnt vmcnt(3)
	v_lshlrev_b32_e32 v12, 16, v52
	s_waitcnt vmcnt(2)
	v_lshlrev_b32_e32 v13, 16, v53
	;; [unrolled: 2-line block ×4, first 2 shown]
	v_pk_mul_f32 v[12:13], v[12:13], v[46:47]
	s_waitcnt lgkmcnt(0)
	v_pk_mul_f32 v[10:11], v[12:13], v[10:11]
	v_add_f32_e32 v9, v9, v10
	v_mov_b32_e32 v10, s23
	v_addc_co_u32_e32 v7, vcc, v7, v10, vcc
	v_mov_b32_e32 v10, s21
	v_add_co_u32_e32 v4, vcc, s20, v4
	v_addc_co_u32_e32 v5, vcc, v5, v10, vcc
	v_mov_b32_e32 v10, s25
	v_add_co_u32_e32 v8, vcc, s24, v8
	v_add_f32_e32 v9, v9, v11
	v_addc_co_u32_e32 v1, vcc, v1, v10, vcc
	v_pk_mov_b32 v[10:11], s[8:9], s[8:9] op_sel:[0,1]
	v_cmp_lt_i64_e32 vcc, s[18:19], v[10:11]
	s_cbranch_vccz .LBB198_7
.LBB198_4:                              ; =>This Inner Loop Header: Depth=1
	v_mov_b32_e32 v45, 0
	s_and_saveexec_b64 s[28:29], s[0:1]
	s_cbranch_execz .LBB198_3
; %bb.5:                                ;   in Loop: Header=BB198_4 Depth=1
	v_cmp_gt_i64_e32 vcc, s[8:9], v[4:5]
	v_mov_b32_e32 v45, 0
	s_and_saveexec_b64 s[30:31], vcc
	s_cbranch_execz .LBB198_2
; %bb.6:                                ;   in Loop: Header=BB198_4 Depth=1
	global_load_dword v45, v[6:7], off
	s_branch .LBB198_2
.LBB198_7:
	s_cmp_eq_u64 s[16:17], 0
	s_cbranch_scc1 .LBB198_9
; %bb.8:
	s_load_dword s0, s[4:5], 0x4c
	v_mov_b32_e32 v3, 0
	v_mov_b32_e32 v1, s2
	v_mov_b32_e32 v4, 0x7fc0
	v_cmp_o_f32_e32 vcc, v9, v9
	s_waitcnt lgkmcnt(0)
	s_lshr_b32 s0, s0, 16
	v_mad_u64_u32 v[2:3], s[0:1], s0, v1, v[2:3]
	v_bfe_u32 v1, v9, 16, 1
	s_movk_i32 s0, 0x7fff
	v_add3_u32 v1, v9, v1, s0
	v_lshrrev_b32_e32 v1, 16, v1
	s_mov_b32 s7, 0
	v_cndmask_b32_e32 v4, v4, v1, vcc
	v_mul_lo_u32 v1, v3, s10
	v_mul_lo_u32 v5, v2, s11
	v_mad_u64_u32 v[2:3], s[0:1], v2, s10, 0
	s_lshl_b64 s[0:1], s[6:7], 6
	v_add3_u32 v3, v3, v5, v1
	s_add_u32 s0, s0, s16
	v_lshlrev_b64 v[2:3], 1, v[2:3]
	s_addc_u32 s1, s1, s17
	v_mov_b32_e32 v1, s1
	v_add_co_u32_e32 v2, vcc, s0, v2
	v_and_b32_e32 v0, 0x3ff, v0
	v_addc_co_u32_e32 v1, vcc, v1, v3, vcc
	v_lshlrev_b32_e32 v0, 1, v0
	v_add_co_u32_e32 v0, vcc, v2, v0
	v_addc_co_u32_e32 v1, vcc, 0, v1, vcc
	global_store_short v[0:1], v4, off
.LBB198_9:
	s_endpgm
	.section	.rodata,"a",@progbits
	.p2align	6, 0x0
	.amdhsa_kernel _ZN2at6native12_GLOBAL__N_135GammaBetaBackwardCUDAKernelTemplateIN3c108BFloat16EfLj32ELj1ELj32ELb1ELb1ELb1EEEvllPKT_S7_PKT0_SA_PS5_SB_
		.amdhsa_group_segment_fixed_size 0
		.amdhsa_private_segment_fixed_size 0
		.amdhsa_kernarg_size 320
		.amdhsa_user_sgpr_count 6
		.amdhsa_user_sgpr_private_segment_buffer 1
		.amdhsa_user_sgpr_dispatch_ptr 0
		.amdhsa_user_sgpr_queue_ptr 0
		.amdhsa_user_sgpr_kernarg_segment_ptr 1
		.amdhsa_user_sgpr_dispatch_id 0
		.amdhsa_user_sgpr_flat_scratch_init 0
		.amdhsa_user_sgpr_kernarg_preload_length 0
		.amdhsa_user_sgpr_kernarg_preload_offset 0
		.amdhsa_user_sgpr_private_segment_size 0
		.amdhsa_uses_dynamic_stack 0
		.amdhsa_system_sgpr_private_segment_wavefront_offset 0
		.amdhsa_system_sgpr_workgroup_id_x 1
		.amdhsa_system_sgpr_workgroup_id_y 1
		.amdhsa_system_sgpr_workgroup_id_z 0
		.amdhsa_system_sgpr_workgroup_info 0
		.amdhsa_system_vgpr_workitem_id 1
		.amdhsa_next_free_vgpr 67
		.amdhsa_next_free_sgpr 32
		.amdhsa_accum_offset 68
		.amdhsa_reserve_vcc 1
		.amdhsa_reserve_flat_scratch 0
		.amdhsa_float_round_mode_32 0
		.amdhsa_float_round_mode_16_64 0
		.amdhsa_float_denorm_mode_32 3
		.amdhsa_float_denorm_mode_16_64 3
		.amdhsa_dx10_clamp 1
		.amdhsa_ieee_mode 1
		.amdhsa_fp16_overflow 0
		.amdhsa_tg_split 0
		.amdhsa_exception_fp_ieee_invalid_op 0
		.amdhsa_exception_fp_denorm_src 0
		.amdhsa_exception_fp_ieee_div_zero 0
		.amdhsa_exception_fp_ieee_overflow 0
		.amdhsa_exception_fp_ieee_underflow 0
		.amdhsa_exception_fp_ieee_inexact 0
		.amdhsa_exception_int_div_zero 0
	.end_amdhsa_kernel
	.section	.text._ZN2at6native12_GLOBAL__N_135GammaBetaBackwardCUDAKernelTemplateIN3c108BFloat16EfLj32ELj1ELj32ELb1ELb1ELb1EEEvllPKT_S7_PKT0_SA_PS5_SB_,"axG",@progbits,_ZN2at6native12_GLOBAL__N_135GammaBetaBackwardCUDAKernelTemplateIN3c108BFloat16EfLj32ELj1ELj32ELb1ELb1ELb1EEEvllPKT_S7_PKT0_SA_PS5_SB_,comdat
.Lfunc_end198:
	.size	_ZN2at6native12_GLOBAL__N_135GammaBetaBackwardCUDAKernelTemplateIN3c108BFloat16EfLj32ELj1ELj32ELb1ELb1ELb1EEEvllPKT_S7_PKT0_SA_PS5_SB_, .Lfunc_end198-_ZN2at6native12_GLOBAL__N_135GammaBetaBackwardCUDAKernelTemplateIN3c108BFloat16EfLj32ELj1ELj32ELb1ELb1ELb1EEEvllPKT_S7_PKT0_SA_PS5_SB_
                                        ; -- End function
	.section	.AMDGPU.csdata,"",@progbits
; Kernel info:
; codeLenInByte = 2968
; NumSgprs: 36
; NumVgprs: 67
; NumAgprs: 0
; TotalNumVgprs: 67
; ScratchSize: 0
; MemoryBound: 0
; FloatMode: 240
; IeeeMode: 1
; LDSByteSize: 0 bytes/workgroup (compile time only)
; SGPRBlocks: 4
; VGPRBlocks: 8
; NumSGPRsForWavesPerEU: 36
; NumVGPRsForWavesPerEU: 67
; AccumOffset: 68
; Occupancy: 7
; WaveLimiterHint : 0
; COMPUTE_PGM_RSRC2:SCRATCH_EN: 0
; COMPUTE_PGM_RSRC2:USER_SGPR: 6
; COMPUTE_PGM_RSRC2:TRAP_HANDLER: 0
; COMPUTE_PGM_RSRC2:TGID_X_EN: 1
; COMPUTE_PGM_RSRC2:TGID_Y_EN: 1
; COMPUTE_PGM_RSRC2:TGID_Z_EN: 0
; COMPUTE_PGM_RSRC2:TIDIG_COMP_CNT: 1
; COMPUTE_PGM_RSRC3_GFX90A:ACCUM_OFFSET: 16
; COMPUTE_PGM_RSRC3_GFX90A:TG_SPLIT: 0
	.section	.text._ZN2at6native12_GLOBAL__N_135GammaBetaBackwardCUDAKernelTemplateIN3c108BFloat16EfLj32ELj1ELj32ELb1ELb0ELb1EEEvllPKT_S7_PKT0_SA_PS5_SB_,"axG",@progbits,_ZN2at6native12_GLOBAL__N_135GammaBetaBackwardCUDAKernelTemplateIN3c108BFloat16EfLj32ELj1ELj32ELb1ELb0ELb1EEEvllPKT_S7_PKT0_SA_PS5_SB_,comdat
	.globl	_ZN2at6native12_GLOBAL__N_135GammaBetaBackwardCUDAKernelTemplateIN3c108BFloat16EfLj32ELj1ELj32ELb1ELb0ELb1EEEvllPKT_S7_PKT0_SA_PS5_SB_ ; -- Begin function _ZN2at6native12_GLOBAL__N_135GammaBetaBackwardCUDAKernelTemplateIN3c108BFloat16EfLj32ELj1ELj32ELb1ELb0ELb1EEEvllPKT_S7_PKT0_SA_PS5_SB_
	.p2align	8
	.type	_ZN2at6native12_GLOBAL__N_135GammaBetaBackwardCUDAKernelTemplateIN3c108BFloat16EfLj32ELj1ELj32ELb1ELb0ELb1EEEvllPKT_S7_PKT0_SA_PS5_SB_,@function
_ZN2at6native12_GLOBAL__N_135GammaBetaBackwardCUDAKernelTemplateIN3c108BFloat16EfLj32ELj1ELj32ELb1ELb0ELb1EEEvllPKT_S7_PKT0_SA_PS5_SB_: ; @_ZN2at6native12_GLOBAL__N_135GammaBetaBackwardCUDAKernelTemplateIN3c108BFloat16EfLj32ELj1ELj32ELb1ELb0ELb1EEEvllPKT_S7_PKT0_SA_PS5_SB_
; %bb.0:
	s_load_dwordx8 s[12:19], s[4:5], 0x0
	s_load_dwordx2 s[20:21], s[4:5], 0x28
	s_mov_b32 s8, s7
	s_lshl_b32 s7, s6, 5
	v_mov_b32_e32 v206, v0
	s_or_b32 s22, s7, 31
	s_mov_b32 s23, 0
	s_waitcnt lgkmcnt(0)
	v_pk_mov_b32 v[0:1], s[14:15], s[14:15] op_sel:[0,1]
	v_cmp_ge_i64_e32 vcc, s[22:23], v[0:1]
	s_lshl_b32 s22, s8, 5
	v_pk_mov_b32 v[0:1], s[12:13], s[12:13] op_sel:[0,1]
	v_cmp_lt_i64_e64 s[0:1], s[22:23], v[0:1]
	v_cndmask_b32_e64 v0, 0, 1, s[0:1]
	v_cmp_ne_u32_e64 s[0:1], 1, v0
	s_cbranch_vccz .LBB199_145
; %bb.1:
	s_and_b64 vcc, exec, s[0:1]
	v_mov_b32_e32 v139, 0
	s_cbranch_vccnz .LBB199_146
; %bb.2:
	v_bfe_u32 v0, v206, 10, 10
	v_lshlrev_b32_e32 v2, 5, v0
	v_mov_b32_e32 v1, s23
	v_add_co_u32_e32 v121, vcc, s22, v2
	v_addc_co_u32_e32 v123, vcc, 0, v1, vcc
	v_add_co_u32_e32 v1, vcc, 31, v121
	v_addc_co_u32_e32 v3, vcc, 0, v123, vcc
	v_mul_lo_u32 v6, s15, v1
	v_mul_lo_u32 v3, s14, v3
	v_mad_u64_u32 v[4:5], s[2:3], s14, v1, 0
	v_add3_u32 v5, v5, v3, v6
	v_lshlrev_b64 v[6:7], 1, v[4:5]
	v_mov_b32_e32 v125, s17
	v_add_co_u32_e32 v4, vcc, s16, v6
	v_addc_co_u32_e32 v1, vcc, v125, v7, vcc
	v_mov_b32_e32 v127, s19
	v_add_co_u32_e32 v6, vcc, s18, v6
	v_addc_co_u32_e32 v3, vcc, v127, v7, vcc
	v_add_co_u32_e32 v5, vcc, 30, v121
	v_addc_co_u32_e32 v7, vcc, 0, v123, vcc
	v_mul_lo_u32 v10, s15, v5
	v_mul_lo_u32 v7, s14, v7
	v_mad_u64_u32 v[8:9], s[2:3], s14, v5, 0
	v_add3_u32 v9, v9, v7, v10
	v_lshlrev_b64 v[10:11], 1, v[8:9]
	v_add_co_u32_e32 v8, vcc, s16, v10
	v_addc_co_u32_e32 v5, vcc, v125, v11, vcc
	v_add_co_u32_e32 v10, vcc, s18, v10
	v_addc_co_u32_e32 v7, vcc, v127, v11, vcc
	v_add_co_u32_e32 v9, vcc, 29, v121
	v_addc_co_u32_e32 v11, vcc, 0, v123, vcc
	v_mul_lo_u32 v14, s15, v9
	v_mul_lo_u32 v11, s14, v11
	v_mad_u64_u32 v[12:13], s[2:3], s14, v9, 0
	v_add3_u32 v13, v13, v11, v14
	v_lshlrev_b64 v[14:15], 1, v[12:13]
	v_add_co_u32_e32 v12, vcc, s16, v14
	v_addc_co_u32_e32 v9, vcc, v125, v15, vcc
	;; [unrolled: 11-line block ×29, first 2 shown]
	v_add_co_u32_e32 v122, vcc, s18, v128
	v_addc_co_u32_e32 v119, vcc, v127, v129, vcc
	v_pk_mov_b32 v[128:129], s[14:15], s[14:15] op_sel:[0,1]
	v_mad_u64_u32 v[128:129], s[2:3], s14, v121, v[128:129]
	v_mul_lo_u32 v123, s14, v123
	v_mul_lo_u32 v124, s15, v121
	v_add3_u32 v129, v124, v129, v123
	v_lshlrev_b64 v[128:129], 1, v[128:129]
	v_mad_u64_u32 v[130:131], s[2:3], s14, v121, 0
	v_add3_u32 v131, v131, v123, v124
	v_add_co_u32_e32 v124, vcc, s16, v128
	v_addc_co_u32_e32 v121, vcc, v125, v129, vcc
	s_load_dword s10, s[4:5], 0x44
	v_add_co_u32_e32 v126, vcc, s18, v128
	v_addc_co_u32_e32 v123, vcc, v127, v129, vcc
	v_lshlrev_b64 v[130:131], 1, v[130:131]
	v_add_co_u32_e32 v128, vcc, s16, v130
	v_addc_co_u32_e32 v125, vcc, v125, v131, vcc
	s_add_u32 s24, s4, 64
	v_add_co_u32_e32 v130, vcc, s18, v130
	s_addc_u32 s25, s5, 0
	s_waitcnt lgkmcnt(0)
	s_lshl_b32 s33, s10, 5
	v_mbcnt_lo_u32_b32 v129, -1, 0
	v_addc_co_u32_e32 v127, vcc, v127, v131, vcc
	v_and_b32_e32 v131, 0x3ff, v206
	s_mul_i32 s10, s15, s33
	s_mul_hi_u32 s11, s14, s33
	v_mbcnt_hi_u32_b32 v129, -1, v129
	v_add_u32_e32 v132, s7, v131
	v_mov_b32_e32 v133, 0
	s_add_i32 s11, s11, s10
	s_mul_i32 s10, s14, s33
	v_lshlrev_b32_e32 v129, 2, v129
	s_mov_b32 s9, 0
	v_cmp_gt_i64_e64 s[2:3], s[14:15], v[132:133]
	s_mov_b64 s[26:27], 31
	s_lshl_b64 s[28:29], s[10:11], 1
	v_and_b32_e32 v162, 0x100, v129
	s_mov_b64 s[30:31], s[22:23]
	v_mov_b32_e32 v163, 0
	v_mov_b32_e32 v129, v133
	v_lshlrev_b64 v[134:135], 1, v[132:133]
.LBB199_3:                              ; =>This Inner Loop Header: Depth=1
	s_add_u32 s10, s22, s26
	s_addc_u32 s11, 0, s27
	v_pk_mov_b32 v[136:137], s[12:13], s[12:13] op_sel:[0,1]
	v_cmp_ge_i64_e32 vcc, s[10:11], v[136:137]
	v_mov_b32_e32 v132, s23
	v_add_co_u32_e64 v136, s[10:11], s22, v2
	v_addc_co_u32_e64 v137, s[10:11], v132, v129, s[10:11]
	s_cbranch_vccz .LBB199_73
; %bb.4:                                ;   in Loop: Header=BB199_3 Depth=1
	s_load_dword s10, s[24:25], 0xc
	v_mov_b32_e32 v164, 0
	s_waitcnt lgkmcnt(0)
	s_and_b32 s10, s10, 0xffff
	v_mad_u32_u24 v132, v0, s10, v131
	v_and_b32_e32 v138, 63, v132
	v_cmp_gt_u32_e32 vcc, 32, v138
	v_mov_b32_e32 v132, 0
	s_and_saveexec_b64 s[10:11], vcc
	s_cbranch_execz .LBB199_8
; %bb.5:                                ;   in Loop: Header=BB199_3 Depth=1
	v_add_co_u32_e32 v138, vcc, v136, v138
	v_addc_co_u32_e32 v139, vcc, 0, v137, vcc
	v_cmp_gt_i64_e32 vcc, s[12:13], v[138:139]
	v_mov_b32_e32 v132, 0
	s_and_saveexec_b64 s[34:35], vcc
	s_cbranch_execz .LBB199_7
; %bb.6:                                ;   in Loop: Header=BB199_3 Depth=1
	v_lshlrev_b64 v[138:139], 2, v[138:139]
	v_mov_b32_e32 v132, s21
	v_add_co_u32_e32 v138, vcc, s20, v138
	v_addc_co_u32_e32 v139, vcc, v132, v139, vcc
	global_load_dword v132, v[138:139], off
.LBB199_7:                              ;   in Loop: Header=BB199_3 Depth=1
	s_or_b64 exec, exec, s[34:35]
.LBB199_8:                              ;   in Loop: Header=BB199_3 Depth=1
	s_or_b64 exec, exec, s[10:11]
	v_cmp_gt_i64_e32 vcc, s[12:13], v[136:137]
	s_and_b64 s[34:35], s[2:3], vcc
	v_mov_b32_e32 v165, 0
	s_and_saveexec_b64 s[10:11], s[34:35]
	s_cbranch_execz .LBB199_10
; %bb.9:                                ;   in Loop: Header=BB199_3 Depth=1
	v_add_co_u32_e32 v138, vcc, v128, v134
	v_addc_co_u32_e32 v139, vcc, v125, v135, vcc
	v_add_co_u32_e32 v140, vcc, v130, v134
	v_addc_co_u32_e32 v141, vcc, v127, v135, vcc
	global_load_ushort v138, v[138:139], off
	s_nop 0
	global_load_ushort v139, v[140:141], off
	s_waitcnt vmcnt(1)
	v_lshlrev_b32_e32 v164, 16, v138
	s_waitcnt vmcnt(0)
	v_lshlrev_b32_e32 v165, 16, v139
.LBB199_10:                             ;   in Loop: Header=BB199_3 Depth=1
	s_or_b64 exec, exec, s[10:11]
	v_add_co_u32_e32 v138, vcc, 1, v136
	v_addc_co_u32_e32 v139, vcc, 0, v137, vcc
	v_cmp_gt_i64_e32 vcc, s[12:13], v[138:139]
	s_and_b64 s[34:35], s[2:3], vcc
	v_mov_b32_e32 v166, 0
	v_mov_b32_e32 v167, 0
	v_mov_b32_e32 v168, 0
	s_and_saveexec_b64 s[10:11], s[34:35]
	s_cbranch_execz .LBB199_12
; %bb.11:                               ;   in Loop: Header=BB199_3 Depth=1
	v_add_co_u32_e32 v138, vcc, v124, v134
	v_addc_co_u32_e32 v139, vcc, v121, v135, vcc
	v_add_co_u32_e32 v140, vcc, v126, v134
	v_addc_co_u32_e32 v141, vcc, v123, v135, vcc
	global_load_ushort v138, v[138:139], off
	s_nop 0
	global_load_ushort v139, v[140:141], off
	s_waitcnt vmcnt(1)
	v_lshlrev_b32_e32 v167, 16, v138
	s_waitcnt vmcnt(0)
	v_lshlrev_b32_e32 v168, 16, v139
.LBB199_12:                             ;   in Loop: Header=BB199_3 Depth=1
	s_or_b64 exec, exec, s[10:11]
	v_add_co_u32_e32 v138, vcc, 2, v136
	v_addc_co_u32_e32 v139, vcc, 0, v137, vcc
	v_cmp_gt_i64_e32 vcc, s[12:13], v[138:139]
	s_and_b64 s[34:35], s[2:3], vcc
	v_mov_b32_e32 v169, 0
	s_and_saveexec_b64 s[10:11], s[34:35]
	s_cbranch_execz .LBB199_14
; %bb.13:                               ;   in Loop: Header=BB199_3 Depth=1
	v_add_co_u32_e32 v138, vcc, v120, v134
	v_addc_co_u32_e32 v139, vcc, v117, v135, vcc
	v_add_co_u32_e32 v140, vcc, v122, v134
	v_addc_co_u32_e32 v141, vcc, v119, v135, vcc
	global_load_ushort v138, v[138:139], off
	s_nop 0
	global_load_ushort v139, v[140:141], off
	s_waitcnt vmcnt(1)
	v_lshlrev_b32_e32 v166, 16, v138
	s_waitcnt vmcnt(0)
	v_lshlrev_b32_e32 v169, 16, v139
.LBB199_14:                             ;   in Loop: Header=BB199_3 Depth=1
	s_or_b64 exec, exec, s[10:11]
	v_add_co_u32_e32 v138, vcc, 3, v136
	v_addc_co_u32_e32 v139, vcc, 0, v137, vcc
	v_cmp_gt_i64_e32 vcc, s[12:13], v[138:139]
	s_and_b64 s[34:35], s[2:3], vcc
	v_mov_b32_e32 v170, 0
	v_mov_b32_e32 v171, 0
	v_mov_b32_e32 v172, 0
	s_and_saveexec_b64 s[10:11], s[34:35]
	s_cbranch_execz .LBB199_16
; %bb.15:                               ;   in Loop: Header=BB199_3 Depth=1
	v_add_co_u32_e32 v138, vcc, v116, v134
	v_addc_co_u32_e32 v139, vcc, v113, v135, vcc
	v_add_co_u32_e32 v140, vcc, v118, v134
	v_addc_co_u32_e32 v141, vcc, v115, v135, vcc
	global_load_ushort v138, v[138:139], off
	s_nop 0
	global_load_ushort v139, v[140:141], off
	s_waitcnt vmcnt(1)
	v_lshlrev_b32_e32 v171, 16, v138
	s_waitcnt vmcnt(0)
	v_lshlrev_b32_e32 v172, 16, v139
.LBB199_16:                             ;   in Loop: Header=BB199_3 Depth=1
	s_or_b64 exec, exec, s[10:11]
	v_add_co_u32_e32 v138, vcc, 4, v136
	v_addc_co_u32_e32 v139, vcc, 0, v137, vcc
	v_cmp_gt_i64_e32 vcc, s[12:13], v[138:139]
	s_and_b64 s[34:35], s[2:3], vcc
	v_mov_b32_e32 v173, 0
	s_and_saveexec_b64 s[10:11], s[34:35]
	s_cbranch_execz .LBB199_18
; %bb.17:                               ;   in Loop: Header=BB199_3 Depth=1
	v_add_co_u32_e32 v138, vcc, v112, v134
	v_addc_co_u32_e32 v139, vcc, v109, v135, vcc
	v_add_co_u32_e32 v140, vcc, v114, v134
	v_addc_co_u32_e32 v141, vcc, v111, v135, vcc
	global_load_ushort v138, v[138:139], off
	s_nop 0
	global_load_ushort v139, v[140:141], off
	s_waitcnt vmcnt(1)
	v_lshlrev_b32_e32 v170, 16, v138
	s_waitcnt vmcnt(0)
	v_lshlrev_b32_e32 v173, 16, v139
.LBB199_18:                             ;   in Loop: Header=BB199_3 Depth=1
	;; [unrolled: 44-line block ×9, first 2 shown]
	s_or_b64 exec, exec, s[10:11]
	v_add_co_u32_e32 v138, vcc, 19, v136
	v_addc_co_u32_e32 v139, vcc, 0, v137, vcc
	v_cmp_gt_i64_e32 vcc, s[12:13], v[138:139]
	s_and_b64 s[34:35], s[2:3], vcc
	v_mov_b32_e32 v139, 0
	v_mov_b32_e32 v138, 0
	v_mov_b32_e32 v140, 0
	s_and_saveexec_b64 s[10:11], s[34:35]
	s_cbranch_execz .LBB199_48
; %bb.47:                               ;   in Loop: Header=BB199_3 Depth=1
	v_add_co_u32_e32 v140, vcc, v52, v134
	v_addc_co_u32_e32 v141, vcc, v49, v135, vcc
	v_add_co_u32_e32 v142, vcc, v54, v134
	v_addc_co_u32_e32 v143, vcc, v51, v135, vcc
	global_load_ushort v138, v[140:141], off
	s_nop 0
	global_load_ushort v140, v[142:143], off
	s_waitcnt vmcnt(1)
	v_lshlrev_b32_e32 v138, 16, v138
	s_waitcnt vmcnt(0)
	v_lshlrev_b32_e32 v140, 16, v140
.LBB199_48:                             ;   in Loop: Header=BB199_3 Depth=1
	s_or_b64 exec, exec, s[10:11]
	v_add_co_u32_e32 v142, vcc, 20, v136
	v_addc_co_u32_e32 v143, vcc, 0, v137, vcc
	v_cmp_gt_i64_e32 vcc, s[12:13], v[142:143]
	s_and_b64 s[34:35], s[2:3], vcc
	v_mov_b32_e32 v141, 0
	s_and_saveexec_b64 s[10:11], s[34:35]
	s_cbranch_execz .LBB199_50
; %bb.49:                               ;   in Loop: Header=BB199_3 Depth=1
	v_add_co_u32_e32 v142, vcc, v48, v134
	v_addc_co_u32_e32 v143, vcc, v45, v135, vcc
	v_add_co_u32_e32 v144, vcc, v50, v134
	v_addc_co_u32_e32 v145, vcc, v47, v135, vcc
	global_load_ushort v139, v[142:143], off
	global_load_ushort v141, v[144:145], off
	s_waitcnt vmcnt(1)
	v_lshlrev_b32_e32 v139, 16, v139
	s_waitcnt vmcnt(0)
	v_lshlrev_b32_e32 v141, 16, v141
.LBB199_50:                             ;   in Loop: Header=BB199_3 Depth=1
	s_or_b64 exec, exec, s[10:11]
	v_add_co_u32_e32 v142, vcc, 21, v136
	v_addc_co_u32_e32 v143, vcc, 0, v137, vcc
	v_cmp_gt_i64_e32 vcc, s[12:13], v[142:143]
	s_and_b64 s[34:35], s[2:3], vcc
	v_mov_b32_e32 v143, 0
	v_mov_b32_e32 v142, 0
	v_mov_b32_e32 v144, 0
	s_and_saveexec_b64 s[10:11], s[34:35]
	s_cbranch_execz .LBB199_52
; %bb.51:                               ;   in Loop: Header=BB199_3 Depth=1
	v_add_co_u32_e32 v144, vcc, v44, v134
	v_addc_co_u32_e32 v145, vcc, v41, v135, vcc
	v_add_co_u32_e32 v146, vcc, v46, v134
	v_addc_co_u32_e32 v147, vcc, v43, v135, vcc
	global_load_ushort v142, v[144:145], off
	s_nop 0
	global_load_ushort v144, v[146:147], off
	s_waitcnt vmcnt(1)
	v_lshlrev_b32_e32 v142, 16, v142
	s_waitcnt vmcnt(0)
	v_lshlrev_b32_e32 v144, 16, v144
.LBB199_52:                             ;   in Loop: Header=BB199_3 Depth=1
	s_or_b64 exec, exec, s[10:11]
	v_add_co_u32_e32 v146, vcc, 22, v136
	v_addc_co_u32_e32 v147, vcc, 0, v137, vcc
	v_cmp_gt_i64_e32 vcc, s[12:13], v[146:147]
	s_and_b64 s[34:35], s[2:3], vcc
	v_mov_b32_e32 v145, 0
	s_and_saveexec_b64 s[10:11], s[34:35]
	s_cbranch_execz .LBB199_54
; %bb.53:                               ;   in Loop: Header=BB199_3 Depth=1
	v_add_co_u32_e32 v146, vcc, v40, v134
	v_addc_co_u32_e32 v147, vcc, v37, v135, vcc
	v_add_co_u32_e32 v148, vcc, v42, v134
	v_addc_co_u32_e32 v149, vcc, v39, v135, vcc
	global_load_ushort v143, v[146:147], off
	global_load_ushort v145, v[148:149], off
	s_waitcnt vmcnt(1)
	v_lshlrev_b32_e32 v143, 16, v143
	s_waitcnt vmcnt(0)
	v_lshlrev_b32_e32 v145, 16, v145
.LBB199_54:                             ;   in Loop: Header=BB199_3 Depth=1
	;; [unrolled: 43-line block ×6, first 2 shown]
	s_or_b64 exec, exec, s[10:11]
	v_add_co_u32_e32 v202, vcc, 31, v136
	v_addc_co_u32_e32 v203, vcc, 0, v137, vcc
	v_cmp_gt_i64_e32 vcc, s[12:13], v[202:203]
	s_and_b64 s[34:35], s[2:3], vcc
	v_mov_b32_e32 v202, 0
	s_and_saveexec_b64 s[10:11], s[34:35]
	s_cbranch_execz .LBB199_72
; %bb.71:                               ;   in Loop: Header=BB199_3 Depth=1
	v_add_co_u32_e32 v202, vcc, v4, v134
	v_addc_co_u32_e32 v203, vcc, v1, v135, vcc
	v_add_co_u32_e32 v204, vcc, v6, v134
	v_addc_co_u32_e32 v205, vcc, v3, v135, vcc
	global_load_ushort v202, v[202:203], off
	s_nop 0
	global_load_ushort v203, v[204:205], off
	s_waitcnt vmcnt(1)
	v_lshlrev_b32_e32 v202, 16, v202
	s_waitcnt vmcnt(0)
	v_lshlrev_b32_e32 v203, 16, v203
	v_mul_f32_e32 v202, v203, v202
.LBB199_72:                             ;   in Loop: Header=BB199_3 Depth=1
	s_or_b64 exec, exec, s[10:11]
	s_waitcnt vmcnt(0)
	ds_bpermute_b32 v203, v162, v132
	ds_bpermute_b32 v204, v162, v132 offset:4
	v_mul_f32_e32 v164, v164, v165
	v_mul_f32_e32 v165, v167, v168
	ds_bpermute_b32 v167, v162, v132 offset:8
	s_waitcnt lgkmcnt(2)
	v_fma_f32 v168, v164, v203, v163
	ds_bpermute_b32 v164, v162, v132 offset:12
	s_waitcnt lgkmcnt(2)
	v_fmac_f32_e32 v168, v165, v204
	v_mul_f32_e32 v165, v166, v169
	s_waitcnt lgkmcnt(1)
	v_fmac_f32_e32 v168, v165, v167
	ds_bpermute_b32 v165, v162, v132 offset:16
	v_mul_f32_e32 v166, v171, v172
	s_waitcnt lgkmcnt(1)
	v_fmac_f32_e32 v168, v166, v164
	ds_bpermute_b32 v164, v162, v132 offset:20
	;; [unrolled: 4-line block ×10, first 2 shown]
	v_mul_f32_e32 v166, v186, v189
	s_waitcnt lgkmcnt(1)
	v_fmac_f32_e32 v168, v166, v165
	v_mul_f32_e32 v165, v191, v192
	ds_bpermute_b32 v166, v162, v132 offset:56
	s_waitcnt lgkmcnt(1)
	v_fmac_f32_e32 v168, v165, v164
	ds_bpermute_b32 v164, v162, v132 offset:60
	ds_bpermute_b32 v167, v162, v132 offset:64
	v_mul_f32_e32 v165, v190, v193
	s_waitcnt lgkmcnt(2)
	v_fmac_f32_e32 v168, v165, v166
	v_mul_f32_e32 v165, v195, v196
	s_waitcnt lgkmcnt(1)
	v_fmac_f32_e32 v168, v165, v164
	v_mul_f32_e32 v164, v194, v197
	ds_bpermute_b32 v166, v162, v132 offset:68
	s_waitcnt lgkmcnt(1)
	v_fmac_f32_e32 v168, v164, v167
	ds_bpermute_b32 v169, v162, v132 offset:72
	ds_bpermute_b32 v164, v162, v132 offset:76
	;; [unrolled: 1-line block ×3, first 2 shown]
	v_mul_f32_e32 v167, v199, v200
	s_waitcnt lgkmcnt(3)
	v_fmac_f32_e32 v168, v167, v166
	v_mul_f32_e32 v166, v198, v201
	v_pk_mul_f32 v[138:139], v[138:139], v[140:141]
	ds_bpermute_b32 v140, v162, v132 offset:84
	ds_bpermute_b32 v141, v162, v132 offset:88
	s_waitcnt lgkmcnt(4)
	v_fmac_f32_e32 v168, v166, v169
	s_waitcnt lgkmcnt(2)
	v_pk_mul_f32 v[138:139], v[138:139], v[164:165]
	v_add_f32_e32 v138, v168, v138
	v_add_f32_e32 v164, v138, v139
	v_pk_mul_f32 v[138:139], v[142:143], v[144:145]
	ds_bpermute_b32 v142, v162, v132 offset:92
	ds_bpermute_b32 v143, v162, v132 offset:96
	s_waitcnt lgkmcnt(2)
	v_pk_mul_f32 v[138:139], v[138:139], v[140:141]
	v_add_f32_e32 v138, v164, v138
	v_add_f32_e32 v140, v138, v139
	v_pk_mul_f32 v[138:139], v[146:147], v[148:149]
	s_waitcnt lgkmcnt(0)
	v_pk_mul_f32 v[138:139], v[138:139], v[142:143]
	v_add_f32_e32 v138, v140, v138
	ds_bpermute_b32 v140, v162, v132 offset:100
	ds_bpermute_b32 v141, v162, v132 offset:104
	;; [unrolled: 1-line block ×4, first 2 shown]
	v_add_f32_e32 v144, v138, v139
	v_pk_mul_f32 v[138:139], v[150:151], v[152:153]
	s_waitcnt lgkmcnt(2)
	v_pk_mul_f32 v[138:139], v[138:139], v[140:141]
	v_add_f32_e32 v138, v144, v138
	ds_bpermute_b32 v140, v162, v132 offset:116
	ds_bpermute_b32 v141, v162, v132 offset:120
	v_add_f32_e32 v144, v138, v139
	v_pk_mul_f32 v[138:139], v[154:155], v[156:157]
	s_waitcnt lgkmcnt(2)
	v_pk_mul_f32 v[138:139], v[138:139], v[142:143]
	v_add_f32_e32 v138, v144, v138
	ds_bpermute_b32 v132, v162, v132 offset:124
	v_add_f32_e32 v142, v138, v139
	v_pk_mul_f32 v[138:139], v[158:159], v[160:161]
	s_waitcnt lgkmcnt(1)
	v_pk_mul_f32 v[138:139], v[138:139], v[140:141]
	v_add_f32_e32 v138, v142, v138
	v_add_f32_e32 v139, v138, v139
	s_branch .LBB199_141
.LBB199_73:                             ;   in Loop: Header=BB199_3 Depth=1
                                        ; implicit-def: $vgpr139
                                        ; implicit-def: $vgpr202
                                        ; implicit-def: $vgpr132
	s_cbranch_execz .LBB199_141
; %bb.74:                               ;   in Loop: Header=BB199_3 Depth=1
	s_load_dword s10, s[24:25], 0x0
	v_mov_b32_e32 v160, 0
	s_waitcnt lgkmcnt(0)
	s_cmp_lt_u32 s6, s10
	s_cselect_b32 s10, 12, 18
	s_add_u32 s10, s24, s10
	s_addc_u32 s11, s25, 0
	global_load_ushort v132, v133, s[10:11]
	s_waitcnt vmcnt(0)
	v_mad_u32_u24 v132, v0, v132, v131
	v_and_b32_e32 v138, 63, v132
	v_cmp_gt_u32_e32 vcc, 32, v138
	v_mov_b32_e32 v132, 0
	s_and_saveexec_b64 s[10:11], vcc
	s_cbranch_execz .LBB199_78
; %bb.75:                               ;   in Loop: Header=BB199_3 Depth=1
	v_add_co_u32_e32 v136, vcc, v136, v138
	v_addc_co_u32_e32 v137, vcc, 0, v137, vcc
	v_cmp_gt_i64_e32 vcc, s[12:13], v[136:137]
	v_mov_b32_e32 v132, 0
	s_and_saveexec_b64 s[34:35], vcc
	s_cbranch_execz .LBB199_77
; %bb.76:                               ;   in Loop: Header=BB199_3 Depth=1
	v_lshlrev_b64 v[136:137], 2, v[136:137]
	v_mov_b32_e32 v132, s21
	v_add_co_u32_e32 v136, vcc, s20, v136
	v_addc_co_u32_e32 v137, vcc, v132, v137, vcc
	global_load_dword v132, v[136:137], off
.LBB199_77:                             ;   in Loop: Header=BB199_3 Depth=1
	s_or_b64 exec, exec, s[34:35]
.LBB199_78:                             ;   in Loop: Header=BB199_3 Depth=1
	s_or_b64 exec, exec, s[10:11]
	v_mov_b32_e32 v161, 0
	s_and_saveexec_b64 s[10:11], s[2:3]
	s_cbranch_execz .LBB199_80
; %bb.79:                               ;   in Loop: Header=BB199_3 Depth=1
	v_add_co_u32_e32 v136, vcc, v128, v134
	v_addc_co_u32_e32 v137, vcc, v125, v135, vcc
	v_add_co_u32_e32 v138, vcc, v130, v134
	v_addc_co_u32_e32 v139, vcc, v127, v135, vcc
	global_load_ushort v136, v[136:137], off
	s_nop 0
	global_load_ushort v137, v[138:139], off
	s_waitcnt vmcnt(1)
	v_lshlrev_b32_e32 v160, 16, v136
	s_waitcnt vmcnt(0)
	v_lshlrev_b32_e32 v161, 16, v137
.LBB199_80:                             ;   in Loop: Header=BB199_3 Depth=1
	s_or_b64 exec, exec, s[10:11]
	v_mov_b32_e32 v164, 0
	v_mov_b32_e32 v165, 0
	v_mov_b32_e32 v166, 0
	s_and_saveexec_b64 s[10:11], s[2:3]
	s_cbranch_execz .LBB199_82
; %bb.81:                               ;   in Loop: Header=BB199_3 Depth=1
	v_add_co_u32_e32 v136, vcc, v124, v134
	v_addc_co_u32_e32 v137, vcc, v121, v135, vcc
	v_add_co_u32_e32 v138, vcc, v126, v134
	v_addc_co_u32_e32 v139, vcc, v123, v135, vcc
	global_load_ushort v136, v[136:137], off
	s_nop 0
	global_load_ushort v137, v[138:139], off
	s_waitcnt vmcnt(1)
	v_lshlrev_b32_e32 v165, 16, v136
	s_waitcnt vmcnt(0)
	v_lshlrev_b32_e32 v166, 16, v137
.LBB199_82:                             ;   in Loop: Header=BB199_3 Depth=1
	s_or_b64 exec, exec, s[10:11]
	v_mov_b32_e32 v167, 0
	s_and_saveexec_b64 s[10:11], s[2:3]
	s_cbranch_execz .LBB199_84
; %bb.83:                               ;   in Loop: Header=BB199_3 Depth=1
	v_add_co_u32_e32 v136, vcc, v120, v134
	v_addc_co_u32_e32 v137, vcc, v117, v135, vcc
	v_add_co_u32_e32 v138, vcc, v122, v134
	v_addc_co_u32_e32 v139, vcc, v119, v135, vcc
	global_load_ushort v136, v[136:137], off
	s_nop 0
	global_load_ushort v137, v[138:139], off
	s_waitcnt vmcnt(1)
	v_lshlrev_b32_e32 v164, 16, v136
	s_waitcnt vmcnt(0)
	v_lshlrev_b32_e32 v167, 16, v137
.LBB199_84:                             ;   in Loop: Header=BB199_3 Depth=1
	s_or_b64 exec, exec, s[10:11]
	v_mov_b32_e32 v168, 0
	v_mov_b32_e32 v169, 0
	v_mov_b32_e32 v170, 0
	s_and_saveexec_b64 s[10:11], s[2:3]
	s_cbranch_execz .LBB199_86
; %bb.85:                               ;   in Loop: Header=BB199_3 Depth=1
	v_add_co_u32_e32 v136, vcc, v116, v134
	v_addc_co_u32_e32 v137, vcc, v113, v135, vcc
	v_add_co_u32_e32 v138, vcc, v118, v134
	v_addc_co_u32_e32 v139, vcc, v115, v135, vcc
	global_load_ushort v136, v[136:137], off
	s_nop 0
	global_load_ushort v137, v[138:139], off
	s_waitcnt vmcnt(1)
	v_lshlrev_b32_e32 v169, 16, v136
	s_waitcnt vmcnt(0)
	v_lshlrev_b32_e32 v170, 16, v137
.LBB199_86:                             ;   in Loop: Header=BB199_3 Depth=1
	;; [unrolled: 36-line block ×5, first 2 shown]
	s_or_b64 exec, exec, s[10:11]
	v_mov_b32_e32 v183, 0
	s_and_saveexec_b64 s[10:11], s[2:3]
	s_cbranch_execz .LBB199_100
; %bb.99:                               ;   in Loop: Header=BB199_3 Depth=1
	v_add_co_u32_e32 v136, vcc, v88, v134
	v_addc_co_u32_e32 v137, vcc, v85, v135, vcc
	v_add_co_u32_e32 v138, vcc, v90, v134
	v_addc_co_u32_e32 v139, vcc, v87, v135, vcc
	global_load_ushort v136, v[136:137], off
	s_nop 0
	global_load_ushort v137, v[138:139], off
	s_waitcnt vmcnt(1)
	v_lshlrev_b32_e32 v180, 16, v136
	s_waitcnt vmcnt(0)
	v_lshlrev_b32_e32 v183, 16, v137
.LBB199_100:                            ;   in Loop: Header=BB199_3 Depth=1
	s_or_b64 exec, exec, s[10:11]
	v_mov_b32_e32 v184, 0
	v_mov_b32_e32 v185, 0
	v_mov_b32_e32 v186, 0
	s_and_saveexec_b64 s[10:11], s[2:3]
	s_cbranch_execz .LBB199_102
; %bb.101:                              ;   in Loop: Header=BB199_3 Depth=1
	v_add_co_u32_e32 v136, vcc, v84, v134
	v_addc_co_u32_e32 v137, vcc, v81, v135, vcc
	v_add_co_u32_e32 v138, vcc, v86, v134
	v_addc_co_u32_e32 v139, vcc, v83, v135, vcc
	global_load_ushort v136, v[136:137], off
	s_nop 0
	global_load_ushort v137, v[138:139], off
	s_waitcnt vmcnt(1)
	v_lshlrev_b32_e32 v185, 16, v136
	s_waitcnt vmcnt(0)
	v_lshlrev_b32_e32 v186, 16, v137
.LBB199_102:                            ;   in Loop: Header=BB199_3 Depth=1
	s_or_b64 exec, exec, s[10:11]
	v_mov_b32_e32 v187, 0
	s_and_saveexec_b64 s[10:11], s[2:3]
	s_cbranch_execz .LBB199_104
; %bb.103:                              ;   in Loop: Header=BB199_3 Depth=1
	v_add_co_u32_e32 v136, vcc, v80, v134
	v_addc_co_u32_e32 v137, vcc, v77, v135, vcc
	v_add_co_u32_e32 v138, vcc, v82, v134
	v_addc_co_u32_e32 v139, vcc, v79, v135, vcc
	global_load_ushort v136, v[136:137], off
	s_nop 0
	global_load_ushort v137, v[138:139], off
	s_waitcnt vmcnt(1)
	v_lshlrev_b32_e32 v184, 16, v136
	s_waitcnt vmcnt(0)
	v_lshlrev_b32_e32 v187, 16, v137
.LBB199_104:                            ;   in Loop: Header=BB199_3 Depth=1
	s_or_b64 exec, exec, s[10:11]
	v_mov_b32_e32 v188, 0
	v_mov_b32_e32 v189, 0
	v_mov_b32_e32 v190, 0
	s_and_saveexec_b64 s[10:11], s[2:3]
	s_cbranch_execz .LBB199_106
; %bb.105:                              ;   in Loop: Header=BB199_3 Depth=1
	v_add_co_u32_e32 v136, vcc, v76, v134
	v_addc_co_u32_e32 v137, vcc, v73, v135, vcc
	v_add_co_u32_e32 v138, vcc, v78, v134
	v_addc_co_u32_e32 v139, vcc, v75, v135, vcc
	global_load_ushort v136, v[136:137], off
	s_nop 0
	global_load_ushort v137, v[138:139], off
	s_waitcnt vmcnt(1)
	v_lshlrev_b32_e32 v189, 16, v136
	s_waitcnt vmcnt(0)
	v_lshlrev_b32_e32 v190, 16, v137
.LBB199_106:                            ;   in Loop: Header=BB199_3 Depth=1
	s_or_b64 exec, exec, s[10:11]
	v_mov_b32_e32 v191, 0
	s_and_saveexec_b64 s[10:11], s[2:3]
	s_cbranch_execz .LBB199_108
; %bb.107:                              ;   in Loop: Header=BB199_3 Depth=1
	v_add_co_u32_e32 v136, vcc, v72, v134
	v_addc_co_u32_e32 v137, vcc, v69, v135, vcc
	v_add_co_u32_e32 v138, vcc, v74, v134
	v_addc_co_u32_e32 v139, vcc, v71, v135, vcc
	global_load_ushort v136, v[136:137], off
	s_nop 0
	global_load_ushort v137, v[138:139], off
	s_waitcnt vmcnt(1)
	v_lshlrev_b32_e32 v188, 16, v136
	s_waitcnt vmcnt(0)
	v_lshlrev_b32_e32 v191, 16, v137
.LBB199_108:                            ;   in Loop: Header=BB199_3 Depth=1
	;; [unrolled: 36-line block ×4, first 2 shown]
	s_or_b64 exec, exec, s[10:11]
	v_mov_b32_e32 v137, 0
	v_mov_b32_e32 v136, 0
	v_mov_b32_e32 v138, 0
	s_and_saveexec_b64 s[10:11], s[2:3]
	s_cbranch_execz .LBB199_118
; %bb.117:                              ;   in Loop: Header=BB199_3 Depth=1
	v_add_co_u32_e32 v138, vcc, v52, v134
	v_addc_co_u32_e32 v139, vcc, v49, v135, vcc
	v_add_co_u32_e32 v140, vcc, v54, v134
	v_addc_co_u32_e32 v141, vcc, v51, v135, vcc
	global_load_ushort v136, v[138:139], off
	s_nop 0
	global_load_ushort v138, v[140:141], off
	s_waitcnt vmcnt(1)
	v_lshlrev_b32_e32 v136, 16, v136
	s_waitcnt vmcnt(0)
	v_lshlrev_b32_e32 v138, 16, v138
.LBB199_118:                            ;   in Loop: Header=BB199_3 Depth=1
	s_or_b64 exec, exec, s[10:11]
	v_mov_b32_e32 v139, 0
	s_and_saveexec_b64 s[10:11], s[2:3]
	s_cbranch_execz .LBB199_120
; %bb.119:                              ;   in Loop: Header=BB199_3 Depth=1
	v_add_co_u32_e32 v140, vcc, v48, v134
	v_addc_co_u32_e32 v141, vcc, v45, v135, vcc
	v_add_co_u32_e32 v142, vcc, v50, v134
	v_addc_co_u32_e32 v143, vcc, v47, v135, vcc
	global_load_ushort v137, v[140:141], off
	global_load_ushort v139, v[142:143], off
	s_waitcnt vmcnt(1)
	v_lshlrev_b32_e32 v137, 16, v137
	s_waitcnt vmcnt(0)
	v_lshlrev_b32_e32 v139, 16, v139
.LBB199_120:                            ;   in Loop: Header=BB199_3 Depth=1
	s_or_b64 exec, exec, s[10:11]
	v_mov_b32_e32 v141, 0
	v_mov_b32_e32 v140, 0
	v_mov_b32_e32 v142, 0
	s_and_saveexec_b64 s[10:11], s[2:3]
	s_cbranch_execz .LBB199_122
; %bb.121:                              ;   in Loop: Header=BB199_3 Depth=1
	v_add_co_u32_e32 v142, vcc, v44, v134
	v_addc_co_u32_e32 v143, vcc, v41, v135, vcc
	v_add_co_u32_e32 v144, vcc, v46, v134
	v_addc_co_u32_e32 v145, vcc, v43, v135, vcc
	global_load_ushort v140, v[142:143], off
	s_nop 0
	global_load_ushort v142, v[144:145], off
	s_waitcnt vmcnt(1)
	v_lshlrev_b32_e32 v140, 16, v140
	s_waitcnt vmcnt(0)
	v_lshlrev_b32_e32 v142, 16, v142
.LBB199_122:                            ;   in Loop: Header=BB199_3 Depth=1
	s_or_b64 exec, exec, s[10:11]
	v_mov_b32_e32 v143, 0
	s_and_saveexec_b64 s[10:11], s[2:3]
	s_cbranch_execz .LBB199_124
; %bb.123:                              ;   in Loop: Header=BB199_3 Depth=1
	v_add_co_u32_e32 v144, vcc, v40, v134
	v_addc_co_u32_e32 v145, vcc, v37, v135, vcc
	v_add_co_u32_e32 v146, vcc, v42, v134
	v_addc_co_u32_e32 v147, vcc, v39, v135, vcc
	global_load_ushort v141, v[144:145], off
	global_load_ushort v143, v[146:147], off
	s_waitcnt vmcnt(1)
	v_lshlrev_b32_e32 v141, 16, v141
	s_waitcnt vmcnt(0)
	v_lshlrev_b32_e32 v143, 16, v143
.LBB199_124:                            ;   in Loop: Header=BB199_3 Depth=1
	;; [unrolled: 35-line block ×5, first 2 shown]
	s_or_b64 exec, exec, s[10:11]
	v_mov_b32_e32 v157, 0
	v_mov_b32_e32 v156, 0
	;; [unrolled: 1-line block ×3, first 2 shown]
	s_and_saveexec_b64 s[10:11], s[2:3]
	s_cbranch_execnz .LBB199_143
; %bb.137:                              ;   in Loop: Header=BB199_3 Depth=1
	s_or_b64 exec, exec, s[10:11]
	v_mov_b32_e32 v159, 0
	s_and_saveexec_b64 s[10:11], s[2:3]
	s_cbranch_execnz .LBB199_144
.LBB199_138:                            ;   in Loop: Header=BB199_3 Depth=1
	s_or_b64 exec, exec, s[10:11]
	v_mov_b32_e32 v202, 0
	s_and_saveexec_b64 s[10:11], s[2:3]
	s_cbranch_execz .LBB199_140
.LBB199_139:                            ;   in Loop: Header=BB199_3 Depth=1
	v_add_co_u32_e32 v200, vcc, v4, v134
	v_addc_co_u32_e32 v201, vcc, v1, v135, vcc
	v_add_co_u32_e32 v202, vcc, v6, v134
	v_addc_co_u32_e32 v203, vcc, v3, v135, vcc
	global_load_ushort v200, v[200:201], off
	s_nop 0
	global_load_ushort v201, v[202:203], off
	s_waitcnt vmcnt(1)
	v_lshlrev_b32_e32 v200, 16, v200
	s_waitcnt vmcnt(0)
	v_lshlrev_b32_e32 v201, 16, v201
	v_mul_f32_e32 v202, v201, v200
.LBB199_140:                            ;   in Loop: Header=BB199_3 Depth=1
	s_or_b64 exec, exec, s[10:11]
	s_waitcnt vmcnt(0)
	ds_bpermute_b32 v200, v162, v132
	ds_bpermute_b32 v201, v162, v132 offset:4
	v_mul_f32_e32 v160, v160, v161
	v_mul_f32_e32 v161, v165, v166
	ds_bpermute_b32 v165, v162, v132 offset:8
	s_waitcnt lgkmcnt(2)
	v_fmac_f32_e32 v163, v160, v200
	ds_bpermute_b32 v160, v162, v132 offset:12
	s_waitcnt lgkmcnt(2)
	v_fmac_f32_e32 v163, v161, v201
	v_mul_f32_e32 v161, v164, v167
	s_waitcnt lgkmcnt(1)
	v_fmac_f32_e32 v163, v161, v165
	ds_bpermute_b32 v161, v162, v132 offset:16
	v_mul_f32_e32 v164, v169, v170
	s_waitcnt lgkmcnt(1)
	v_fmac_f32_e32 v163, v164, v160
	ds_bpermute_b32 v160, v162, v132 offset:20
	;; [unrolled: 4-line block ×10, first 2 shown]
	v_mul_f32_e32 v164, v184, v187
	s_waitcnt lgkmcnt(1)
	v_fmac_f32_e32 v163, v164, v161
	v_mul_f32_e32 v161, v189, v190
	ds_bpermute_b32 v164, v162, v132 offset:56
	s_waitcnt lgkmcnt(1)
	v_fmac_f32_e32 v163, v161, v160
	ds_bpermute_b32 v160, v162, v132 offset:60
	ds_bpermute_b32 v165, v162, v132 offset:64
	v_mul_f32_e32 v161, v188, v191
	s_waitcnt lgkmcnt(2)
	v_fmac_f32_e32 v163, v161, v164
	v_mul_f32_e32 v161, v193, v194
	s_waitcnt lgkmcnt(1)
	v_fmac_f32_e32 v163, v161, v160
	v_mul_f32_e32 v160, v192, v195
	ds_bpermute_b32 v164, v162, v132 offset:68
	s_waitcnt lgkmcnt(1)
	v_fmac_f32_e32 v163, v160, v165
	ds_bpermute_b32 v166, v162, v132 offset:72
	ds_bpermute_b32 v160, v162, v132 offset:76
	;; [unrolled: 1-line block ×3, first 2 shown]
	v_mul_f32_e32 v165, v197, v198
	s_waitcnt lgkmcnt(3)
	v_fmac_f32_e32 v163, v165, v164
	v_mul_f32_e32 v164, v196, v199
	v_pk_mul_f32 v[136:137], v[136:137], v[138:139]
	ds_bpermute_b32 v138, v162, v132 offset:84
	ds_bpermute_b32 v139, v162, v132 offset:88
	s_waitcnt lgkmcnt(4)
	v_fmac_f32_e32 v163, v164, v166
	s_waitcnt lgkmcnt(2)
	v_pk_mul_f32 v[136:137], v[136:137], v[160:161]
	v_add_f32_e32 v136, v163, v136
	v_add_f32_e32 v160, v136, v137
	v_pk_mul_f32 v[136:137], v[140:141], v[142:143]
	ds_bpermute_b32 v140, v162, v132 offset:92
	ds_bpermute_b32 v141, v162, v132 offset:96
	s_waitcnt lgkmcnt(2)
	v_pk_mul_f32 v[136:137], v[136:137], v[138:139]
	v_add_f32_e32 v136, v160, v136
	v_add_f32_e32 v138, v136, v137
	v_pk_mul_f32 v[136:137], v[144:145], v[146:147]
	s_waitcnt lgkmcnt(0)
	v_pk_mul_f32 v[136:137], v[136:137], v[140:141]
	v_add_f32_e32 v136, v138, v136
	ds_bpermute_b32 v138, v162, v132 offset:100
	ds_bpermute_b32 v139, v162, v132 offset:104
	;; [unrolled: 1-line block ×4, first 2 shown]
	v_add_f32_e32 v142, v136, v137
	v_pk_mul_f32 v[136:137], v[148:149], v[150:151]
	s_waitcnt lgkmcnt(2)
	v_pk_mul_f32 v[136:137], v[136:137], v[138:139]
	v_add_f32_e32 v136, v142, v136
	ds_bpermute_b32 v138, v162, v132 offset:116
	ds_bpermute_b32 v139, v162, v132 offset:120
	v_add_f32_e32 v142, v136, v137
	v_pk_mul_f32 v[136:137], v[152:153], v[154:155]
	s_waitcnt lgkmcnt(2)
	v_pk_mul_f32 v[136:137], v[136:137], v[140:141]
	v_add_f32_e32 v136, v142, v136
	v_add_f32_e32 v140, v136, v137
	v_pk_mul_f32 v[136:137], v[156:157], v[158:159]
	s_waitcnt lgkmcnt(0)
	v_pk_mul_f32 v[136:137], v[136:137], v[138:139]
	v_add_f32_e32 v136, v140, v136
	ds_bpermute_b32 v132, v162, v132 offset:124
	v_add_f32_e32 v139, v136, v137
.LBB199_141:                            ;   in Loop: Header=BB199_3 Depth=1
	s_waitcnt lgkmcnt(0)
	v_fmac_f32_e32 v139, v202, v132
	v_mov_b32_e32 v132, s9
	v_add_co_u32_e64 v2, s[10:11], s33, v2
	v_addc_co_u32_e64 v129, s[10:11], v129, v132, s[10:11]
	v_mov_b32_e32 v132, s29
	v_add_co_u32_e64 v4, s[10:11], s28, v4
	v_addc_co_u32_e64 v1, s[10:11], v1, v132, s[10:11]
	v_add_co_u32_e64 v6, s[10:11], s28, v6
	v_addc_co_u32_e64 v3, s[10:11], v3, v132, s[10:11]
	;; [unrolled: 2-line block ×62, first 2 shown]
	s_add_u32 s30, s30, s33
	v_add_co_u32_e64 v128, s[10:11], s28, v128
	s_addc_u32 s31, s31, 0
	v_pk_mov_b32 v[136:137], s[12:13], s[12:13] op_sel:[0,1]
	v_addc_co_u32_e64 v125, s[10:11], v125, v132, s[10:11]
	v_cmp_lt_i64_e32 vcc, s[30:31], v[136:137]
	v_add_co_u32_e64 v130, s[10:11], s28, v130
	s_add_u32 s26, s26, s33
	v_addc_co_u32_e64 v127, s[10:11], v127, v132, s[10:11]
	s_addc_u32 s27, s27, 0
	s_cbranch_vccz .LBB199_146
; %bb.142:                              ;   in Loop: Header=BB199_3 Depth=1
	v_mov_b32_e32 v163, v139
	s_branch .LBB199_3
.LBB199_143:                            ;   in Loop: Header=BB199_3 Depth=1
	v_add_co_u32_e32 v158, vcc, v12, v134
	v_addc_co_u32_e32 v159, vcc, v9, v135, vcc
	v_add_co_u32_e32 v200, vcc, v14, v134
	v_addc_co_u32_e32 v201, vcc, v11, v135, vcc
	global_load_ushort v156, v[158:159], off
	s_nop 0
	global_load_ushort v158, v[200:201], off
	s_waitcnt vmcnt(1)
	v_lshlrev_b32_e32 v156, 16, v156
	s_waitcnt vmcnt(0)
	v_lshlrev_b32_e32 v158, 16, v158
	s_or_b64 exec, exec, s[10:11]
	v_mov_b32_e32 v159, 0
	s_and_saveexec_b64 s[10:11], s[2:3]
	s_cbranch_execz .LBB199_138
.LBB199_144:                            ;   in Loop: Header=BB199_3 Depth=1
	v_add_co_u32_e32 v200, vcc, v8, v134
	v_addc_co_u32_e32 v201, vcc, v5, v135, vcc
	v_add_co_u32_e32 v202, vcc, v10, v134
	v_addc_co_u32_e32 v203, vcc, v7, v135, vcc
	global_load_ushort v157, v[200:201], off
	global_load_ushort v159, v[202:203], off
	s_waitcnt vmcnt(1)
	v_lshlrev_b32_e32 v157, 16, v157
	s_waitcnt vmcnt(0)
	v_lshlrev_b32_e32 v159, 16, v159
	s_or_b64 exec, exec, s[10:11]
	v_mov_b32_e32 v202, 0
	s_and_saveexec_b64 s[10:11], s[2:3]
	s_cbranch_execnz .LBB199_139
	s_branch .LBB199_140
.LBB199_145:
                                        ; implicit-def: $vgpr139
	s_load_dwordx2 s[2:3], s[4:5], 0x30
	s_branch .LBB199_147
.LBB199_146:
	s_load_dwordx2 s[2:3], s[4:5], 0x30
	s_cbranch_execnz .LBB199_228
.LBB199_147:
	s_and_b64 vcc, exec, s[0:1]
	v_mov_b32_e32 v139, 0
	s_cbranch_vccnz .LBB199_228
; %bb.148:
	v_bfe_u32 v128, v206, 10, 10
	s_add_u32 s10, s4, 64
	s_addc_u32 s11, s5, 0
	v_lshlrev_b32_e32 v0, 6, v128
	s_lshl_b64 s[0:1], s[22:23], 1
	v_mov_b32_e32 v1, s1
	v_add_co_u32_e32 v0, vcc, s0, v0
	v_addc_co_u32_e32 v1, vcc, 0, v1, vcc
	v_add_co_u32_e32 v22, vcc, 2, v0
	v_addc_co_u32_e32 v4, vcc, 0, v1, vcc
	;; [unrolled: 2-line block ×10, first 2 shown]
	v_add_co_u32_e32 v50, vcc, 20, v0
	v_pk_mov_b32 v[122:123], s[16:17], s[16:17] op_sel:[0,1]
	v_addc_co_u32_e32 v23, vcc, 0, v1, vcc
	v_pk_mov_b32 v[124:125], s[18:19], s[18:19] op_sel:[0,1]
	v_mad_u64_u32 v[2:3], s[0:1], s14, v22, v[122:123]
	v_mul_lo_u32 v24, s14, v4
	v_mul_lo_u32 v25, s15, v22
	;; [unrolled: 1-line block ×3, first 2 shown]
	v_mad_u64_u32 v[22:23], s[0:1], s14, v22, v[124:125]
	v_add3_u32 v3, v25, v3, v24
	v_mad_u64_u32 v[4:5], s[0:1], s14, v26, v[122:123]
	v_mul_lo_u32 v27, s14, v6
	v_mul_lo_u32 v28, s15, v26
	v_add3_u32 v23, v25, v23, v24
	v_mad_u64_u32 v[24:25], s[0:1], s14, v26, v[124:125]
	v_add3_u32 v5, v28, v5, v27
	v_mad_u64_u32 v[6:7], s[0:1], s14, v29, v[122:123]
	v_mul_lo_u32 v30, s14, v8
	v_mul_lo_u32 v31, s15, v29
	v_add3_u32 v25, v28, v25, v27
	v_mad_u64_u32 v[26:27], s[0:1], s14, v29, v[124:125]
	v_add3_u32 v7, v31, v7, v30
	v_mad_u64_u32 v[8:9], s[0:1], s14, v32, v[122:123]
	v_mul_lo_u32 v33, s14, v10
	v_mul_lo_u32 v34, s15, v32
	v_add_co_u32_e32 v53, vcc, 22, v0
	v_add3_u32 v27, v31, v27, v30
	v_mad_u64_u32 v[30:31], s[0:1], s14, v32, v[124:125]
	v_add3_u32 v9, v34, v9, v33
	v_mad_u64_u32 v[10:11], s[0:1], s14, v35, v[122:123]
	v_mul_lo_u32 v36, s14, v12
	v_mul_lo_u32 v37, s15, v35
	v_mad_u64_u32 v[12:13], s[0:1], s14, v38, v[122:123]
	v_mul_lo_u32 v39, s14, v14
	v_mul_lo_u32 v40, s15, v38
	v_addc_co_u32_e32 v54, vcc, 0, v1, vcc
	v_add3_u32 v31, v34, v31, v33
	v_mad_u64_u32 v[32:33], s[0:1], s14, v35, v[124:125]
	v_mad_u64_u32 v[34:35], s[0:1], s14, v38, v[124:125]
	v_add3_u32 v13, v40, v13, v39
	v_mul_lo_u32 v42, s14, v16
	v_mad_u64_u32 v[16:17], s[0:1], s14, v44, v[122:123]
	v_mul_lo_u32 v45, s14, v18
	v_mul_lo_u32 v46, s15, v44
	v_add3_u32 v35, v40, v35, v39
	v_add_co_u32_e32 v56, vcc, 24, v0
	v_mad_u64_u32 v[38:39], s[0:1], s14, v44, v[124:125]
	v_add3_u32 v17, v46, v17, v45
	v_mul_lo_u32 v48, s14, v20
	v_mad_u64_u32 v[20:21], s[0:1], s14, v50, v[122:123]
	v_mul_lo_u32 v52, s15, v50
	v_addc_co_u32_e32 v57, vcc, 0, v1, vcc
	v_add3_u32 v39, v46, v39, v45
	v_mad_u64_u32 v[44:45], s[0:1], s14, v50, v[124:125]
	v_add3_u32 v11, v37, v11, v36
	v_mad_u64_u32 v[14:15], s[0:1], s14, v41, v[122:123]
	v_mul_lo_u32 v43, s15, v41
	v_add3_u32 v21, v52, v21, v51
	v_add3_u32 v33, v37, v33, v36
	v_mad_u64_u32 v[36:37], s[0:1], s14, v41, v[124:125]
	v_add3_u32 v45, v52, v45, v51
	v_add_co_u32_e32 v52, vcc, 26, v0
	v_add3_u32 v15, v43, v15, v42
	v_mad_u64_u32 v[18:19], s[0:1], s14, v47, v[122:123]
	v_mul_lo_u32 v49, s15, v47
	v_mad_u64_u32 v[28:29], s[0:1], s14, v53, v[122:123]
	v_mul_lo_u32 v54, s14, v54
	v_mul_lo_u32 v55, s15, v53
	v_add3_u32 v37, v43, v37, v42
	v_mad_u64_u32 v[42:43], s[0:1], s14, v47, v[124:125]
	v_mad_u64_u32 v[46:47], s[0:1], s14, v53, v[124:125]
	v_addc_co_u32_e32 v53, vcc, 0, v1, vcc
	v_add3_u32 v19, v49, v19, v48
	v_add3_u32 v29, v55, v29, v54
	v_mad_u64_u32 v[40:41], s[0:1], s14, v56, v[122:123]
	v_add3_u32 v43, v49, v43, v48
	v_mul_lo_u32 v58, s15, v56
	v_add3_u32 v47, v55, v47, v54
	v_mad_u64_u32 v[48:49], s[0:1], s14, v56, v[124:125]
	v_mad_u64_u32 v[50:51], s[0:1], s14, v52, v[122:123]
	v_mul_lo_u32 v54, s14, v53
	v_mul_lo_u32 v55, s15, v52
	v_mad_u64_u32 v[52:53], s[0:1], s14, v52, v[124:125]
	v_add_co_u32_e32 v56, vcc, 28, v0
	v_mul_lo_u32 v57, s14, v57
	v_add3_u32 v51, v55, v51, v54
	v_add3_u32 v53, v55, v53, v54
	v_addc_co_u32_e32 v54, vcc, 0, v1, vcc
	v_add3_u32 v41, v58, v41, v57
	v_add3_u32 v49, v58, v49, v57
	v_mul_lo_u32 v58, s14, v54
	v_mul_lo_u32 v59, s15, v56
	v_mad_u64_u32 v[54:55], s[0:1], s14, v56, v[122:123]
	v_mad_u64_u32 v[56:57], s[0:1], s14, v56, v[124:125]
	v_add_co_u32_e32 v60, vcc, 30, v0
	v_add3_u32 v55, v59, v55, v58
	v_add3_u32 v57, v59, v57, v58
	v_addc_co_u32_e32 v58, vcc, 0, v1, vcc
	v_mul_lo_u32 v62, s14, v58
	v_mul_lo_u32 v63, s15, v60
	v_mad_u64_u32 v[58:59], s[0:1], s14, v60, v[122:123]
	v_mad_u64_u32 v[60:61], s[0:1], s14, v60, v[124:125]
	v_add_co_u32_e32 v64, vcc, 32, v0
	v_add3_u32 v59, v63, v59, v62
	v_add3_u32 v61, v63, v61, v62
	v_addc_co_u32_e32 v62, vcc, 0, v1, vcc
	;; [unrolled: 8-line block ×16, first 2 shown]
	v_add_co_u32_e32 v0, vcc, 62, v0
	v_addc_co_u32_e32 v1, vcc, 0, v1, vcc
	v_mul_lo_u32 v126, s14, v118
	v_mul_lo_u32 v127, s15, v120
	v_mad_u64_u32 v[118:119], s[0:1], s14, v120, v[122:123]
	v_mad_u64_u32 v[120:121], s[0:1], s14, v120, v[124:125]
	;; [unrolled: 1-line block ×3, first 2 shown]
	v_mul_lo_u32 v1, s14, v1
	v_mad_u64_u32 v[124:125], s[0:1], s14, v0, v[124:125]
	v_mul_lo_u32 v0, s15, v0
	v_add3_u32 v123, v0, v123, v1
	v_add3_u32 v125, v0, v125, v1
	v_lshlrev_b32_e32 v0, 5, v128
	v_mov_b32_e32 v1, s23
	v_accvgpr_write_b32 a2, v0
	v_add_co_u32_e32 v0, vcc, s22, v0
	v_addc_co_u32_e32 v1, vcc, 0, v1, vcc
	v_add3_u32 v119, v127, v119, v126
	v_add3_u32 v121, v127, v121, v126
	v_add_co_u32_e32 v126, vcc, 31, v0
	v_addc_co_u32_e32 v127, vcc, 0, v1, vcc
	v_accvgpr_write_b32 a1, v128
	v_mul_lo_u32 v127, s14, v127
	v_mul_lo_u32 v128, s15, v126
	v_mad_u64_u32 v[132:133], s[0:1], s14, v126, 0
	v_add_co_u32_e32 v126, vcc, 30, v0
	v_add3_u32 v133, v133, v127, v128
	v_addc_co_u32_e32 v127, vcc, 0, v1, vcc
	v_mul_lo_u32 v127, s14, v127
	v_mul_lo_u32 v128, s15, v126
	v_mad_u64_u32 v[134:135], s[0:1], s14, v126, 0
	v_add_co_u32_e32 v126, vcc, 29, v0
	v_add3_u32 v135, v135, v127, v128
	v_addc_co_u32_e32 v127, vcc, 0, v1, vcc
	;; [unrolled: 6-line block ×29, first 2 shown]
	v_mul_lo_u32 v127, s14, v127
	v_mul_lo_u32 v128, s15, v126
	v_mad_u64_u32 v[168:169], s[0:1], s14, v126, 0
	v_add3_u32 v169, v169, v127, v128
	v_pk_mov_b32 v[126:127], s[14:15], s[14:15] op_sel:[0,1]
	v_mul_lo_u32 v128, s14, v1
	v_mad_u64_u32 v[170:171], s[0:1], s14, v0, v[126:127]
	v_mul_lo_u32 v126, s15, v0
	v_mad_u64_u32 v[0:1], s[0:1], s14, v0, 0
	v_add3_u32 v1, v1, v128, v126
	v_add3_u32 v171, v126, v171, v128
	v_lshlrev_b64 v[126:127], 1, v[0:1]
	v_mov_b32_e32 v0, s17
	v_add_co_u32_e32 v128, vcc, s16, v126
	v_addc_co_u32_e32 v1, vcc, v0, v127, vcc
	v_mov_b32_e32 v129, s19
	v_add_co_u32_e32 v130, vcc, s18, v126
	v_addc_co_u32_e32 v127, vcc, v129, v127, vcc
	v_lshlrev_b64 v[132:133], 1, v[132:133]
	v_add_co_u32_e32 v126, vcc, s16, v132
	v_addc_co_u32_e32 v131, vcc, v0, v133, vcc
	v_accvgpr_write_b32 a4, v126
	v_add_co_u32_e32 v126, vcc, s18, v132
	v_accvgpr_write_b32 a3, v131
	v_addc_co_u32_e32 v131, vcc, v129, v133, vcc
	v_lshlrev_b64 v[132:133], 1, v[134:135]
	v_accvgpr_write_b32 a6, v126
	v_add_co_u32_e32 v126, vcc, s16, v132
	v_accvgpr_write_b32 a5, v131
	v_addc_co_u32_e32 v131, vcc, v0, v133, vcc
	v_accvgpr_write_b32 a8, v126
	v_add_co_u32_e32 v126, vcc, s18, v132
	v_accvgpr_write_b32 a7, v131
	v_addc_co_u32_e32 v131, vcc, v129, v133, vcc
	v_lshlrev_b64 v[132:133], 1, v[136:137]
	v_accvgpr_write_b32 a10, v126
	v_add_co_u32_e32 v126, vcc, s16, v132
	v_accvgpr_write_b32 a9, v131
	;; [unrolled: 9-line block ×22, first 2 shown]
	v_addc_co_u32_e32 v131, vcc, v0, v133, vcc
	v_accvgpr_write_b32 a92, v126
	v_add_co_u32_e32 v126, vcc, s18, v132
	v_addc_co_u32_e32 v219, vcc, v129, v133, vcc
	v_lshlrev_b64 v[132:133], 1, v[154:155]
	v_add_co_u32_e32 v224, vcc, s16, v132
	v_addc_co_u32_e32 v221, vcc, v0, v133, vcc
	v_add_co_u32_e32 v226, vcc, s18, v132
	v_addc_co_u32_e32 v223, vcc, v129, v133, vcc
	v_lshlrev_b64 v[132:133], 1, v[158:159]
	v_add_co_u32_e32 v228, vcc, s16, v132
	v_addc_co_u32_e32 v225, vcc, v0, v133, vcc
	;; [unrolled: 5-line block ×7, first 2 shown]
	s_load_dword s0, s[4:5], 0x44
	v_add_co_u32_e32 v250, vcc, s18, v132
	v_addc_co_u32_e32 v247, vcc, v129, v133, vcc
	v_lshlrev_b64 v[132:133], 1, v[170:171]
	v_add_co_u32_e32 v252, vcc, s16, v132
	v_addc_co_u32_e32 v249, vcc, v0, v133, vcc
	v_and_b32_e32 v0, 0x3ff, v206
	v_add_co_u32_e32 v254, vcc, s18, v132
	v_accvgpr_write_b32 a93, v0
	v_add_u32_e32 v132, s7, v0
	s_waitcnt lgkmcnt(0)
	s_lshl_b32 s7, s0, 5
	v_mbcnt_lo_u32_b32 v0, -1, 0
	s_mul_i32 s0, s15, s7
	s_mul_hi_u32 s1, s14, s7
	v_mbcnt_hi_u32_b32 v0, -1, v0
	v_addc_co_u32_e32 v251, vcc, v129, v133, vcc
	v_mov_b32_e32 v133, 0
	s_add_i32 s1, s1, s0
	s_mul_i32 s0, s14, s7
	v_lshlrev_b32_e32 v0, 2, v0
	v_accvgpr_write_b32 a91, v131
	v_accvgpr_write_b32 a94, v126
	s_mov_b32 s9, 0
	v_accvgpr_write_b32 a0, v206
	s_lshl_b64 s[16:17], s[0:1], 1
	s_mov_b64 s[18:19], 31
	v_and_b32_e32 v0, 0x100, v0
	s_mov_b64 s[24:25], s[22:23]
	v_mov_b32_e32 v138, 0
	v_mov_b32_e32 v253, v133
	v_accvgpr_write_b32 a95, v133
	v_lshlrev_b64 v[132:133], 1, v[132:133]
.LBB199_149:                            ; =>This Inner Loop Header: Depth=1
	s_add_u32 s0, s22, s18
	s_addc_u32 s1, 0, s19
	v_pk_mov_b32 v[134:135], s[12:13], s[12:13] op_sel:[0,1]
	v_cmp_ge_i64_e32 vcc, s[0:1], v[134:135]
	v_accvgpr_read_b32 v134, a2
	v_mov_b32_e32 v126, s23
	v_add_co_u32_e64 v134, s[0:1], s22, v134
	v_addc_co_u32_e64 v135, s[0:1], v126, v253, s[0:1]
	s_cbranch_vccz .LBB199_219
; %bb.150:                              ;   in Loop: Header=BB199_149 Depth=1
	s_load_dword s0, s[10:11], 0xc
	v_accvgpr_read_b32 v126, a1
	v_accvgpr_read_b32 v129, a93
	v_mov_b32_e32 v189, 0
	v_mov_b32_e32 v139, 0
	s_waitcnt lgkmcnt(0)
	s_and_b32 s0, s0, 0xffff
	v_mad_u32_u24 v126, v126, s0, v129
	v_and_b32_e32 v126, 63, v126
	v_cmp_gt_u32_e32 vcc, 32, v126
	s_and_saveexec_b64 s[0:1], vcc
	s_cbranch_execz .LBB199_154
; %bb.151:                              ;   in Loop: Header=BB199_149 Depth=1
	v_add_co_u32_e32 v136, vcc, v134, v126
	v_addc_co_u32_e32 v137, vcc, 0, v135, vcc
	v_cmp_gt_i64_e32 vcc, s[12:13], v[136:137]
	v_mov_b32_e32 v139, 0
	s_and_saveexec_b64 s[26:27], vcc
	s_cbranch_execz .LBB199_153
; %bb.152:                              ;   in Loop: Header=BB199_149 Depth=1
	v_lshlrev_b64 v[136:137], 2, v[136:137]
	v_mov_b32_e32 v126, s21
	v_add_co_u32_e32 v136, vcc, s20, v136
	v_addc_co_u32_e32 v137, vcc, v126, v137, vcc
	global_load_dword v139, v[136:137], off
.LBB199_153:                            ;   in Loop: Header=BB199_149 Depth=1
	s_or_b64 exec, exec, s[26:27]
.LBB199_154:                            ;   in Loop: Header=BB199_149 Depth=1
	s_or_b64 exec, exec, s[0:1]
	v_cmp_gt_i64_e32 vcc, s[12:13], v[134:135]
	v_mov_b32_e32 v194, 0
	s_and_saveexec_b64 s[0:1], vcc
	s_cbranch_execz .LBB199_156
; %bb.155:                              ;   in Loop: Header=BB199_149 Depth=1
	v_add_co_u32_e32 v136, vcc, v128, v132
	v_addc_co_u32_e32 v137, vcc, v1, v133, vcc
	v_add_co_u32_e32 v140, vcc, v130, v132
	v_addc_co_u32_e32 v141, vcc, v127, v133, vcc
	global_load_ushort v126, v[136:137], off
	global_load_ushort v129, v[140:141], off
	s_waitcnt vmcnt(1)
	v_lshlrev_b32_e32 v189, 16, v126
	s_waitcnt vmcnt(0)
	v_lshlrev_b32_e32 v194, 16, v129
.LBB199_156:                            ;   in Loop: Header=BB199_149 Depth=1
	s_or_b64 exec, exec, s[0:1]
	v_add_co_u32_e32 v136, vcc, 1, v134
	v_addc_co_u32_e32 v137, vcc, 0, v135, vcc
	v_cmp_gt_i64_e32 vcc, s[12:13], v[136:137]
	v_mov_b32_e32 v195, 0
	v_mov_b32_e32 v196, 0
	v_mov_b32_e32 v197, 0
	s_and_saveexec_b64 s[0:1], vcc
	s_cbranch_execz .LBB199_158
; %bb.157:                              ;   in Loop: Header=BB199_149 Depth=1
	v_add_co_u32_e32 v136, vcc, v252, v132
	v_addc_co_u32_e32 v137, vcc, v249, v133, vcc
	v_add_co_u32_e32 v140, vcc, v254, v132
	v_addc_co_u32_e32 v141, vcc, v251, v133, vcc
	global_load_ushort v126, v[136:137], off
	global_load_ushort v129, v[140:141], off
	s_waitcnt vmcnt(1)
	v_lshlrev_b32_e32 v196, 16, v126
	s_waitcnt vmcnt(0)
	v_lshlrev_b32_e32 v197, 16, v129
.LBB199_158:                            ;   in Loop: Header=BB199_149 Depth=1
	s_or_b64 exec, exec, s[0:1]
	v_add_co_u32_e32 v136, vcc, 2, v134
	v_addc_co_u32_e32 v137, vcc, 0, v135, vcc
	v_cmp_gt_i64_e32 vcc, s[12:13], v[136:137]
	v_mov_b32_e32 v199, 0
	s_and_saveexec_b64 s[0:1], vcc
	s_cbranch_execz .LBB199_160
; %bb.159:                              ;   in Loop: Header=BB199_149 Depth=1
	v_add_co_u32_e32 v136, vcc, v248, v132
	v_addc_co_u32_e32 v137, vcc, v245, v133, vcc
	v_add_co_u32_e32 v140, vcc, v250, v132
	v_addc_co_u32_e32 v141, vcc, v247, v133, vcc
	global_load_ushort v126, v[136:137], off
	global_load_ushort v129, v[140:141], off
	s_waitcnt vmcnt(1)
	v_lshlrev_b32_e32 v195, 16, v126
	s_waitcnt vmcnt(0)
	v_lshlrev_b32_e32 v199, 16, v129
.LBB199_160:                            ;   in Loop: Header=BB199_149 Depth=1
	s_or_b64 exec, exec, s[0:1]
	v_add_co_u32_e32 v136, vcc, 3, v134
	v_addc_co_u32_e32 v137, vcc, 0, v135, vcc
	v_cmp_gt_i64_e32 vcc, s[12:13], v[136:137]
	v_mov_b32_e32 v198, 0
	v_mov_b32_e32 v200, 0
	v_mov_b32_e32 v201, 0
	s_and_saveexec_b64 s[0:1], vcc
	s_cbranch_execz .LBB199_162
; %bb.161:                              ;   in Loop: Header=BB199_149 Depth=1
	v_add_co_u32_e32 v136, vcc, v244, v132
	v_addc_co_u32_e32 v137, vcc, v241, v133, vcc
	v_add_co_u32_e32 v140, vcc, v246, v132
	v_addc_co_u32_e32 v141, vcc, v243, v133, vcc
	global_load_ushort v126, v[136:137], off
	global_load_ushort v129, v[140:141], off
	s_waitcnt vmcnt(1)
	v_lshlrev_b32_e32 v200, 16, v126
	s_waitcnt vmcnt(0)
	v_lshlrev_b32_e32 v201, 16, v129
.LBB199_162:                            ;   in Loop: Header=BB199_149 Depth=1
	s_or_b64 exec, exec, s[0:1]
	v_add_co_u32_e32 v136, vcc, 4, v134
	v_addc_co_u32_e32 v137, vcc, 0, v135, vcc
	;; [unrolled: 40-line block ×4, first 2 shown]
	v_cmp_gt_i64_e32 vcc, s[12:13], v[136:137]
	v_mov_b32_e32 v165, 0
	s_and_saveexec_b64 s[0:1], vcc
	s_cbranch_execz .LBB199_172
; %bb.171:                              ;   in Loop: Header=BB199_149 Depth=1
	v_add_co_u32_e32 v136, vcc, v224, v132
	v_addc_co_u32_e32 v137, vcc, v221, v133, vcc
	v_add_co_u32_e32 v140, vcc, v226, v132
	v_addc_co_u32_e32 v141, vcc, v223, v133, vcc
	global_load_ushort v126, v[136:137], off
	global_load_ushort v131, v[140:141], off
	s_waitcnt vmcnt(1)
	v_lshlrev_b32_e32 v164, 16, v126
	s_waitcnt vmcnt(0)
	v_lshlrev_b32_e32 v165, 16, v131
.LBB199_172:                            ;   in Loop: Header=BB199_149 Depth=1
	s_or_b64 exec, exec, s[0:1]
	v_add_co_u32_e32 v136, vcc, 9, v134
	v_addc_co_u32_e32 v137, vcc, 0, v135, vcc
	v_cmp_gt_i64_e32 vcc, s[12:13], v[136:137]
	v_mov_b32_e32 v168, 0
	v_mov_b32_e32 v170, 0
	;; [unrolled: 1-line block ×3, first 2 shown]
	s_and_saveexec_b64 s[0:1], vcc
	s_cbranch_execz .LBB199_174
; %bb.173:                              ;   in Loop: Header=BB199_149 Depth=1
	v_accvgpr_read_b32 v126, a92
	v_add_co_u32_e32 v136, vcc, v126, v132
	v_accvgpr_read_b32 v131, a91
	v_addc_co_u32_e32 v137, vcc, v131, v133, vcc
	v_accvgpr_read_b32 v126, a94
	v_add_co_u32_e32 v140, vcc, v126, v132
	v_addc_co_u32_e32 v141, vcc, v219, v133, vcc
	global_load_ushort v126, v[136:137], off
	global_load_ushort v131, v[140:141], off
	s_waitcnt vmcnt(1)
	v_lshlrev_b32_e32 v170, 16, v126
	s_waitcnt vmcnt(0)
	v_lshlrev_b32_e32 v126, 16, v131
.LBB199_174:                            ;   in Loop: Header=BB199_149 Depth=1
	s_or_b64 exec, exec, s[0:1]
	v_add_co_u32_e32 v136, vcc, 10, v134
	v_addc_co_u32_e32 v137, vcc, 0, v135, vcc
	v_cmp_gt_i64_e32 vcc, s[12:13], v[136:137]
	v_mov_b32_e32 v172, 0
	s_and_saveexec_b64 s[0:1], vcc
	s_cbranch_execz .LBB199_176
; %bb.175:                              ;   in Loop: Header=BB199_149 Depth=1
	v_accvgpr_read_b32 v136, a88
	v_add_co_u32_e32 v136, vcc, v136, v132
	v_accvgpr_read_b32 v131, a87
	v_addc_co_u32_e32 v137, vcc, v131, v133, vcc
	v_accvgpr_read_b32 v140, a90
	v_add_co_u32_e32 v140, vcc, v140, v132
	v_accvgpr_read_b32 v131, a89
	v_addc_co_u32_e32 v141, vcc, v131, v133, vcc
	global_load_ushort v131, v[136:137], off
	s_nop 0
	global_load_ushort v136, v[140:141], off
	s_waitcnt vmcnt(1)
	v_lshlrev_b32_e32 v168, 16, v131
	s_waitcnt vmcnt(0)
	v_lshlrev_b32_e32 v172, 16, v136
.LBB199_176:                            ;   in Loop: Header=BB199_149 Depth=1
	s_or_b64 exec, exec, s[0:1]
	v_add_co_u32_e32 v136, vcc, 11, v134
	v_addc_co_u32_e32 v137, vcc, 0, v135, vcc
	v_cmp_gt_i64_e32 vcc, s[12:13], v[136:137]
	v_mov_b32_e32 v167, 0
	v_mov_b32_e32 v169, 0
	v_mov_b32_e32 v174, 0
	s_and_saveexec_b64 s[0:1], vcc
	s_cbranch_execz .LBB199_178
; %bb.177:                              ;   in Loop: Header=BB199_149 Depth=1
	v_accvgpr_read_b32 v136, a84
	v_add_co_u32_e32 v136, vcc, v136, v132
	v_accvgpr_read_b32 v131, a83
	v_addc_co_u32_e32 v137, vcc, v131, v133, vcc
	v_accvgpr_read_b32 v140, a86
	v_add_co_u32_e32 v140, vcc, v140, v132
	v_accvgpr_read_b32 v131, a85
	v_addc_co_u32_e32 v141, vcc, v131, v133, vcc
	global_load_ushort v131, v[136:137], off
	s_nop 0
	global_load_ushort v136, v[140:141], off
	s_waitcnt vmcnt(1)
	v_lshlrev_b32_e32 v169, 16, v131
	s_waitcnt vmcnt(0)
	v_lshlrev_b32_e32 v174, 16, v136
.LBB199_178:                            ;   in Loop: Header=BB199_149 Depth=1
	s_or_b64 exec, exec, s[0:1]
	v_add_co_u32_e32 v136, vcc, 12, v134
	v_addc_co_u32_e32 v137, vcc, 0, v135, vcc
	v_cmp_gt_i64_e32 vcc, s[12:13], v[136:137]
	v_mov_b32_e32 v171, 0
	s_and_saveexec_b64 s[0:1], vcc
	s_cbranch_execz .LBB199_180
; %bb.179:                              ;   in Loop: Header=BB199_149 Depth=1
	v_accvgpr_read_b32 v136, a80
	v_add_co_u32_e32 v136, vcc, v136, v132
	v_accvgpr_read_b32 v131, a79
	v_addc_co_u32_e32 v137, vcc, v131, v133, vcc
	v_accvgpr_read_b32 v140, a82
	v_add_co_u32_e32 v140, vcc, v140, v132
	v_accvgpr_read_b32 v131, a81
	v_addc_co_u32_e32 v141, vcc, v131, v133, vcc
	global_load_ushort v131, v[136:137], off
	s_nop 0
	global_load_ushort v136, v[140:141], off
	s_waitcnt vmcnt(1)
	v_lshlrev_b32_e32 v167, 16, v131
	s_waitcnt vmcnt(0)
	v_lshlrev_b32_e32 v171, 16, v136
.LBB199_180:                            ;   in Loop: Header=BB199_149 Depth=1
	s_or_b64 exec, exec, s[0:1]
	v_add_co_u32_e32 v136, vcc, 13, v134
	v_addc_co_u32_e32 v137, vcc, 0, v135, vcc
	v_cmp_gt_i64_e32 vcc, s[12:13], v[136:137]
	v_mov_b32_e32 v131, 0
	v_mov_b32_e32 v176, 0
	v_mov_b32_e32 v173, 0
	s_and_saveexec_b64 s[0:1], vcc
	s_cbranch_execz .LBB199_182
; %bb.181:                              ;   in Loop: Header=BB199_149 Depth=1
	v_accvgpr_read_b32 v136, a76
	v_add_co_u32_e32 v136, vcc, v136, v132
	v_accvgpr_read_b32 v137, a75
	v_addc_co_u32_e32 v137, vcc, v137, v133, vcc
	v_accvgpr_read_b32 v140, a78
	v_add_co_u32_e32 v140, vcc, v140, v132
	v_accvgpr_read_b32 v141, a77
	v_addc_co_u32_e32 v141, vcc, v141, v133, vcc
	global_load_ushort v136, v[136:137], off
	s_nop 0
	global_load_ushort v137, v[140:141], off
	s_waitcnt vmcnt(1)
	v_lshlrev_b32_e32 v176, 16, v136
	s_waitcnt vmcnt(0)
	v_lshlrev_b32_e32 v173, 16, v137
.LBB199_182:                            ;   in Loop: Header=BB199_149 Depth=1
	;; [unrolled: 50-line block ×5, first 2 shown]
	s_or_b64 exec, exec, s[0:1]
	v_add_co_u32_e32 v140, vcc, 20, v134
	v_addc_co_u32_e32 v141, vcc, 0, v135, vcc
	v_cmp_gt_i64_e32 vcc, s[12:13], v[140:141]
	v_mov_b32_e32 v140, 0
	s_and_saveexec_b64 s[0:1], vcc
	s_cbranch_execz .LBB199_196
; %bb.195:                              ;   in Loop: Header=BB199_149 Depth=1
	v_accvgpr_read_b32 v136, a48
	v_add_co_u32_e32 v136, vcc, v136, v132
	v_accvgpr_read_b32 v137, a47
	v_addc_co_u32_e32 v137, vcc, v137, v133, vcc
	v_accvgpr_read_b32 v140, a50
	v_add_co_u32_e32 v140, vcc, v140, v132
	v_accvgpr_read_b32 v141, a49
	v_addc_co_u32_e32 v141, vcc, v141, v133, vcc
	global_load_ushort v136, v[136:137], off
	s_nop 0
	global_load_ushort v137, v[140:141], off
	s_waitcnt vmcnt(1)
	v_lshlrev_b32_e32 v136, 16, v136
	s_waitcnt vmcnt(0)
	v_lshlrev_b32_e32 v140, 16, v137
.LBB199_196:                            ;   in Loop: Header=BB199_149 Depth=1
	s_or_b64 exec, exec, s[0:1]
	v_add_co_u32_e32 v142, vcc, 21, v134
	v_addc_co_u32_e32 v143, vcc, 0, v135, vcc
	v_cmp_gt_i64_e32 vcc, s[12:13], v[142:143]
	v_mov_b32_e32 v160, 0
	v_mov_b32_e32 v137, 0
	v_mov_b32_e32 v141, 0
	s_and_saveexec_b64 s[0:1], vcc
	s_cbranch_execz .LBB199_198
; %bb.197:                              ;   in Loop: Header=BB199_149 Depth=1
	v_accvgpr_read_b32 v142, a44
	v_add_co_u32_e32 v142, vcc, v142, v132
	v_accvgpr_read_b32 v137, a43
	v_addc_co_u32_e32 v143, vcc, v137, v133, vcc
	v_accvgpr_read_b32 v144, a46
	v_add_co_u32_e32 v144, vcc, v144, v132
	v_accvgpr_read_b32 v137, a45
	v_addc_co_u32_e32 v145, vcc, v137, v133, vcc
	global_load_ushort v137, v[142:143], off
	global_load_ushort v141, v[144:145], off
	s_waitcnt vmcnt(1)
	v_lshlrev_b32_e32 v137, 16, v137
	s_waitcnt vmcnt(0)
	v_lshlrev_b32_e32 v141, 16, v141
.LBB199_198:                            ;   in Loop: Header=BB199_149 Depth=1
	s_or_b64 exec, exec, s[0:1]
	v_add_co_u32_e32 v142, vcc, 22, v134
	v_addc_co_u32_e32 v143, vcc, 0, v135, vcc
	v_cmp_gt_i64_e32 vcc, s[12:13], v[142:143]
	v_mov_b32_e32 v144, 0
	s_and_saveexec_b64 s[0:1], vcc
	s_cbranch_execz .LBB199_200
; %bb.199:                              ;   in Loop: Header=BB199_149 Depth=1
	v_accvgpr_read_b32 v142, a40
	v_add_co_u32_e32 v142, vcc, v142, v132
	v_accvgpr_read_b32 v143, a39
	v_addc_co_u32_e32 v143, vcc, v143, v133, vcc
	v_accvgpr_read_b32 v144, a42
	v_add_co_u32_e32 v144, vcc, v144, v132
	v_accvgpr_read_b32 v145, a41
	v_addc_co_u32_e32 v145, vcc, v145, v133, vcc
	global_load_ushort v142, v[142:143], off
	s_nop 0
	global_load_ushort v143, v[144:145], off
	s_waitcnt vmcnt(1)
	v_lshlrev_b32_e32 v160, 16, v142
	s_waitcnt vmcnt(0)
	v_lshlrev_b32_e32 v144, 16, v143
.LBB199_200:                            ;   in Loop: Header=BB199_149 Depth=1
	s_or_b64 exec, exec, s[0:1]
	v_add_co_u32_e32 v142, vcc, 23, v134
	v_addc_co_u32_e32 v143, vcc, 0, v135, vcc
	v_cmp_gt_i64_e32 vcc, s[12:13], v[142:143]
	v_mov_b32_e32 v142, 0
	v_mov_b32_e32 v161, 0
	v_mov_b32_e32 v145, 0
	s_and_saveexec_b64 s[0:1], vcc
	s_cbranch_execz .LBB199_202
; %bb.201:                              ;   in Loop: Header=BB199_149 Depth=1
	v_accvgpr_read_b32 v146, a36
	v_add_co_u32_e32 v146, vcc, v146, v132
	v_accvgpr_read_b32 v143, a35
	v_addc_co_u32_e32 v147, vcc, v143, v133, vcc
	v_accvgpr_read_b32 v148, a38
	v_add_co_u32_e32 v148, vcc, v148, v132
	v_accvgpr_read_b32 v143, a37
	v_addc_co_u32_e32 v149, vcc, v143, v133, vcc
	global_load_ushort v143, v[146:147], off
	global_load_ushort v145, v[148:149], off
	s_waitcnt vmcnt(1)
	v_lshlrev_b32_e32 v161, 16, v143
	s_waitcnt vmcnt(0)
	v_lshlrev_b32_e32 v145, 16, v145
.LBB199_202:                            ;   in Loop: Header=BB199_149 Depth=1
	;; [unrolled: 49-line block ×5, first 2 shown]
	s_or_b64 exec, exec, s[0:1]
	v_add_co_u32_e32 v190, vcc, 30, v134
	v_addc_co_u32_e32 v191, vcc, 0, v135, vcc
	v_cmp_gt_i64_e32 vcc, s[12:13], v[190:191]
	v_mov_b32_e32 v158, 0
	s_and_saveexec_b64 s[0:1], vcc
	s_cbranch_execz .LBB199_216
; %bb.215:                              ;   in Loop: Header=BB199_149 Depth=1
	v_accvgpr_read_b32 v154, a8
	v_add_co_u32_e32 v190, vcc, v154, v132
	v_accvgpr_read_b32 v185, a7
	v_addc_co_u32_e32 v191, vcc, v185, v133, vcc
	v_accvgpr_read_b32 v154, a10
	v_add_co_u32_e32 v192, vcc, v154, v132
	v_accvgpr_read_b32 v185, a9
	v_addc_co_u32_e32 v193, vcc, v185, v133, vcc
	global_load_ushort v154, v[190:191], off
	global_load_ushort v158, v[192:193], off
	s_waitcnt vmcnt(1)
	v_lshlrev_b32_e32 v154, 16, v154
	s_waitcnt vmcnt(0)
	v_lshlrev_b32_e32 v158, 16, v158
.LBB199_216:                            ;   in Loop: Header=BB199_149 Depth=1
	s_or_b64 exec, exec, s[0:1]
	v_add_co_u32_e32 v190, vcc, 31, v134
	v_addc_co_u32_e32 v191, vcc, 0, v135, vcc
	v_cmp_gt_i64_e32 vcc, s[12:13], v[190:191]
	v_mov_b32_e32 v185, 0
	s_and_saveexec_b64 s[0:1], vcc
	s_cbranch_execz .LBB199_218
; %bb.217:                              ;   in Loop: Header=BB199_149 Depth=1
	v_accvgpr_read_b32 v190, a4
	v_add_co_u32_e32 v190, vcc, v190, v132
	v_accvgpr_read_b32 v185, a3
	v_addc_co_u32_e32 v191, vcc, v185, v133, vcc
	v_accvgpr_read_b32 v192, a6
	v_add_co_u32_e32 v192, vcc, v192, v132
	v_accvgpr_read_b32 v185, a5
	v_addc_co_u32_e32 v193, vcc, v185, v133, vcc
	global_load_ushort v185, v[190:191], off
	global_load_ushort v187, v[192:193], off
	s_waitcnt vmcnt(1)
	v_lshlrev_b32_e32 v185, 16, v185
	s_waitcnt vmcnt(0)
	v_lshlrev_b32_e32 v187, 16, v187
	v_mul_f32_e32 v185, v187, v185
.LBB199_218:                            ;   in Loop: Header=BB199_149 Depth=1
	s_or_b64 exec, exec, s[0:1]
	s_waitcnt vmcnt(0)
	ds_bpermute_b32 v187, v0, v139
	v_mul_f32_e32 v189, v189, v194
	v_mul_f32_e32 v190, v196, v197
	;; [unrolled: 1-line block ×4, first 2 shown]
	s_waitcnt lgkmcnt(0)
	v_fma_f32 v187, v189, v187, v138
	ds_bpermute_b32 v189, v0, v139 offset:4
	v_mul_f32_e32 v129, v129, v163
	v_mul_f32_e32 v126, v170, v126
	ds_bpermute_b32 v162, v0, v139 offset:80
	ds_bpermute_b32 v163, v0, v139 offset:84
	s_waitcnt lgkmcnt(2)
	v_fmac_f32_e32 v187, v190, v189
	ds_bpermute_b32 v189, v0, v139 offset:8
	v_mul_f32_e32 v190, v195, v199
	v_pk_mul_f32 v[136:137], v[136:137], v[140:141]
	s_waitcnt lgkmcnt(1)
	v_pk_mul_f32 v[136:137], v[136:137], v[162:163]
	v_pk_mul_f32 v[140:141], v[160:161], v[144:145]
	s_waitcnt lgkmcnt(0)
	v_fmac_f32_e32 v187, v190, v189
	ds_bpermute_b32 v189, v0, v139 offset:12
	v_mul_f32_e32 v190, v200, v201
	s_waitcnt lgkmcnt(0)
	v_fmac_f32_e32 v187, v190, v189
	ds_bpermute_b32 v189, v0, v139 offset:16
	s_waitcnt lgkmcnt(0)
	v_fmac_f32_e32 v187, v155, v189
	ds_bpermute_b32 v155, v0, v139 offset:20
	;; [unrolled: 3-line block ×3, first 2 shown]
	v_mul_f32_e32 v159, v255, v166
	s_waitcnt lgkmcnt(0)
	v_fmac_f32_e32 v187, v159, v155
	ds_bpermute_b32 v155, v0, v139 offset:28
	s_waitcnt lgkmcnt(0)
	v_fmac_f32_e32 v187, v129, v155
	ds_bpermute_b32 v129, v0, v139 offset:32
	v_mul_f32_e32 v155, v164, v165
	s_waitcnt lgkmcnt(0)
	v_fmac_f32_e32 v187, v155, v129
	ds_bpermute_b32 v129, v0, v139 offset:36
	s_waitcnt lgkmcnt(0)
	v_fmac_f32_e32 v187, v126, v129
	ds_bpermute_b32 v126, v0, v139 offset:40
	v_mul_f32_e32 v129, v168, v172
	s_waitcnt lgkmcnt(0)
	v_fmac_f32_e32 v187, v129, v126
	ds_bpermute_b32 v126, v0, v139 offset:44
	v_mul_f32_e32 v129, v169, v174
	;; [unrolled: 4-line block ×10, first 2 shown]
	s_waitcnt lgkmcnt(0)
	v_fmac_f32_e32 v187, v129, v126
	v_add_f32_e32 v126, v187, v136
	v_add_f32_e32 v126, v126, v137
	ds_bpermute_b32 v136, v0, v139 offset:88
	ds_bpermute_b32 v137, v0, v139 offset:92
	s_waitcnt lgkmcnt(0)
	v_pk_mul_f32 v[136:137], v[140:141], v[136:137]
	v_add_f32_e32 v126, v126, v136
	v_add_f32_e32 v126, v126, v137
	ds_bpermute_b32 v136, v0, v139 offset:96
	ds_bpermute_b32 v137, v0, v139 offset:100
	v_pk_mul_f32 v[140:141], v[142:143], v[148:149]
	s_waitcnt lgkmcnt(0)
	v_pk_mul_f32 v[136:137], v[140:141], v[136:137]
	v_add_f32_e32 v126, v126, v136
	v_add_f32_e32 v126, v126, v137
	ds_bpermute_b32 v136, v0, v139 offset:104
	ds_bpermute_b32 v137, v0, v139 offset:108
	v_pk_mul_f32 v[140:141], v[146:147], v[152:153]
	;; [unrolled: 7-line block ×3, first 2 shown]
	s_waitcnt lgkmcnt(0)
	v_pk_mul_f32 v[136:137], v[140:141], v[136:137]
	v_add_f32_e32 v126, v126, v136
	v_add_f32_e32 v126, v126, v137
	ds_bpermute_b32 v136, v0, v139 offset:120
	ds_bpermute_b32 v137, v0, v139 offset:124
	v_pk_mul_f32 v[140:141], v[154:155], v[158:159] op_sel_hi:[1,0]
	v_mov_b32_e32 v141, v185
	s_waitcnt lgkmcnt(0)
	v_pk_mul_f32 v[136:137], v[140:141], v[136:137]
	v_add_f32_e32 v126, v126, v136
	v_add_f32_e32 v139, v126, v137
	s_branch .LBB199_225
.LBB199_219:                            ;   in Loop: Header=BB199_149 Depth=1
                                        ; implicit-def: $vgpr139
	s_cbranch_execz .LBB199_225
; %bb.220:                              ;   in Loop: Header=BB199_149 Depth=1
	s_load_dword s0, s[10:11], 0x0
	v_accvgpr_read_b32 v129, a95
	v_accvgpr_read_b32 v131, a93
	s_waitcnt lgkmcnt(0)
	s_cmp_lt_u32 s6, s0
	s_cselect_b32 s0, 12, 18
	s_add_u32 s0, s10, s0
	s_addc_u32 s1, s11, 0
	global_load_ushort v126, v129, s[0:1]
	v_accvgpr_read_b32 v129, a1
	s_waitcnt vmcnt(0)
	v_mad_u32_u24 v126, v129, v126, v131
	v_and_b32_e32 v129, 63, v126
	v_cmp_gt_u32_e32 vcc, 32, v129
	v_mov_b32_e32 v126, 0
	s_and_saveexec_b64 s[0:1], vcc
	s_cbranch_execz .LBB199_224
; %bb.221:                              ;   in Loop: Header=BB199_149 Depth=1
	v_add_co_u32_e32 v134, vcc, v134, v129
	v_addc_co_u32_e32 v135, vcc, 0, v135, vcc
	v_cmp_gt_i64_e32 vcc, s[12:13], v[134:135]
	v_mov_b32_e32 v126, 0
	s_and_saveexec_b64 s[26:27], vcc
	s_cbranch_execz .LBB199_223
; %bb.222:                              ;   in Loop: Header=BB199_149 Depth=1
	v_lshlrev_b64 v[134:135], 2, v[134:135]
	v_mov_b32_e32 v126, s21
	v_add_co_u32_e32 v134, vcc, s20, v134
	v_addc_co_u32_e32 v135, vcc, v126, v135, vcc
	global_load_dword v126, v[134:135], off
.LBB199_223:                            ;   in Loop: Header=BB199_149 Depth=1
	s_or_b64 exec, exec, s[26:27]
.LBB199_224:                            ;   in Loop: Header=BB199_149 Depth=1
	s_or_b64 exec, exec, s[0:1]
	v_add_co_u32_e32 v134, vcc, v128, v132
	v_addc_co_u32_e32 v135, vcc, v1, v133, vcc
	global_load_ushort v129, v[134:135], off
	v_add_co_u32_e32 v134, vcc, v130, v132
	v_addc_co_u32_e32 v135, vcc, v127, v133, vcc
	global_load_ushort v131, v[134:135], off
	;; [unrolled: 3-line block ×40, first 2 shown]
	s_waitcnt vmcnt(37)
	v_lshlrev_b32_e32 v184, 16, v136
	s_waitcnt vmcnt(36)
	v_lshlrev_b32_e32 v185, 16, v137
	;; [unrolled: 2-line block ×8, first 2 shown]
	ds_bpermute_b32 v222, v0, v126
	s_waitcnt vmcnt(28)
	v_lshlrev_b32_e32 v255, 16, v146
	s_waitcnt vmcnt(27)
	v_lshlrev_b32_e32 v187, 16, v147
	v_lshlrev_b32_e32 v129, 16, v129
	v_lshlrev_b32_e32 v131, 16, v131
	s_waitcnt vmcnt(26)
	v_lshlrev_b32_e32 v189, 16, v148
	s_waitcnt vmcnt(25)
	v_lshlrev_b32_e32 v194, 16, v149
	v_mul_f32_e32 v129, v129, v131
	s_waitcnt vmcnt(24)
	v_lshlrev_b32_e32 v196, 16, v150
	s_waitcnt lgkmcnt(0)
	v_fmac_f32_e32 v138, v129, v222
	ds_bpermute_b32 v129, v0, v126 offset:4
	s_waitcnt vmcnt(23)
	v_lshlrev_b32_e32 v198, 16, v151
	s_waitcnt vmcnt(22)
	v_lshlrev_b32_e32 v195, 16, v152
	;; [unrolled: 2-line block ×3, first 2 shown]
	v_lshlrev_b32_e32 v139, 16, v139
	s_waitcnt vmcnt(20)
	v_lshlrev_b32_e32 v197, 16, v154
	v_mul_f32_e32 v131, v184, v185
	s_waitcnt vmcnt(19)
	v_lshlrev_b32_e32 v202, 16, v155
	s_waitcnt lgkmcnt(0)
	v_fmac_f32_e32 v138, v131, v129
	v_mul_f32_e32 v129, v139, v186
	s_waitcnt vmcnt(18)
	v_lshlrev_b32_e32 v199, 16, v156
	s_waitcnt vmcnt(17)
	v_lshlrev_b32_e32 v204, 16, v157
	;; [unrolled: 2-line block ×10, first 2 shown]
	ds_bpermute_b32 v184, v0, v126 offset:8
	s_waitcnt vmcnt(8)
	v_lshlrev_b32_e32 v209, 16, v166
	v_mul_f32_e32 v131, v188, v190
	s_waitcnt lgkmcnt(0)
	v_fmac_f32_e32 v138, v129, v184
	s_waitcnt vmcnt(7)
	v_lshlrev_b32_e32 v214, 16, v167
	ds_bpermute_b32 v129, v0, v126 offset:12
	s_waitcnt vmcnt(6)
	v_lshlrev_b32_e32 v211, 16, v168
	s_waitcnt lgkmcnt(0)
	v_fmac_f32_e32 v138, v131, v129
	v_mul_f32_e32 v129, v191, v192
	v_mul_f32_e32 v131, v193, v255
	s_waitcnt vmcnt(5)
	v_lshlrev_b32_e32 v216, 16, v169
	s_waitcnt vmcnt(4)
	v_lshlrev_b32_e32 v213, 16, v170
	;; [unrolled: 2-line block ×6, first 2 shown]
	v_add_co_u32_e32 v134, vcc, v78, v132
	v_addc_co_u32_e32 v135, vcc, v79, v133, vcc
	v_add_co_u32_e32 v136, vcc, v80, v132
	v_addc_co_u32_e32 v137, vcc, v81, v133, vcc
	;; [unrolled: 2-line block ×6, first 2 shown]
	v_add_co_u32_e32 v148, vcc, v90, v132
	global_load_ushort v140, v[140:141], off
	s_nop 0
	global_load_ushort v141, v[134:135], off
	s_nop 0
	;; [unrolled: 2-line block ×3, first 2 shown]
	global_load_ushort v143, v[136:137], off
	v_addc_co_u32_e32 v149, vcc, v91, v133, vcc
	v_add_co_u32_e32 v150, vcc, v92, v132
	v_addc_co_u32_e32 v151, vcc, v93, v133, vcc
	v_add_co_u32_e32 v152, vcc, v94, v132
	;; [unrolled: 2-line block ×3, first 2 shown]
	v_addc_co_u32_e32 v155, vcc, v97, v133, vcc
	global_load_ushort v139, v[148:149], off
	s_nop 0
	global_load_ushort v144, v[144:145], off
	s_nop 0
	;; [unrolled: 2-line block ×3, first 2 shown]
	global_load_ushort v146, v[146:147], off
	v_add_co_u32_e32 v156, vcc, v98, v132
	v_addc_co_u32_e32 v157, vcc, v99, v133, vcc
	v_add_co_u32_e32 v158, vcc, v100, v132
	v_addc_co_u32_e32 v159, vcc, v101, v133, vcc
	;; [unrolled: 2-line block ×3, first 2 shown]
	v_add_co_u32_e32 v162, vcc, v104, v132
	global_load_ushort v147, v[156:157], off
	global_load_ushort v148, v[152:153], off
	;; [unrolled: 1-line block ×4, first 2 shown]
	v_addc_co_u32_e32 v163, vcc, v105, v133, vcc
	v_add_co_u32_e32 v164, vcc, v106, v132
	v_addc_co_u32_e32 v165, vcc, v107, v133, vcc
	v_add_co_u32_e32 v166, vcc, v108, v132
	;; [unrolled: 2-line block ×3, first 2 shown]
	v_addc_co_u32_e32 v169, vcc, v111, v133, vcc
	global_load_ushort v151, v[164:165], off
	global_load_ushort v152, v[160:161], off
	;; [unrolled: 1-line block ×4, first 2 shown]
	v_add_co_u32_e32 v170, vcc, v112, v132
	v_addc_co_u32_e32 v171, vcc, v113, v133, vcc
	v_add_co_u32_e32 v172, vcc, v114, v132
	v_addc_co_u32_e32 v173, vcc, v115, v133, vcc
	;; [unrolled: 2-line block ×3, first 2 shown]
	v_add_co_u32_e32 v176, vcc, v118, v132
	global_load_ushort v155, v[172:173], off
	global_load_ushort v156, v[168:169], off
	;; [unrolled: 1-line block ×4, first 2 shown]
	v_addc_co_u32_e32 v177, vcc, v119, v133, vcc
	v_add_co_u32_e32 v178, vcc, v120, v132
	v_addc_co_u32_e32 v179, vcc, v121, v133, vcc
	v_add_co_u32_e32 v180, vcc, v122, v132
	ds_bpermute_b32 v134, v0, v126 offset:16
	v_addc_co_u32_e32 v181, vcc, v123, v133, vcc
	v_add_co_u32_e32 v182, vcc, v124, v132
	v_addc_co_u32_e32 v183, vcc, v125, v133, vcc
	global_load_ushort v159, v[180:181], off
	global_load_ushort v160, v[176:177], off
	;; [unrolled: 1-line block ×4, first 2 shown]
	s_waitcnt lgkmcnt(0)
	v_fmac_f32_e32 v138, v129, v134
	ds_bpermute_b32 v129, v0, v126 offset:20
	ds_bpermute_b32 v134, v0, v126 offset:24
	;; [unrolled: 1-line block ×3, first 2 shown]
	s_waitcnt vmcnt(23)
	v_lshlrev_b32_e32 v137, 16, v140
	s_waitcnt vmcnt(22)
	v_lshlrev_b32_e32 v136, 16, v141
	s_waitcnt lgkmcnt(2)
	v_fmac_f32_e32 v138, v131, v129
	v_mul_f32_e32 v129, v187, v189
	s_waitcnt lgkmcnt(1)
	v_fmac_f32_e32 v138, v129, v134
	ds_bpermute_b32 v129, v0, v126 offset:28
	ds_bpermute_b32 v134, v0, v126 offset:32
	v_mul_f32_e32 v131, v194, v196
	s_waitcnt vmcnt(21)
	v_lshlrev_b32_e32 v141, 16, v142
	s_waitcnt vmcnt(20)
	v_lshlrev_b32_e32 v140, 16, v143
	s_waitcnt lgkmcnt(1)
	v_fmac_f32_e32 v138, v131, v129
	v_mul_f32_e32 v129, v198, v195
	s_waitcnt lgkmcnt(0)
	v_fmac_f32_e32 v138, v129, v134
	ds_bpermute_b32 v129, v0, v126 offset:36
	ds_bpermute_b32 v134, v0, v126 offset:40
	v_mul_f32_e32 v131, v200, v197
	v_pk_mul_f32 v[136:137], v[136:137], v[140:141]
	s_waitcnt lgkmcnt(1)
	v_fmac_f32_e32 v138, v131, v129
	v_mul_f32_e32 v129, v202, v199
	s_waitcnt lgkmcnt(0)
	v_fmac_f32_e32 v138, v129, v134
	ds_bpermute_b32 v129, v0, v126 offset:44
	ds_bpermute_b32 v134, v0, v126 offset:48
	v_mul_f32_e32 v131, v204, v201
	s_waitcnt lgkmcnt(1)
	v_fmac_f32_e32 v138, v131, v129
	ds_bpermute_b32 v129, v0, v126 offset:52
	v_mul_f32_e32 v131, v206, v203
	s_waitcnt lgkmcnt(1)
	v_fmac_f32_e32 v138, v131, v134
	;; [unrolled: 4-line block ×5, first 2 shown]
	v_mul_f32_e32 v129, v214, v211
	ds_bpermute_b32 v134, v0, v126 offset:68
	s_waitcnt lgkmcnt(1)
	v_fmac_f32_e32 v138, v129, v131
	ds_bpermute_b32 v129, v0, v126 offset:72
	v_mul_f32_e32 v131, v216, v213
	s_waitcnt lgkmcnt(1)
	v_fmac_f32_e32 v138, v131, v134
	v_mul_f32_e32 v131, v218, v215
	s_waitcnt lgkmcnt(0)
	v_fmac_f32_e32 v138, v131, v129
	v_mul_f32_e32 v129, v220, v217
	v_fmac_f32_e32 v138, v129, v135
	ds_bpermute_b32 v134, v0, v126 offset:80
	ds_bpermute_b32 v135, v0, v126 offset:84
	s_waitcnt lgkmcnt(0)
	v_pk_mul_f32 v[134:135], v[136:137], v[134:135]
	v_add_f32_e32 v129, v138, v134
	v_add_f32_e32 v129, v129, v135
	ds_bpermute_b32 v134, v0, v126 offset:88
	ds_bpermute_b32 v135, v0, v126 offset:92
	s_waitcnt vmcnt(19)
	v_lshlrev_b32_e32 v137, 16, v139
	s_waitcnt vmcnt(18)
	v_lshlrev_b32_e32 v136, 16, v144
	s_waitcnt vmcnt(17)
	v_lshlrev_b32_e32 v139, 16, v145
	s_waitcnt vmcnt(16)
	v_lshlrev_b32_e32 v138, 16, v146
	v_pk_mul_f32 v[136:137], v[136:137], v[138:139]
	s_waitcnt lgkmcnt(0)
	v_pk_mul_f32 v[134:135], v[136:137], v[134:135]
	v_add_f32_e32 v129, v129, v134
	v_add_f32_e32 v129, v129, v135
	ds_bpermute_b32 v134, v0, v126 offset:96
	ds_bpermute_b32 v135, v0, v126 offset:100
	s_waitcnt vmcnt(15)
	v_lshlrev_b32_e32 v137, 16, v147
	s_waitcnt vmcnt(14)
	v_lshlrev_b32_e32 v136, 16, v148
	s_waitcnt vmcnt(13)
	v_lshlrev_b32_e32 v139, 16, v149
	s_waitcnt vmcnt(12)
	v_lshlrev_b32_e32 v138, 16, v150
	v_pk_mul_f32 v[136:137], v[136:137], v[138:139]
	;; [unrolled: 15-line block ×5, first 2 shown]
	s_waitcnt lgkmcnt(0)
	v_pk_mul_f32 v[134:135], v[136:137], v[134:135]
	v_add_f32_e32 v126, v129, v134
	v_add_f32_e32 v139, v126, v135
.LBB199_225:                            ;   in Loop: Header=BB199_149 Depth=1
	v_accvgpr_read_b32 v126, a2
	v_add_co_u32_e32 v126, vcc, s7, v126
	v_accvgpr_write_b32 a2, v126
	v_mov_b32_e32 v126, s9
	v_addc_co_u32_e32 v253, vcc, v253, v126, vcc
	v_add_co_u32_e32 v2, vcc, s16, v2
	v_mov_b32_e32 v126, s17
	v_addc_co_u32_e32 v3, vcc, v3, v126, vcc
	v_add_co_u32_e32 v4, vcc, s16, v4
	v_addc_co_u32_e32 v5, vcc, v5, v126, vcc
	v_add_co_u32_e32 v6, vcc, s16, v6
	;; [unrolled: 2-line block ×63, first 2 shown]
	v_addc_co_u32_e32 v127, vcc, v127, v126, vcc
	v_accvgpr_read_b32 v134, a4
	v_add_co_u32_e32 v134, vcc, s16, v134
	v_accvgpr_read_b32 v129, a3
	v_accvgpr_write_b32 a4, v134
	v_addc_co_u32_e32 v129, vcc, v129, v126, vcc
	v_accvgpr_read_b32 v134, a6
	v_accvgpr_write_b32 a3, v129
	v_add_co_u32_e32 v134, vcc, s16, v134
	v_accvgpr_read_b32 v129, a5
	v_accvgpr_write_b32 a6, v134
	v_addc_co_u32_e32 v129, vcc, v129, v126, vcc
	v_accvgpr_read_b32 v134, a8
	v_accvgpr_write_b32 a5, v129
	v_add_co_u32_e32 v134, vcc, s16, v134
	v_accvgpr_read_b32 v129, a7
	v_accvgpr_write_b32 a8, v134
	v_addc_co_u32_e32 v129, vcc, v129, v126, vcc
	v_accvgpr_read_b32 v134, a10
	v_accvgpr_write_b32 a7, v129
	v_add_co_u32_e32 v134, vcc, s16, v134
	v_accvgpr_read_b32 v129, a9
	v_accvgpr_write_b32 a10, v134
	v_addc_co_u32_e32 v129, vcc, v129, v126, vcc
	v_accvgpr_read_b32 v134, a12
	v_accvgpr_write_b32 a9, v129
	v_add_co_u32_e32 v134, vcc, s16, v134
	v_accvgpr_read_b32 v129, a11
	v_accvgpr_write_b32 a12, v134
	v_addc_co_u32_e32 v129, vcc, v129, v126, vcc
	v_accvgpr_read_b32 v134, a14
	v_accvgpr_write_b32 a11, v129
	v_add_co_u32_e32 v134, vcc, s16, v134
	v_accvgpr_read_b32 v129, a13
	v_accvgpr_write_b32 a14, v134
	v_addc_co_u32_e32 v129, vcc, v129, v126, vcc
	v_accvgpr_read_b32 v134, a16
	v_accvgpr_write_b32 a13, v129
	v_add_co_u32_e32 v134, vcc, s16, v134
	v_accvgpr_read_b32 v129, a15
	v_accvgpr_write_b32 a16, v134
	v_addc_co_u32_e32 v129, vcc, v129, v126, vcc
	v_accvgpr_read_b32 v134, a18
	v_accvgpr_write_b32 a15, v129
	v_add_co_u32_e32 v134, vcc, s16, v134
	v_accvgpr_read_b32 v129, a17
	v_accvgpr_write_b32 a18, v134
	v_addc_co_u32_e32 v129, vcc, v129, v126, vcc
	v_accvgpr_read_b32 v134, a20
	v_accvgpr_write_b32 a17, v129
	v_add_co_u32_e32 v134, vcc, s16, v134
	v_accvgpr_read_b32 v129, a19
	v_accvgpr_write_b32 a20, v134
	v_addc_co_u32_e32 v129, vcc, v129, v126, vcc
	v_accvgpr_read_b32 v134, a22
	v_accvgpr_write_b32 a19, v129
	v_add_co_u32_e32 v134, vcc, s16, v134
	v_accvgpr_read_b32 v129, a21
	v_accvgpr_write_b32 a22, v134
	v_addc_co_u32_e32 v129, vcc, v129, v126, vcc
	v_accvgpr_read_b32 v134, a24
	v_accvgpr_write_b32 a21, v129
	v_add_co_u32_e32 v134, vcc, s16, v134
	v_accvgpr_read_b32 v129, a23
	v_accvgpr_write_b32 a24, v134
	v_addc_co_u32_e32 v129, vcc, v129, v126, vcc
	v_accvgpr_read_b32 v134, a26
	v_accvgpr_write_b32 a23, v129
	v_add_co_u32_e32 v134, vcc, s16, v134
	v_accvgpr_read_b32 v129, a25
	v_accvgpr_write_b32 a26, v134
	v_addc_co_u32_e32 v129, vcc, v129, v126, vcc
	v_accvgpr_read_b32 v134, a28
	v_accvgpr_write_b32 a25, v129
	v_add_co_u32_e32 v134, vcc, s16, v134
	v_accvgpr_read_b32 v129, a27
	v_accvgpr_write_b32 a28, v134
	v_addc_co_u32_e32 v129, vcc, v129, v126, vcc
	v_accvgpr_read_b32 v134, a30
	v_accvgpr_write_b32 a27, v129
	v_add_co_u32_e32 v134, vcc, s16, v134
	v_accvgpr_read_b32 v129, a29
	v_accvgpr_write_b32 a30, v134
	v_addc_co_u32_e32 v129, vcc, v129, v126, vcc
	v_accvgpr_read_b32 v134, a32
	v_accvgpr_write_b32 a29, v129
	v_add_co_u32_e32 v134, vcc, s16, v134
	v_accvgpr_read_b32 v129, a31
	v_accvgpr_write_b32 a32, v134
	v_addc_co_u32_e32 v129, vcc, v129, v126, vcc
	v_accvgpr_read_b32 v134, a34
	v_accvgpr_write_b32 a31, v129
	v_add_co_u32_e32 v134, vcc, s16, v134
	v_accvgpr_read_b32 v129, a33
	v_accvgpr_write_b32 a34, v134
	v_addc_co_u32_e32 v129, vcc, v129, v126, vcc
	v_accvgpr_read_b32 v134, a36
	v_accvgpr_write_b32 a33, v129
	v_add_co_u32_e32 v134, vcc, s16, v134
	v_accvgpr_read_b32 v129, a35
	v_accvgpr_write_b32 a36, v134
	v_addc_co_u32_e32 v129, vcc, v129, v126, vcc
	v_accvgpr_read_b32 v134, a38
	v_accvgpr_write_b32 a35, v129
	v_add_co_u32_e32 v134, vcc, s16, v134
	v_accvgpr_read_b32 v129, a37
	v_accvgpr_write_b32 a38, v134
	v_addc_co_u32_e32 v129, vcc, v129, v126, vcc
	v_accvgpr_read_b32 v134, a40
	v_accvgpr_write_b32 a37, v129
	v_add_co_u32_e32 v134, vcc, s16, v134
	v_accvgpr_read_b32 v129, a39
	v_accvgpr_write_b32 a40, v134
	v_addc_co_u32_e32 v129, vcc, v129, v126, vcc
	v_accvgpr_read_b32 v134, a42
	v_accvgpr_write_b32 a39, v129
	v_add_co_u32_e32 v134, vcc, s16, v134
	v_accvgpr_read_b32 v129, a41
	v_accvgpr_write_b32 a42, v134
	v_addc_co_u32_e32 v129, vcc, v129, v126, vcc
	v_accvgpr_read_b32 v134, a44
	v_accvgpr_write_b32 a41, v129
	v_add_co_u32_e32 v134, vcc, s16, v134
	v_accvgpr_read_b32 v129, a43
	v_accvgpr_write_b32 a44, v134
	v_addc_co_u32_e32 v129, vcc, v129, v126, vcc
	v_accvgpr_read_b32 v134, a46
	v_accvgpr_write_b32 a43, v129
	v_add_co_u32_e32 v134, vcc, s16, v134
	v_accvgpr_read_b32 v129, a45
	v_accvgpr_write_b32 a46, v134
	v_addc_co_u32_e32 v129, vcc, v129, v126, vcc
	v_accvgpr_read_b32 v134, a48
	v_accvgpr_write_b32 a45, v129
	v_add_co_u32_e32 v134, vcc, s16, v134
	v_accvgpr_read_b32 v129, a47
	v_accvgpr_write_b32 a48, v134
	v_addc_co_u32_e32 v129, vcc, v129, v126, vcc
	v_accvgpr_read_b32 v134, a50
	v_accvgpr_write_b32 a47, v129
	v_add_co_u32_e32 v134, vcc, s16, v134
	v_accvgpr_read_b32 v129, a49
	v_accvgpr_write_b32 a50, v134
	v_addc_co_u32_e32 v129, vcc, v129, v126, vcc
	v_accvgpr_read_b32 v134, a52
	v_accvgpr_write_b32 a49, v129
	v_add_co_u32_e32 v134, vcc, s16, v134
	v_accvgpr_read_b32 v129, a51
	v_accvgpr_write_b32 a52, v134
	v_addc_co_u32_e32 v129, vcc, v129, v126, vcc
	v_accvgpr_read_b32 v134, a54
	v_accvgpr_write_b32 a51, v129
	v_add_co_u32_e32 v134, vcc, s16, v134
	v_accvgpr_read_b32 v129, a53
	v_accvgpr_write_b32 a54, v134
	v_addc_co_u32_e32 v129, vcc, v129, v126, vcc
	v_accvgpr_read_b32 v134, a56
	v_accvgpr_write_b32 a53, v129
	v_add_co_u32_e32 v134, vcc, s16, v134
	v_accvgpr_read_b32 v129, a55
	v_accvgpr_write_b32 a56, v134
	v_addc_co_u32_e32 v129, vcc, v129, v126, vcc
	v_accvgpr_read_b32 v134, a58
	v_accvgpr_write_b32 a55, v129
	v_add_co_u32_e32 v134, vcc, s16, v134
	v_accvgpr_read_b32 v129, a57
	v_accvgpr_write_b32 a58, v134
	v_addc_co_u32_e32 v129, vcc, v129, v126, vcc
	v_accvgpr_read_b32 v134, a60
	v_accvgpr_write_b32 a57, v129
	v_add_co_u32_e32 v134, vcc, s16, v134
	v_accvgpr_read_b32 v129, a59
	v_accvgpr_write_b32 a60, v134
	v_addc_co_u32_e32 v129, vcc, v129, v126, vcc
	v_accvgpr_read_b32 v134, a62
	v_accvgpr_write_b32 a59, v129
	v_add_co_u32_e32 v134, vcc, s16, v134
	v_accvgpr_read_b32 v129, a61
	v_accvgpr_write_b32 a62, v134
	v_addc_co_u32_e32 v129, vcc, v129, v126, vcc
	v_accvgpr_read_b32 v134, a64
	v_accvgpr_write_b32 a61, v129
	v_add_co_u32_e32 v134, vcc, s16, v134
	v_accvgpr_read_b32 v129, a63
	v_accvgpr_write_b32 a64, v134
	v_addc_co_u32_e32 v129, vcc, v129, v126, vcc
	v_accvgpr_read_b32 v134, a66
	v_accvgpr_write_b32 a63, v129
	v_add_co_u32_e32 v134, vcc, s16, v134
	v_accvgpr_read_b32 v129, a65
	v_accvgpr_write_b32 a66, v134
	v_addc_co_u32_e32 v129, vcc, v129, v126, vcc
	v_accvgpr_read_b32 v134, a68
	v_accvgpr_write_b32 a65, v129
	v_add_co_u32_e32 v134, vcc, s16, v134
	v_accvgpr_read_b32 v129, a67
	v_accvgpr_write_b32 a68, v134
	v_addc_co_u32_e32 v129, vcc, v129, v126, vcc
	v_accvgpr_read_b32 v134, a70
	v_accvgpr_write_b32 a67, v129
	v_add_co_u32_e32 v134, vcc, s16, v134
	v_accvgpr_read_b32 v129, a69
	v_accvgpr_write_b32 a70, v134
	v_addc_co_u32_e32 v129, vcc, v129, v126, vcc
	v_accvgpr_read_b32 v134, a72
	v_accvgpr_write_b32 a69, v129
	v_add_co_u32_e32 v134, vcc, s16, v134
	v_accvgpr_read_b32 v129, a71
	v_accvgpr_write_b32 a72, v134
	v_addc_co_u32_e32 v129, vcc, v129, v126, vcc
	v_accvgpr_read_b32 v134, a74
	v_accvgpr_write_b32 a71, v129
	v_add_co_u32_e32 v134, vcc, s16, v134
	v_accvgpr_read_b32 v129, a73
	v_accvgpr_write_b32 a74, v134
	v_addc_co_u32_e32 v129, vcc, v129, v126, vcc
	v_accvgpr_read_b32 v134, a76
	v_accvgpr_write_b32 a73, v129
	v_add_co_u32_e32 v134, vcc, s16, v134
	v_accvgpr_read_b32 v129, a75
	v_accvgpr_write_b32 a76, v134
	v_addc_co_u32_e32 v129, vcc, v129, v126, vcc
	v_accvgpr_read_b32 v134, a78
	v_accvgpr_write_b32 a75, v129
	v_add_co_u32_e32 v134, vcc, s16, v134
	v_accvgpr_read_b32 v129, a77
	v_accvgpr_write_b32 a78, v134
	v_addc_co_u32_e32 v129, vcc, v129, v126, vcc
	v_accvgpr_read_b32 v134, a80
	v_accvgpr_write_b32 a77, v129
	v_add_co_u32_e32 v134, vcc, s16, v134
	v_accvgpr_read_b32 v129, a79
	v_accvgpr_write_b32 a80, v134
	v_addc_co_u32_e32 v129, vcc, v129, v126, vcc
	v_accvgpr_read_b32 v134, a82
	v_accvgpr_write_b32 a79, v129
	v_add_co_u32_e32 v134, vcc, s16, v134
	v_accvgpr_read_b32 v129, a81
	v_accvgpr_write_b32 a82, v134
	v_addc_co_u32_e32 v129, vcc, v129, v126, vcc
	v_accvgpr_read_b32 v134, a84
	v_accvgpr_write_b32 a81, v129
	v_add_co_u32_e32 v134, vcc, s16, v134
	v_accvgpr_read_b32 v129, a83
	v_accvgpr_write_b32 a84, v134
	v_addc_co_u32_e32 v129, vcc, v129, v126, vcc
	v_accvgpr_read_b32 v134, a86
	v_accvgpr_write_b32 a83, v129
	v_add_co_u32_e32 v134, vcc, s16, v134
	v_accvgpr_read_b32 v129, a85
	v_accvgpr_write_b32 a86, v134
	v_addc_co_u32_e32 v129, vcc, v129, v126, vcc
	v_accvgpr_read_b32 v134, a88
	v_accvgpr_write_b32 a85, v129
	v_add_co_u32_e32 v134, vcc, s16, v134
	v_accvgpr_read_b32 v129, a87
	v_accvgpr_write_b32 a88, v134
	v_addc_co_u32_e32 v129, vcc, v129, v126, vcc
	v_accvgpr_read_b32 v134, a90
	v_accvgpr_write_b32 a87, v129
	v_add_co_u32_e32 v134, vcc, s16, v134
	v_accvgpr_read_b32 v129, a89
	v_accvgpr_write_b32 a90, v134
	v_addc_co_u32_e32 v129, vcc, v129, v126, vcc
	v_accvgpr_read_b32 v134, a92
	v_accvgpr_write_b32 a89, v129
	v_add_co_u32_e32 v134, vcc, s16, v134
	v_accvgpr_read_b32 v129, a91
	v_accvgpr_write_b32 a92, v134
	v_addc_co_u32_e32 v129, vcc, v129, v126, vcc
	v_accvgpr_read_b32 v134, a94
	v_add_co_u32_e32 v134, vcc, s16, v134
	v_addc_co_u32_e32 v219, vcc, v219, v126, vcc
	v_add_co_u32_e32 v224, vcc, s16, v224
	v_addc_co_u32_e32 v221, vcc, v221, v126, vcc
	;; [unrolled: 2-line block ×16, first 2 shown]
	s_add_u32 s24, s24, s7
	v_add_co_u32_e32 v254, vcc, s16, v254
	s_addc_u32 s25, s25, 0
	v_accvgpr_write_b32 a94, v134
	v_addc_co_u32_e32 v251, vcc, v251, v126, vcc
	v_pk_mov_b32 v[134:135], s[12:13], s[12:13] op_sel:[0,1]
	s_add_u32 s18, s18, s7
	v_cmp_ge_i64_e32 vcc, s[24:25], v[134:135]
	s_addc_u32 s19, s19, 0
	s_cbranch_vccnz .LBB199_227
; %bb.226:                              ;   in Loop: Header=BB199_149 Depth=1
	v_accvgpr_write_b32 a91, v129
	v_mov_b32_e32 v138, v139
	s_branch .LBB199_149
.LBB199_227:
	v_accvgpr_read_b32 v206, a0
.LBB199_228:
	s_mov_b32 s7, 0
	s_lshl_b64 s[0:1], s[6:7], 5
	v_and_b32_e32 v0, 0x3ff, v206
	v_or_b32_e32 v2, s0, v0
	v_mov_b32_e32 v3, s1
	s_waitcnt lgkmcnt(0)
	s_cmp_lg_u64 s[2:3], 0
	v_cmp_gt_i64_e32 vcc, s[14:15], v[2:3]
	s_cselect_b64 s[0:1], -1, 0
	s_and_b64 s[0:1], vcc, s[0:1]
	s_and_saveexec_b64 s[6:7], s[0:1]
	s_cbranch_execz .LBB199_230
; %bb.229:
	s_load_dword s0, s[4:5], 0x4c
	v_bfe_u32 v0, v206, 10, 10
	v_mov_b32_e32 v1, 0
	v_mov_b32_e32 v4, s8
	v_mov_b32_e32 v5, 0x7fc0
	s_waitcnt lgkmcnt(0)
	s_lshr_b32 s0, s0, 16
	v_mad_u64_u32 v[0:1], s[0:1], s0, v4, v[0:1]
	v_bfe_u32 v4, v139, 16, 1
	s_movk_i32 s0, 0x7fff
	v_add3_u32 v4, v139, v4, s0
	v_lshrrev_b32_e32 v4, 16, v4
	v_cmp_o_f32_e32 vcc, v139, v139
	v_cndmask_b32_e32 v4, v5, v4, vcc
	v_mul_lo_u32 v5, v1, s14
	v_mul_lo_u32 v6, v0, s15
	v_mad_u64_u32 v[0:1], s[0:1], v0, s14, 0
	v_add3_u32 v1, v1, v6, v5
	v_lshlrev_b64 v[0:1], 1, v[0:1]
	v_mov_b32_e32 v5, s3
	v_add_co_u32_e32 v6, vcc, s2, v0
	v_addc_co_u32_e32 v5, vcc, v5, v1, vcc
	v_lshlrev_b64 v[0:1], 1, v[2:3]
	v_add_co_u32_e32 v0, vcc, v6, v0
	v_addc_co_u32_e32 v1, vcc, v5, v1, vcc
	global_store_short v[0:1], v4, off
.LBB199_230:
	s_endpgm
	.section	.rodata,"a",@progbits
	.p2align	6, 0x0
	.amdhsa_kernel _ZN2at6native12_GLOBAL__N_135GammaBetaBackwardCUDAKernelTemplateIN3c108BFloat16EfLj32ELj1ELj32ELb1ELb0ELb1EEEvllPKT_S7_PKT0_SA_PS5_SB_
		.amdhsa_group_segment_fixed_size 0
		.amdhsa_private_segment_fixed_size 0
		.amdhsa_kernarg_size 320
		.amdhsa_user_sgpr_count 6
		.amdhsa_user_sgpr_private_segment_buffer 1
		.amdhsa_user_sgpr_dispatch_ptr 0
		.amdhsa_user_sgpr_queue_ptr 0
		.amdhsa_user_sgpr_kernarg_segment_ptr 1
		.amdhsa_user_sgpr_dispatch_id 0
		.amdhsa_user_sgpr_flat_scratch_init 0
		.amdhsa_user_sgpr_kernarg_preload_length 0
		.amdhsa_user_sgpr_kernarg_preload_offset 0
		.amdhsa_user_sgpr_private_segment_size 0
		.amdhsa_uses_dynamic_stack 0
		.amdhsa_system_sgpr_private_segment_wavefront_offset 0
		.amdhsa_system_sgpr_workgroup_id_x 1
		.amdhsa_system_sgpr_workgroup_id_y 1
		.amdhsa_system_sgpr_workgroup_id_z 0
		.amdhsa_system_sgpr_workgroup_info 0
		.amdhsa_system_vgpr_workitem_id 1
		.amdhsa_next_free_vgpr 352
		.amdhsa_next_free_sgpr 36
		.amdhsa_accum_offset 256
		.amdhsa_reserve_vcc 1
		.amdhsa_reserve_flat_scratch 0
		.amdhsa_float_round_mode_32 0
		.amdhsa_float_round_mode_16_64 0
		.amdhsa_float_denorm_mode_32 3
		.amdhsa_float_denorm_mode_16_64 3
		.amdhsa_dx10_clamp 1
		.amdhsa_ieee_mode 1
		.amdhsa_fp16_overflow 0
		.amdhsa_tg_split 0
		.amdhsa_exception_fp_ieee_invalid_op 0
		.amdhsa_exception_fp_denorm_src 0
		.amdhsa_exception_fp_ieee_div_zero 0
		.amdhsa_exception_fp_ieee_overflow 0
		.amdhsa_exception_fp_ieee_underflow 0
		.amdhsa_exception_fp_ieee_inexact 0
		.amdhsa_exception_int_div_zero 0
	.end_amdhsa_kernel
	.section	.text._ZN2at6native12_GLOBAL__N_135GammaBetaBackwardCUDAKernelTemplateIN3c108BFloat16EfLj32ELj1ELj32ELb1ELb0ELb1EEEvllPKT_S7_PKT0_SA_PS5_SB_,"axG",@progbits,_ZN2at6native12_GLOBAL__N_135GammaBetaBackwardCUDAKernelTemplateIN3c108BFloat16EfLj32ELj1ELj32ELb1ELb0ELb1EEEvllPKT_S7_PKT0_SA_PS5_SB_,comdat
.Lfunc_end199:
	.size	_ZN2at6native12_GLOBAL__N_135GammaBetaBackwardCUDAKernelTemplateIN3c108BFloat16EfLj32ELj1ELj32ELb1ELb0ELb1EEEvllPKT_S7_PKT0_SA_PS5_SB_, .Lfunc_end199-_ZN2at6native12_GLOBAL__N_135GammaBetaBackwardCUDAKernelTemplateIN3c108BFloat16EfLj32ELj1ELj32ELb1ELb0ELb1EEEvllPKT_S7_PKT0_SA_PS5_SB_
                                        ; -- End function
	.section	.AMDGPU.csdata,"",@progbits
; Kernel info:
; codeLenInByte = 24148
; NumSgprs: 40
; NumVgprs: 256
; NumAgprs: 96
; TotalNumVgprs: 352
; ScratchSize: 0
; MemoryBound: 0
; FloatMode: 240
; IeeeMode: 1
; LDSByteSize: 0 bytes/workgroup (compile time only)
; SGPRBlocks: 4
; VGPRBlocks: 43
; NumSGPRsForWavesPerEU: 40
; NumVGPRsForWavesPerEU: 352
; AccumOffset: 256
; Occupancy: 1
; WaveLimiterHint : 0
; COMPUTE_PGM_RSRC2:SCRATCH_EN: 0
; COMPUTE_PGM_RSRC2:USER_SGPR: 6
; COMPUTE_PGM_RSRC2:TRAP_HANDLER: 0
; COMPUTE_PGM_RSRC2:TGID_X_EN: 1
; COMPUTE_PGM_RSRC2:TGID_Y_EN: 1
; COMPUTE_PGM_RSRC2:TGID_Z_EN: 0
; COMPUTE_PGM_RSRC2:TIDIG_COMP_CNT: 1
; COMPUTE_PGM_RSRC3_GFX90A:ACCUM_OFFSET: 63
; COMPUTE_PGM_RSRC3_GFX90A:TG_SPLIT: 0
	.section	.text._ZN2at6native12_GLOBAL__N_135GammaBetaBackwardCUDAKernelTemplateIN3c108BFloat16EfLj32ELj1ELj8ELb1ELb1ELb1EEEvllPKT_S7_PKT0_SA_PS5_SB_,"axG",@progbits,_ZN2at6native12_GLOBAL__N_135GammaBetaBackwardCUDAKernelTemplateIN3c108BFloat16EfLj32ELj1ELj8ELb1ELb1ELb1EEEvllPKT_S7_PKT0_SA_PS5_SB_,comdat
	.globl	_ZN2at6native12_GLOBAL__N_135GammaBetaBackwardCUDAKernelTemplateIN3c108BFloat16EfLj32ELj1ELj8ELb1ELb1ELb1EEEvllPKT_S7_PKT0_SA_PS5_SB_ ; -- Begin function _ZN2at6native12_GLOBAL__N_135GammaBetaBackwardCUDAKernelTemplateIN3c108BFloat16EfLj32ELj1ELj8ELb1ELb1ELb1EEEvllPKT_S7_PKT0_SA_PS5_SB_
	.p2align	8
	.type	_ZN2at6native12_GLOBAL__N_135GammaBetaBackwardCUDAKernelTemplateIN3c108BFloat16EfLj32ELj1ELj8ELb1ELb1ELb1EEEvllPKT_S7_PKT0_SA_PS5_SB_,@function
_ZN2at6native12_GLOBAL__N_135GammaBetaBackwardCUDAKernelTemplateIN3c108BFloat16EfLj32ELj1ELj8ELb1ELb1ELb1EEEvllPKT_S7_PKT0_SA_PS5_SB_: ; @_ZN2at6native12_GLOBAL__N_135GammaBetaBackwardCUDAKernelTemplateIN3c108BFloat16EfLj32ELj1ELj8ELb1ELb1ELb1EEEvllPKT_S7_PKT0_SA_PS5_SB_
; %bb.0:
	s_load_dwordx4 s[8:11], s[4:5], 0x0
	s_load_dwordx2 s[16:17], s[4:5], 0x30
	s_lshl_b32 s18, s7, 3
	s_mov_b32 s19, 0
	s_mov_b32 s2, s7
	s_waitcnt lgkmcnt(0)
	v_pk_mov_b32 v[2:3], s[8:9], s[8:9] op_sel:[0,1]
	v_cmp_ge_i64_e32 vcc, s[18:19], v[2:3]
	v_mov_b32_e32 v5, 0
	v_bfe_u32 v2, v0, 10, 10
	s_cbranch_vccnz .LBB200_7
; %bb.1:
	s_load_dword s0, s[4:5], 0x4c
	s_load_dword s3, s[4:5], 0x44
	s_load_dwordx4 s[12:15], s[4:5], 0x10
	s_load_dwordx2 s[22:23], s[4:5], 0x28
	v_and_b32_e32 v1, 0x3ff, v0
	s_waitcnt lgkmcnt(0)
	s_and_b32 s0, s0, 0xffff
	v_mad_u32_u24 v3, v2, s0, v1
	v_lshl_or_b32 v4, s6, 5, v1
	v_mbcnt_lo_u32_b32 v1, -1, 0
	v_mbcnt_hi_u32_b32 v1, -1, v1
	v_lshlrev_b32_e32 v7, 3, v2
	v_lshlrev_b32_e32 v1, 2, v1
	v_and_b32_e32 v6, 63, v3
	v_and_b32_e32 v3, 0x100, v1
	v_mov_b32_e32 v1, s19
	v_add_co_u32_e32 v10, vcc, s18, v7
	v_addc_co_u32_e32 v1, vcc, 0, v1, vcc
	v_cmp_gt_u32_e64 s[0:1], 8, v6
	v_add_co_u32_e32 v6, vcc, v10, v6
	v_addc_co_u32_e32 v7, vcc, 0, v1, vcc
	v_lshlrev_b64 v[8:9], 2, v[6:7]
	v_mov_b32_e32 v11, s23
	v_add_co_u32_e32 v8, vcc, s22, v8
	s_lshl_b32 s20, s3, 3
	v_addc_co_u32_e32 v9, vcc, v11, v9, vcc
	v_mul_lo_u32 v19, s11, v10
	v_mul_lo_u32 v1, s10, v1
	v_mad_u64_u32 v[10:11], s[24:25], s10, v10, 0
	v_mov_b32_e32 v5, 0
	v_add3_u32 v11, v11, v1, v19
	s_mul_i32 s3, s11, s20
	s_mul_hi_u32 s7, s10, s20
	s_mov_b32 s21, s19
	v_lshlrev_b64 v[10:11], 1, v[10:11]
	v_lshlrev_b64 v[20:21], 1, v[4:5]
	s_add_i32 s25, s7, s3
	s_mul_i32 s24, s10, s20
	s_lshl_b64 s[22:23], s[20:21], 2
	v_add_co_u32_e32 v4, vcc, v10, v20
	s_lshl_b64 s[24:25], s[24:25], 1
	s_lshl_b64 s[26:27], s[10:11], 1
	v_or_b32_e32 v12, 4, v3
	v_or_b32_e32 v13, 8, v3
	v_or_b32_e32 v14, 12, v3
	v_or_b32_e32 v15, 16, v3
	v_or_b32_e32 v16, 20, v3
	v_or_b32_e32 v17, 24, v3
	v_or_b32_e32 v18, 28, v3
	v_addc_co_u32_e32 v1, vcc, v11, v21, vcc
	v_mov_b32_e32 v19, s13
	v_mov_b32_e32 v20, s15
	;; [unrolled: 1-line block ×6, first 2 shown]
	v_pk_mov_b32 v[10:11], s[8:9], s[8:9] op_sel:[0,1]
	s_branch .LBB200_4
.LBB200_2:                              ;   in Loop: Header=BB200_4 Depth=1
	s_or_b64 exec, exec, s[30:31]
.LBB200_3:                              ;   in Loop: Header=BB200_4 Depth=1
	s_or_b64 exec, exec, s[28:29]
	v_add_co_u32_e32 v26, vcc, s12, v4
	v_addc_co_u32_e32 v27, vcc, v19, v1, vcc
	v_add_co_u32_e32 v28, vcc, s14, v4
	v_addc_co_u32_e32 v29, vcc, v20, v1, vcc
	v_add_co_u32_e32 v30, vcc, s26, v26
	v_addc_co_u32_e32 v31, vcc, v27, v21, vcc
	v_add_co_u32_e32 v32, vcc, s26, v28
	v_addc_co_u32_e32 v33, vcc, v29, v21, vcc
	v_add_co_u32_e32 v34, vcc, s26, v30
	v_addc_co_u32_e32 v35, vcc, v31, v21, vcc
	v_add_co_u32_e32 v36, vcc, s26, v32
	global_load_ushort v48, v[30:31], off
	global_load_ushort v49, v[26:27], off
	;; [unrolled: 1-line block ×4, first 2 shown]
	v_addc_co_u32_e32 v37, vcc, v33, v21, vcc
	v_add_co_u32_e32 v38, vcc, s26, v34
	v_addc_co_u32_e32 v39, vcc, v35, v21, vcc
	v_add_co_u32_e32 v40, vcc, s26, v36
	;; [unrolled: 2-line block ×3, first 2 shown]
	v_addc_co_u32_e32 v43, vcc, v39, v21, vcc
	global_load_ushort v52, v[34:35], off
	global_load_ushort v53, v[38:39], off
	;; [unrolled: 1-line block ×4, first 2 shown]
	v_add_co_u32_e32 v44, vcc, s26, v40
	v_addc_co_u32_e32 v45, vcc, v41, v21, vcc
	v_add_co_u32_e32 v46, vcc, s26, v42
	v_addc_co_u32_e32 v47, vcc, v43, v21, vcc
	;; [unrolled: 2-line block ×3, first 2 shown]
	v_add_co_u32_e32 v28, vcc, s26, v46
	global_load_ushort v34, v[46:47], off
	global_load_ushort v35, v[42:43], off
	;; [unrolled: 1-line block ×4, first 2 shown]
	v_addc_co_u32_e32 v29, vcc, v47, v21, vcc
	v_add_co_u32_e32 v30, vcc, s26, v26
	v_addc_co_u32_e32 v31, vcc, v27, v21, vcc
	v_add_co_u32_e32 v26, vcc, s26, v28
	;; [unrolled: 2-line block ×3, first 2 shown]
	v_addc_co_u32_e32 v33, vcc, v31, v21, vcc
	global_load_ushort v38, v[28:29], off
	global_load_ushort v39, v[26:27], off
	;; [unrolled: 1-line block ×4, first 2 shown]
	s_waitcnt vmcnt(16)
	ds_bpermute_b32 v26, v3, v25
	ds_bpermute_b32 v27, v12, v25
	v_add_co_u32_e32 v8, vcc, s22, v8
	v_addc_co_u32_e32 v9, vcc, v9, v22, vcc
	v_add_co_u32_e32 v6, vcc, s20, v6
	v_addc_co_u32_e32 v7, vcc, v7, v23, vcc
	s_add_u32 s18, s18, s20
	v_add_co_u32_e32 v4, vcc, s24, v4
	s_addc_u32 s19, s19, 0
	v_addc_co_u32_e32 v1, vcc, v1, v24, vcc
	v_cmp_lt_i64_e32 vcc, s[18:19], v[10:11]
	s_and_b64 vcc, exec, vcc
	s_waitcnt vmcnt(15)
	v_lshlrev_b32_e32 v29, 16, v48
	s_waitcnt vmcnt(14)
	v_lshlrev_b32_e32 v28, 16, v49
	s_waitcnt vmcnt(13)
	v_lshlrev_b32_e32 v31, 16, v50
	s_waitcnt vmcnt(12)
	v_lshlrev_b32_e32 v30, 16, v51
	v_pk_mul_f32 v[28:29], v[28:29], v[30:31]
	s_waitcnt lgkmcnt(0)
	v_pk_mul_f32 v[26:27], v[28:29], v[26:27]
	v_add_f32_e32 v5, v5, v26
	v_add_f32_e32 v5, v5, v27
	ds_bpermute_b32 v26, v13, v25
	ds_bpermute_b32 v27, v14, v25
	s_waitcnt vmcnt(11)
	v_lshlrev_b32_e32 v28, 16, v52
	s_waitcnt vmcnt(10)
	v_lshlrev_b32_e32 v29, 16, v53
	s_waitcnt vmcnt(9)
	v_lshlrev_b32_e32 v30, 16, v54
	s_waitcnt vmcnt(8)
	v_lshlrev_b32_e32 v31, 16, v55
	v_pk_mul_f32 v[28:29], v[28:29], v[30:31]
	s_waitcnt lgkmcnt(0)
	v_pk_mul_f32 v[26:27], v[28:29], v[26:27]
	v_add_f32_e32 v5, v5, v26
	v_add_f32_e32 v5, v5, v27
	ds_bpermute_b32 v26, v15, v25
	ds_bpermute_b32 v27, v16, v25
	;; [unrolled: 15-line block ×3, first 2 shown]
	s_waitcnt vmcnt(3)
	v_lshlrev_b32_e32 v28, 16, v38
	s_waitcnt vmcnt(2)
	v_lshlrev_b32_e32 v29, 16, v39
	s_waitcnt vmcnt(1)
	v_lshlrev_b32_e32 v30, 16, v40
	s_waitcnt vmcnt(0)
	v_lshlrev_b32_e32 v31, 16, v41
	v_pk_mul_f32 v[28:29], v[28:29], v[30:31]
	s_waitcnt lgkmcnt(0)
	v_pk_mul_f32 v[26:27], v[28:29], v[26:27]
	v_add_f32_e32 v5, v5, v26
	v_add_f32_e32 v5, v5, v27
	s_cbranch_vccz .LBB200_7
.LBB200_4:                              ; =>This Inner Loop Header: Depth=1
	v_mov_b32_e32 v25, 0
	s_and_saveexec_b64 s[28:29], s[0:1]
	s_cbranch_execz .LBB200_3
; %bb.5:                                ;   in Loop: Header=BB200_4 Depth=1
	v_cmp_gt_i64_e32 vcc, s[8:9], v[6:7]
	v_mov_b32_e32 v25, 0
	s_and_saveexec_b64 s[30:31], vcc
	s_cbranch_execz .LBB200_2
; %bb.6:                                ;   in Loop: Header=BB200_4 Depth=1
	global_load_dword v25, v[8:9], off
	s_branch .LBB200_2
.LBB200_7:
	s_cmp_eq_u64 s[16:17], 0
	s_cbranch_scc1 .LBB200_9
; %bb.8:
	s_load_dword s0, s[4:5], 0x4c
	v_mov_b32_e32 v3, 0
	v_mov_b32_e32 v1, s2
	;; [unrolled: 1-line block ×3, first 2 shown]
	v_cmp_o_f32_e32 vcc, v5, v5
	s_waitcnt lgkmcnt(0)
	s_lshr_b32 s0, s0, 16
	v_mad_u64_u32 v[2:3], s[0:1], s0, v1, v[2:3]
	v_bfe_u32 v1, v5, 16, 1
	s_movk_i32 s0, 0x7fff
	v_add3_u32 v1, v5, v1, s0
	v_lshrrev_b32_e32 v1, 16, v1
	s_mov_b32 s7, 0
	v_cndmask_b32_e32 v4, v4, v1, vcc
	v_mul_lo_u32 v1, v3, s10
	v_mul_lo_u32 v5, v2, s11
	v_mad_u64_u32 v[2:3], s[0:1], v2, s10, 0
	s_lshl_b64 s[0:1], s[6:7], 6
	v_add3_u32 v3, v3, v5, v1
	s_add_u32 s0, s0, s16
	v_lshlrev_b64 v[2:3], 1, v[2:3]
	s_addc_u32 s1, s1, s17
	v_mov_b32_e32 v1, s1
	v_add_co_u32_e32 v2, vcc, s0, v2
	v_and_b32_e32 v0, 0x3ff, v0
	v_addc_co_u32_e32 v1, vcc, v1, v3, vcc
	v_lshlrev_b32_e32 v0, 1, v0
	v_add_co_u32_e32 v0, vcc, v2, v0
	v_addc_co_u32_e32 v1, vcc, 0, v1, vcc
	global_store_short v[0:1], v4, off
.LBB200_9:
	s_endpgm
	.section	.rodata,"a",@progbits
	.p2align	6, 0x0
	.amdhsa_kernel _ZN2at6native12_GLOBAL__N_135GammaBetaBackwardCUDAKernelTemplateIN3c108BFloat16EfLj32ELj1ELj8ELb1ELb1ELb1EEEvllPKT_S7_PKT0_SA_PS5_SB_
		.amdhsa_group_segment_fixed_size 0
		.amdhsa_private_segment_fixed_size 0
		.amdhsa_kernarg_size 320
		.amdhsa_user_sgpr_count 6
		.amdhsa_user_sgpr_private_segment_buffer 1
		.amdhsa_user_sgpr_dispatch_ptr 0
		.amdhsa_user_sgpr_queue_ptr 0
		.amdhsa_user_sgpr_kernarg_segment_ptr 1
		.amdhsa_user_sgpr_dispatch_id 0
		.amdhsa_user_sgpr_flat_scratch_init 0
		.amdhsa_user_sgpr_kernarg_preload_length 0
		.amdhsa_user_sgpr_kernarg_preload_offset 0
		.amdhsa_user_sgpr_private_segment_size 0
		.amdhsa_uses_dynamic_stack 0
		.amdhsa_system_sgpr_private_segment_wavefront_offset 0
		.amdhsa_system_sgpr_workgroup_id_x 1
		.amdhsa_system_sgpr_workgroup_id_y 1
		.amdhsa_system_sgpr_workgroup_id_z 0
		.amdhsa_system_sgpr_workgroup_info 0
		.amdhsa_system_vgpr_workitem_id 1
		.amdhsa_next_free_vgpr 56
		.amdhsa_next_free_sgpr 32
		.amdhsa_accum_offset 56
		.amdhsa_reserve_vcc 1
		.amdhsa_reserve_flat_scratch 0
		.amdhsa_float_round_mode_32 0
		.amdhsa_float_round_mode_16_64 0
		.amdhsa_float_denorm_mode_32 3
		.amdhsa_float_denorm_mode_16_64 3
		.amdhsa_dx10_clamp 1
		.amdhsa_ieee_mode 1
		.amdhsa_fp16_overflow 0
		.amdhsa_tg_split 0
		.amdhsa_exception_fp_ieee_invalid_op 0
		.amdhsa_exception_fp_denorm_src 0
		.amdhsa_exception_fp_ieee_div_zero 0
		.amdhsa_exception_fp_ieee_overflow 0
		.amdhsa_exception_fp_ieee_underflow 0
		.amdhsa_exception_fp_ieee_inexact 0
		.amdhsa_exception_int_div_zero 0
	.end_amdhsa_kernel
	.section	.text._ZN2at6native12_GLOBAL__N_135GammaBetaBackwardCUDAKernelTemplateIN3c108BFloat16EfLj32ELj1ELj8ELb1ELb1ELb1EEEvllPKT_S7_PKT0_SA_PS5_SB_,"axG",@progbits,_ZN2at6native12_GLOBAL__N_135GammaBetaBackwardCUDAKernelTemplateIN3c108BFloat16EfLj32ELj1ELj8ELb1ELb1ELb1EEEvllPKT_S7_PKT0_SA_PS5_SB_,comdat
.Lfunc_end200:
	.size	_ZN2at6native12_GLOBAL__N_135GammaBetaBackwardCUDAKernelTemplateIN3c108BFloat16EfLj32ELj1ELj8ELb1ELb1ELb1EEEvllPKT_S7_PKT0_SA_PS5_SB_, .Lfunc_end200-_ZN2at6native12_GLOBAL__N_135GammaBetaBackwardCUDAKernelTemplateIN3c108BFloat16EfLj32ELj1ELj8ELb1ELb1ELb1EEEvllPKT_S7_PKT0_SA_PS5_SB_
                                        ; -- End function
	.section	.AMDGPU.csdata,"",@progbits
; Kernel info:
; codeLenInByte = 1208
; NumSgprs: 36
; NumVgprs: 56
; NumAgprs: 0
; TotalNumVgprs: 56
; ScratchSize: 0
; MemoryBound: 0
; FloatMode: 240
; IeeeMode: 1
; LDSByteSize: 0 bytes/workgroup (compile time only)
; SGPRBlocks: 4
; VGPRBlocks: 6
; NumSGPRsForWavesPerEU: 36
; NumVGPRsForWavesPerEU: 56
; AccumOffset: 56
; Occupancy: 8
; WaveLimiterHint : 0
; COMPUTE_PGM_RSRC2:SCRATCH_EN: 0
; COMPUTE_PGM_RSRC2:USER_SGPR: 6
; COMPUTE_PGM_RSRC2:TRAP_HANDLER: 0
; COMPUTE_PGM_RSRC2:TGID_X_EN: 1
; COMPUTE_PGM_RSRC2:TGID_Y_EN: 1
; COMPUTE_PGM_RSRC2:TGID_Z_EN: 0
; COMPUTE_PGM_RSRC2:TIDIG_COMP_CNT: 1
; COMPUTE_PGM_RSRC3_GFX90A:ACCUM_OFFSET: 13
; COMPUTE_PGM_RSRC3_GFX90A:TG_SPLIT: 0
	.section	.text._ZN2at6native12_GLOBAL__N_135GammaBetaBackwardCUDAKernelTemplateIN3c108BFloat16EfLj32ELj1ELj8ELb1ELb0ELb1EEEvllPKT_S7_PKT0_SA_PS5_SB_,"axG",@progbits,_ZN2at6native12_GLOBAL__N_135GammaBetaBackwardCUDAKernelTemplateIN3c108BFloat16EfLj32ELj1ELj8ELb1ELb0ELb1EEEvllPKT_S7_PKT0_SA_PS5_SB_,comdat
	.globl	_ZN2at6native12_GLOBAL__N_135GammaBetaBackwardCUDAKernelTemplateIN3c108BFloat16EfLj32ELj1ELj8ELb1ELb0ELb1EEEvllPKT_S7_PKT0_SA_PS5_SB_ ; -- Begin function _ZN2at6native12_GLOBAL__N_135GammaBetaBackwardCUDAKernelTemplateIN3c108BFloat16EfLj32ELj1ELj8ELb1ELb0ELb1EEEvllPKT_S7_PKT0_SA_PS5_SB_
	.p2align	8
	.type	_ZN2at6native12_GLOBAL__N_135GammaBetaBackwardCUDAKernelTemplateIN3c108BFloat16EfLj32ELj1ELj8ELb1ELb0ELb1EEEvllPKT_S7_PKT0_SA_PS5_SB_,@function
_ZN2at6native12_GLOBAL__N_135GammaBetaBackwardCUDAKernelTemplateIN3c108BFloat16EfLj32ELj1ELj8ELb1ELb0ELb1EEEvllPKT_S7_PKT0_SA_PS5_SB_: ; @_ZN2at6native12_GLOBAL__N_135GammaBetaBackwardCUDAKernelTemplateIN3c108BFloat16EfLj32ELj1ELj8ELb1ELb0ELb1EEEvllPKT_S7_PKT0_SA_PS5_SB_
; %bb.0:
	s_load_dwordx8 s[12:19], s[4:5], 0x0
	s_load_dwordx2 s[28:29], s[4:5], 0x28
	s_mov_b32 s8, s7
	s_lshl_b32 s7, s6, 5
	s_or_b32 s30, s7, 31
	s_mov_b32 s31, 0
	s_waitcnt lgkmcnt(0)
	v_pk_mov_b32 v[2:3], s[14:15], s[14:15] op_sel:[0,1]
	v_cmp_ge_i64_e32 vcc, s[30:31], v[2:3]
	s_lshl_b32 s30, s8, 3
	v_pk_mov_b32 v[2:3], s[12:13], s[12:13] op_sel:[0,1]
	v_cmp_lt_i64_e64 s[0:1], s[30:31], v[2:3]
	v_cndmask_b32_e64 v1, 0, 1, s[0:1]
	v_cmp_ne_u32_e64 s[0:1], 1, v1
	s_cbranch_vccz .LBB201_49
; %bb.1:
	s_and_b64 vcc, exec, s[0:1]
	v_mov_b32_e32 v4, 0
	s_cbranch_vccnz .LBB201_50
; %bb.2:
	v_and_b32_e32 v61, 0x3ff, v0
	v_bfe_u32 v64, v0, 10, 10
	v_add_u32_e32 v2, s7, v61
	v_mov_b32_e32 v3, 0
	v_lshlrev_b32_e32 v26, 3, v64
	v_cmp_gt_i64_e64 s[2:3], s[14:15], v[2:3]
	v_lshlrev_b64 v[28:29], 1, v[2:3]
	v_mov_b32_e32 v2, s31
	v_add_co_u32_e32 v6, vcc, s30, v26
	v_addc_co_u32_e32 v2, vcc, 0, v2, vcc
	v_add_co_u32_e32 v4, vcc, 7, v6
	v_addc_co_u32_e32 v5, vcc, 0, v2, vcc
	v_mul_lo_u32 v7, s15, v4
	v_mul_lo_u32 v8, s14, v5
	v_mad_u64_u32 v[4:5], s[10:11], s14, v4, 0
	s_load_dword s9, s[4:5], 0x44
	v_add3_u32 v5, v5, v8, v7
	v_lshlrev_b64 v[4:5], 1, v[4:5]
	v_mov_b32_e32 v7, s17
	v_add_co_u32_e32 v30, vcc, s16, v4
	v_addc_co_u32_e32 v27, vcc, v7, v5, vcc
	s_add_u32 s34, s4, 64
	v_mov_b32_e32 v8, s19
	v_add_co_u32_e32 v32, vcc, s18, v4
	s_addc_u32 s35, s5, 0
	s_waitcnt lgkmcnt(0)
	s_lshl_b32 s9, s9, 3
	v_addc_co_u32_e32 v31, vcc, v8, v5, vcc
	s_mul_i32 s10, s15, s9
	s_mul_hi_u32 s11, s14, s9
	v_add_co_u32_e32 v4, vcc, 6, v6
	s_add_i32 s11, s11, s10
	s_mul_i32 s10, s14, s9
	v_addc_co_u32_e32 v5, vcc, 0, v2, vcc
	s_lshl_b64 s[38:39], s[10:11], 1
	v_mul_lo_u32 v9, s15, v4
	v_mul_lo_u32 v10, s14, v5
	v_mad_u64_u32 v[4:5], s[10:11], s14, v4, 0
	v_add3_u32 v5, v5, v10, v9
	v_lshlrev_b64 v[4:5], 1, v[4:5]
	v_add_co_u32_e32 v34, vcc, s16, v4
	v_addc_co_u32_e32 v33, vcc, v7, v5, vcc
	v_add_co_u32_e32 v36, vcc, s18, v4
	v_addc_co_u32_e32 v35, vcc, v8, v5, vcc
	v_add_co_u32_e32 v4, vcc, 5, v6
	v_addc_co_u32_e32 v5, vcc, 0, v2, vcc
	v_mul_lo_u32 v9, s15, v4
	v_mul_lo_u32 v10, s14, v5
	v_mad_u64_u32 v[4:5], s[10:11], s14, v4, 0
	v_add3_u32 v5, v5, v10, v9
	v_lshlrev_b64 v[4:5], 1, v[4:5]
	v_add_co_u32_e32 v38, vcc, s16, v4
	v_addc_co_u32_e32 v37, vcc, v7, v5, vcc
	v_add_co_u32_e32 v40, vcc, s18, v4
	v_addc_co_u32_e32 v39, vcc, v8, v5, vcc
	v_add_co_u32_e32 v4, vcc, 4, v6
	v_addc_co_u32_e32 v5, vcc, 0, v2, vcc
	;; [unrolled: 11-line block ×4, first 2 shown]
	v_mul_lo_u32 v9, s15, v4
	v_mul_lo_u32 v10, s14, v5
	v_mad_u64_u32 v[4:5], s[10:11], s14, v4, 0
	v_add3_u32 v5, v5, v10, v9
	v_lshlrev_b64 v[4:5], 1, v[4:5]
	v_add_co_u32_e32 v50, vcc, s16, v4
	v_addc_co_u32_e32 v49, vcc, v7, v5, vcc
	v_add_co_u32_e32 v52, vcc, s18, v4
	v_addc_co_u32_e32 v51, vcc, v8, v5, vcc
	v_pk_mov_b32 v[4:5], s[14:15], s[14:15] op_sel:[0,1]
	v_mad_u64_u32 v[4:5], s[10:11], s14, v6, v[4:5]
	v_mul_lo_u32 v2, s14, v2
	v_mul_lo_u32 v9, s15, v6
	v_add3_u32 v5, v9, v5, v2
	v_lshlrev_b64 v[4:5], 1, v[4:5]
	v_add_co_u32_e32 v54, vcc, s16, v4
	v_addc_co_u32_e32 v53, vcc, v7, v5, vcc
	v_add_co_u32_e32 v56, vcc, s18, v4
	v_addc_co_u32_e32 v55, vcc, v8, v5, vcc
	v_mad_u64_u32 v[4:5], s[10:11], s14, v6, 0
	v_add3_u32 v5, v5, v2, v9
	v_lshlrev_b64 v[4:5], 1, v[4:5]
	v_add_co_u32_e32 v58, vcc, s16, v4
	v_mbcnt_lo_u32_b32 v2, -1, 0
	v_addc_co_u32_e32 v57, vcc, v7, v5, vcc
	v_mbcnt_hi_u32_b32 v2, -1, v2
	s_mov_b32 s20, 0
	v_add_co_u32_e32 v60, vcc, s18, v4
	v_lshlrev_b32_e32 v2, 2, v2
	v_mov_b32_e32 v1, v3
	s_mov_b32 s33, s20
	s_mov_b64 s[36:37], 7
	v_addc_co_u32_e32 v59, vcc, v8, v5, vcc
	v_and_b32_e32 v65, 0x100, v2
	s_mov_b64 s[40:41], s[30:31]
	v_mov_b32_e32 v66, 0
.LBB201_3:                              ; =>This Inner Loop Header: Depth=1
	s_add_u32 s10, s30, s36
	s_addc_u32 s11, 0, s37
	v_pk_mov_b32 v[4:5], s[12:13], s[12:13] op_sel:[0,1]
	v_cmp_ge_i64_e32 vcc, s[10:11], v[4:5]
	v_mov_b32_e32 v2, s31
	v_add_co_u32_e64 v62, s[10:11], s30, v26
	v_addc_co_u32_e64 v63, s[10:11], v2, v1, s[10:11]
	s_cbranch_vccz .LBB201_25
; %bb.4:                                ;   in Loop: Header=BB201_3 Depth=1
	s_load_dword s10, s[34:35], 0xc
	v_mov_b32_e32 v67, 0
	s_waitcnt lgkmcnt(0)
	s_and_b32 s10, s10, 0xffff
	v_mad_u32_u24 v2, v64, s10, v61
	v_and_b32_e32 v2, 63, v2
	v_cmp_gt_u32_e32 vcc, 8, v2
	s_and_saveexec_b64 s[10:11], vcc
	s_cbranch_execz .LBB201_8
; %bb.5:                                ;   in Loop: Header=BB201_3 Depth=1
	v_add_co_u32_e32 v4, vcc, v62, v2
	v_addc_co_u32_e32 v5, vcc, 0, v63, vcc
	v_cmp_gt_i64_e32 vcc, s[12:13], v[4:5]
	v_mov_b32_e32 v67, 0
	s_and_saveexec_b64 s[22:23], vcc
	s_cbranch_execz .LBB201_7
; %bb.6:                                ;   in Loop: Header=BB201_3 Depth=1
	v_lshlrev_b64 v[4:5], 2, v[4:5]
	v_mov_b32_e32 v2, s29
	v_add_co_u32_e32 v4, vcc, s28, v4
	v_addc_co_u32_e32 v5, vcc, v2, v5, vcc
	global_load_dword v67, v[4:5], off
.LBB201_7:                              ;   in Loop: Header=BB201_3 Depth=1
	s_or_b64 exec, exec, s[22:23]
.LBB201_8:                              ;   in Loop: Header=BB201_3 Depth=1
	s_or_b64 exec, exec, s[10:11]
	s_mov_b32 s21, s20
	s_mov_b32 s22, s20
	;; [unrolled: 1-line block ×7, first 2 shown]
	v_pk_mov_b32 v[10:11], s[20:21], s[20:21] op_sel:[0,1]
	v_pk_mov_b32 v[16:17], s[26:27], s[26:27] op_sel:[0,1]
	v_cmp_gt_i64_e32 vcc, s[12:13], v[62:63]
	v_pk_mov_b32 v[12:13], s[22:23], s[22:23] op_sel:[0,1]
	v_pk_mov_b32 v[14:15], s[24:25], s[24:25] op_sel:[0,1]
	v_pk_mov_b32 v[24:25], v[16:17], v[16:17] op_sel:[0,1]
	s_and_b64 s[42:43], s[2:3], vcc
	v_pk_mov_b32 v[22:23], v[14:15], v[14:15] op_sel:[0,1]
	v_pk_mov_b32 v[20:21], v[12:13], v[12:13] op_sel:[0,1]
	;; [unrolled: 1-line block ×3, first 2 shown]
	s_and_saveexec_b64 s[10:11], s[42:43]
	s_cbranch_execz .LBB201_10
; %bb.9:                                ;   in Loop: Header=BB201_3 Depth=1
	v_add_co_u32_e32 v4, vcc, v58, v28
	v_addc_co_u32_e32 v5, vcc, v57, v29, vcc
	global_load_ushort v2, v[4:5], off
	v_add_co_u32_e32 v4, vcc, v60, v28
	v_addc_co_u32_e32 v5, vcc, v59, v29, vcc
	global_load_ushort v10, v[4:5], off
	v_mov_b32_e32 v8, v3
	v_mov_b32_e32 v9, v3
	;; [unrolled: 1-line block ×13, first 2 shown]
	s_waitcnt vmcnt(1)
	v_lshlrev_b32_e32 v2, 16, v2
	v_pk_mov_b32 v[24:25], v[8:9], v[8:9] op_sel:[0,1]
	v_pk_mov_b32 v[22:23], v[6:7], v[6:7] op_sel:[0,1]
	;; [unrolled: 1-line block ×4, first 2 shown]
	s_waitcnt vmcnt(0)
	v_lshlrev_b32_e32 v10, 16, v10
.LBB201_10:                             ;   in Loop: Header=BB201_3 Depth=1
	s_or_b64 exec, exec, s[10:11]
	v_add_co_u32_e32 v4, vcc, 1, v62
	v_addc_co_u32_e32 v5, vcc, 0, v63, vcc
	v_cmp_gt_i64_e32 vcc, s[12:13], v[4:5]
	s_and_b64 s[22:23], s[2:3], vcc
	s_and_saveexec_b64 s[10:11], s[22:23]
	s_cbranch_execz .LBB201_12
; %bb.11:                               ;   in Loop: Header=BB201_3 Depth=1
	v_add_co_u32_e32 v4, vcc, v54, v28
	v_addc_co_u32_e32 v5, vcc, v53, v29, vcc
	global_load_ushort v2, v[4:5], off
	v_add_co_u32_e32 v4, vcc, v56, v28
	v_addc_co_u32_e32 v5, vcc, v55, v29, vcc
	global_load_ushort v4, v[4:5], off
	s_waitcnt vmcnt(1)
	v_lshlrev_b32_e32 v19, 16, v2
	s_waitcnt vmcnt(0)
	v_lshlrev_b32_e32 v11, 16, v4
.LBB201_12:                             ;   in Loop: Header=BB201_3 Depth=1
	s_or_b64 exec, exec, s[10:11]
	v_add_co_u32_e32 v4, vcc, 2, v62
	v_addc_co_u32_e32 v5, vcc, 0, v63, vcc
	v_cmp_gt_i64_e32 vcc, s[12:13], v[4:5]
	s_and_b64 s[22:23], s[2:3], vcc
	s_and_saveexec_b64 s[10:11], s[22:23]
	s_cbranch_execz .LBB201_14
; %bb.13:                               ;   in Loop: Header=BB201_3 Depth=1
	v_add_co_u32_e32 v4, vcc, v50, v28
	v_addc_co_u32_e32 v5, vcc, v49, v29, vcc
	global_load_ushort v2, v[4:5], off
	v_add_co_u32_e32 v4, vcc, v52, v28
	v_addc_co_u32_e32 v5, vcc, v51, v29, vcc
	global_load_ushort v4, v[4:5], off
	s_waitcnt vmcnt(1)
	v_lshlrev_b32_e32 v20, 16, v2
	s_waitcnt vmcnt(0)
	v_lshlrev_b32_e32 v12, 16, v4
.LBB201_14:                             ;   in Loop: Header=BB201_3 Depth=1
	;; [unrolled: 19-line block ×7, first 2 shown]
	s_or_b64 exec, exec, s[10:11]
	s_waitcnt vmcnt(0)
	ds_bpermute_b32 v4, v65, v67 offset:4
	ds_bpermute_b32 v5, v65, v67 offset:8
	ds_bpermute_b32 v2, v65, v67
	v_mul_f32_e32 v8, v10, v18
	v_pk_mul_f32 v[10:11], v[10:11], v[18:19]
	v_pk_mul_f32 v[12:13], v[12:13], v[20:21]
	v_mov_b32_e32 v10, v11
	v_mov_b32_e32 v11, v12
	s_waitcnt lgkmcnt(1)
	v_pk_mul_f32 v[4:5], v[10:11], v[4:5]
	ds_bpermute_b32 v10, v65, v67 offset:12
	ds_bpermute_b32 v11, v65, v67 offset:16
	s_waitcnt lgkmcnt(2)
	v_fma_f32 v2, v8, v2, v66
	v_pk_mul_f32 v[8:9], v[14:15], v[22:23]
	v_add_f32_e32 v2, v2, v4
	v_add_f32_e32 v2, v2, v5
	v_mov_b32_e32 v4, v13
	v_mov_b32_e32 v5, v8
	s_waitcnt lgkmcnt(0)
	v_pk_mul_f32 v[4:5], v[4:5], v[10:11]
	ds_bpermute_b32 v10, v65, v67 offset:20
	ds_bpermute_b32 v11, v65, v67 offset:24
	v_pk_mul_f32 v[6:7], v[16:17], v[24:25]
	v_add_f32_e32 v2, v2, v4
	v_add_f32_e32 v7, v2, v5
	ds_bpermute_b32 v2, v65, v67 offset:28
	v_mov_b32_e32 v4, v9
	v_mov_b32_e32 v5, v6
	s_waitcnt lgkmcnt(1)
	v_pk_mul_f32 v[4:5], v[4:5], v[10:11]
	v_add_f32_e32 v4, v7, v4
	v_add_f32_e32 v4, v4, v5
	s_branch .LBB201_40
.LBB201_25:                             ;   in Loop: Header=BB201_3 Depth=1
                                        ; implicit-def: $vgpr4
                                        ; implicit-def: $vgpr10_vgpr11_vgpr12_vgpr13_vgpr14_vgpr15_vgpr16_vgpr17
                                        ; implicit-def: $vgpr18_vgpr19_vgpr20_vgpr21_vgpr22_vgpr23_vgpr24_vgpr25
                                        ; implicit-def: $vgpr2
	s_cbranch_execz .LBB201_40
; %bb.26:                               ;   in Loop: Header=BB201_3 Depth=1
	s_load_dword s10, s[34:35], 0x0
	v_mov_b32_e32 v67, 0
	s_waitcnt lgkmcnt(0)
	s_cmp_lt_u32 s6, s10
	s_cselect_b32 s10, 12, 18
	s_add_u32 s10, s34, s10
	s_addc_u32 s11, s35, 0
	global_load_ushort v2, v3, s[10:11]
	s_waitcnt vmcnt(0)
	v_mad_u32_u24 v2, v64, v2, v61
	v_and_b32_e32 v2, 63, v2
	v_cmp_gt_u32_e32 vcc, 8, v2
	s_and_saveexec_b64 s[10:11], vcc
	s_cbranch_execz .LBB201_30
; %bb.27:                               ;   in Loop: Header=BB201_3 Depth=1
	v_add_co_u32_e32 v4, vcc, v62, v2
	v_addc_co_u32_e32 v5, vcc, 0, v63, vcc
	v_cmp_gt_i64_e32 vcc, s[12:13], v[4:5]
	v_mov_b32_e32 v67, 0
	s_and_saveexec_b64 s[22:23], vcc
	s_cbranch_execz .LBB201_29
; %bb.28:                               ;   in Loop: Header=BB201_3 Depth=1
	v_lshlrev_b64 v[4:5], 2, v[4:5]
	v_mov_b32_e32 v2, s29
	v_add_co_u32_e32 v4, vcc, s28, v4
	v_addc_co_u32_e32 v5, vcc, v2, v5, vcc
	global_load_dword v67, v[4:5], off
.LBB201_29:                             ;   in Loop: Header=BB201_3 Depth=1
	s_or_b64 exec, exec, s[22:23]
.LBB201_30:                             ;   in Loop: Header=BB201_3 Depth=1
	s_or_b64 exec, exec, s[10:11]
	s_mov_b32 s21, s20
	s_mov_b32 s22, s20
	;; [unrolled: 1-line block ×7, first 2 shown]
	v_pk_mov_b32 v[10:11], s[20:21], s[20:21] op_sel:[0,1]
	v_pk_mov_b32 v[16:17], s[26:27], s[26:27] op_sel:[0,1]
	;; [unrolled: 1-line block ×8, first 2 shown]
	s_and_saveexec_b64 s[10:11], s[2:3]
	s_cbranch_execnz .LBB201_42
; %bb.31:                               ;   in Loop: Header=BB201_3 Depth=1
	s_or_b64 exec, exec, s[10:11]
	s_and_saveexec_b64 s[10:11], s[2:3]
	s_cbranch_execnz .LBB201_43
.LBB201_32:                             ;   in Loop: Header=BB201_3 Depth=1
	s_or_b64 exec, exec, s[10:11]
	s_and_saveexec_b64 s[10:11], s[2:3]
	s_cbranch_execnz .LBB201_44
.LBB201_33:                             ;   in Loop: Header=BB201_3 Depth=1
	s_or_b64 exec, exec, s[10:11]
	s_and_saveexec_b64 s[10:11], s[2:3]
	s_cbranch_execnz .LBB201_45
.LBB201_34:                             ;   in Loop: Header=BB201_3 Depth=1
	s_or_b64 exec, exec, s[10:11]
	s_and_saveexec_b64 s[10:11], s[2:3]
	s_cbranch_execnz .LBB201_46
.LBB201_35:                             ;   in Loop: Header=BB201_3 Depth=1
	s_or_b64 exec, exec, s[10:11]
	s_and_saveexec_b64 s[10:11], s[2:3]
	s_cbranch_execnz .LBB201_47
.LBB201_36:                             ;   in Loop: Header=BB201_3 Depth=1
	s_or_b64 exec, exec, s[10:11]
	s_and_saveexec_b64 s[10:11], s[2:3]
	s_cbranch_execnz .LBB201_48
.LBB201_37:                             ;   in Loop: Header=BB201_3 Depth=1
	s_or_b64 exec, exec, s[10:11]
	s_and_saveexec_b64 s[10:11], s[2:3]
	s_cbranch_execz .LBB201_39
.LBB201_38:                             ;   in Loop: Header=BB201_3 Depth=1
	v_add_co_u32_e32 v4, vcc, v30, v28
	v_addc_co_u32_e32 v5, vcc, v27, v29, vcc
	global_load_ushort v2, v[4:5], off
	v_add_co_u32_e32 v4, vcc, v32, v28
	v_addc_co_u32_e32 v5, vcc, v31, v29, vcc
	global_load_ushort v4, v[4:5], off
	s_waitcnt vmcnt(1)
	v_lshlrev_b32_e32 v25, 16, v2
	s_waitcnt vmcnt(0)
	v_lshlrev_b32_e32 v17, 16, v4
.LBB201_39:                             ;   in Loop: Header=BB201_3 Depth=1
	s_or_b64 exec, exec, s[10:11]
	s_waitcnt vmcnt(0)
	ds_bpermute_b32 v4, v65, v67 offset:4
	ds_bpermute_b32 v5, v65, v67 offset:8
	ds_bpermute_b32 v2, v65, v67
	v_mul_f32_e32 v8, v10, v18
	v_pk_mul_f32 v[10:11], v[10:11], v[18:19]
	v_pk_mul_f32 v[12:13], v[12:13], v[20:21]
	v_mov_b32_e32 v10, v11
	v_mov_b32_e32 v11, v12
	s_waitcnt lgkmcnt(1)
	v_pk_mul_f32 v[4:5], v[10:11], v[4:5]
	ds_bpermute_b32 v10, v65, v67 offset:12
	ds_bpermute_b32 v11, v65, v67 offset:16
	s_waitcnt lgkmcnt(2)
	v_fmac_f32_e32 v66, v8, v2
	v_pk_mul_f32 v[8:9], v[14:15], v[22:23]
	v_add_f32_e32 v2, v66, v4
	v_add_f32_e32 v2, v2, v5
	v_mov_b32_e32 v4, v13
	v_mov_b32_e32 v5, v8
	s_waitcnt lgkmcnt(0)
	v_pk_mul_f32 v[4:5], v[4:5], v[10:11]
	ds_bpermute_b32 v10, v65, v67 offset:20
	ds_bpermute_b32 v11, v65, v67 offset:24
	v_pk_mul_f32 v[6:7], v[16:17], v[24:25]
	v_add_f32_e32 v2, v2, v4
	v_add_f32_e32 v7, v2, v5
	v_mov_b32_e32 v4, v9
	v_mov_b32_e32 v5, v6
	s_waitcnt lgkmcnt(0)
	v_pk_mul_f32 v[4:5], v[4:5], v[10:11]
	v_add_f32_e32 v4, v7, v4
	ds_bpermute_b32 v2, v65, v67 offset:28
	v_add_f32_e32 v4, v4, v5
.LBB201_40:                             ;   in Loop: Header=BB201_3 Depth=1
	v_mul_f32_e32 v5, v25, v17
	s_waitcnt lgkmcnt(0)
	v_fmac_f32_e32 v4, v5, v2
	v_mov_b32_e32 v2, s39
	v_add_co_u32_e32 v30, vcc, s38, v30
	v_addc_co_u32_e32 v27, vcc, v27, v2, vcc
	v_add_co_u32_e32 v32, vcc, s38, v32
	v_addc_co_u32_e32 v31, vcc, v31, v2, vcc
	;; [unrolled: 2-line block ×14, first 2 shown]
	v_mov_b32_e32 v5, s33
	v_add_co_u32_e32 v26, vcc, s9, v26
	v_addc_co_u32_e32 v1, vcc, v1, v5, vcc
	v_add_co_u32_e32 v58, vcc, s38, v58
	v_addc_co_u32_e32 v57, vcc, v57, v2, vcc
	s_add_u32 s40, s40, s9
	v_add_co_u32_e32 v60, vcc, s38, v60
	s_addc_u32 s41, s41, 0
	v_addc_co_u32_e32 v59, vcc, v59, v2, vcc
	v_pk_mov_b32 v[6:7], s[12:13], s[12:13] op_sel:[0,1]
	s_add_u32 s36, s36, s9
	v_cmp_lt_i64_e32 vcc, s[40:41], v[6:7]
	s_addc_u32 s37, s37, 0
	s_cbranch_vccz .LBB201_50
; %bb.41:                               ;   in Loop: Header=BB201_3 Depth=1
	v_mov_b32_e32 v66, v4
	s_branch .LBB201_3
.LBB201_42:                             ;   in Loop: Header=BB201_3 Depth=1
	v_add_co_u32_e32 v4, vcc, v58, v28
	v_addc_co_u32_e32 v5, vcc, v57, v29, vcc
	global_load_ushort v2, v[4:5], off
	v_add_co_u32_e32 v4, vcc, v60, v28
	v_addc_co_u32_e32 v5, vcc, v59, v29, vcc
	global_load_ushort v10, v[4:5], off
	v_mov_b32_e32 v8, v3
	v_mov_b32_e32 v9, v3
	;; [unrolled: 1-line block ×13, first 2 shown]
	s_waitcnt vmcnt(1)
	v_lshlrev_b32_e32 v2, 16, v2
	v_pk_mov_b32 v[24:25], v[8:9], v[8:9] op_sel:[0,1]
	v_pk_mov_b32 v[22:23], v[6:7], v[6:7] op_sel:[0,1]
	;; [unrolled: 1-line block ×4, first 2 shown]
	s_waitcnt vmcnt(0)
	v_lshlrev_b32_e32 v10, 16, v10
	s_or_b64 exec, exec, s[10:11]
	s_and_saveexec_b64 s[10:11], s[2:3]
	s_cbranch_execz .LBB201_32
.LBB201_43:                             ;   in Loop: Header=BB201_3 Depth=1
	v_add_co_u32_e32 v4, vcc, v54, v28
	v_addc_co_u32_e32 v5, vcc, v53, v29, vcc
	global_load_ushort v2, v[4:5], off
	v_add_co_u32_e32 v4, vcc, v56, v28
	v_addc_co_u32_e32 v5, vcc, v55, v29, vcc
	global_load_ushort v4, v[4:5], off
	s_waitcnt vmcnt(1)
	v_lshlrev_b32_e32 v19, 16, v2
	s_waitcnt vmcnt(0)
	v_lshlrev_b32_e32 v11, 16, v4
	s_or_b64 exec, exec, s[10:11]
	s_and_saveexec_b64 s[10:11], s[2:3]
	s_cbranch_execz .LBB201_33
.LBB201_44:                             ;   in Loop: Header=BB201_3 Depth=1
	v_add_co_u32_e32 v4, vcc, v50, v28
	v_addc_co_u32_e32 v5, vcc, v49, v29, vcc
	global_load_ushort v2, v[4:5], off
	v_add_co_u32_e32 v4, vcc, v52, v28
	v_addc_co_u32_e32 v5, vcc, v51, v29, vcc
	global_load_ushort v4, v[4:5], off
	s_waitcnt vmcnt(1)
	v_lshlrev_b32_e32 v20, 16, v2
	s_waitcnt vmcnt(0)
	v_lshlrev_b32_e32 v12, 16, v4
	s_or_b64 exec, exec, s[10:11]
	s_and_saveexec_b64 s[10:11], s[2:3]
	s_cbranch_execz .LBB201_34
.LBB201_45:                             ;   in Loop: Header=BB201_3 Depth=1
	v_add_co_u32_e32 v4, vcc, v46, v28
	v_addc_co_u32_e32 v5, vcc, v45, v29, vcc
	global_load_ushort v2, v[4:5], off
	v_add_co_u32_e32 v4, vcc, v48, v28
	v_addc_co_u32_e32 v5, vcc, v47, v29, vcc
	global_load_ushort v4, v[4:5], off
	s_waitcnt vmcnt(1)
	v_lshlrev_b32_e32 v21, 16, v2
	s_waitcnt vmcnt(0)
	v_lshlrev_b32_e32 v13, 16, v4
	s_or_b64 exec, exec, s[10:11]
	s_and_saveexec_b64 s[10:11], s[2:3]
	s_cbranch_execz .LBB201_35
.LBB201_46:                             ;   in Loop: Header=BB201_3 Depth=1
	v_add_co_u32_e32 v4, vcc, v42, v28
	v_addc_co_u32_e32 v5, vcc, v41, v29, vcc
	global_load_ushort v2, v[4:5], off
	v_add_co_u32_e32 v4, vcc, v44, v28
	v_addc_co_u32_e32 v5, vcc, v43, v29, vcc
	global_load_ushort v4, v[4:5], off
	s_waitcnt vmcnt(1)
	v_lshlrev_b32_e32 v22, 16, v2
	s_waitcnt vmcnt(0)
	v_lshlrev_b32_e32 v14, 16, v4
	s_or_b64 exec, exec, s[10:11]
	s_and_saveexec_b64 s[10:11], s[2:3]
	s_cbranch_execz .LBB201_36
.LBB201_47:                             ;   in Loop: Header=BB201_3 Depth=1
	v_add_co_u32_e32 v4, vcc, v38, v28
	v_addc_co_u32_e32 v5, vcc, v37, v29, vcc
	global_load_ushort v2, v[4:5], off
	v_add_co_u32_e32 v4, vcc, v40, v28
	v_addc_co_u32_e32 v5, vcc, v39, v29, vcc
	global_load_ushort v4, v[4:5], off
	s_waitcnt vmcnt(1)
	v_lshlrev_b32_e32 v23, 16, v2
	s_waitcnt vmcnt(0)
	v_lshlrev_b32_e32 v15, 16, v4
	s_or_b64 exec, exec, s[10:11]
	s_and_saveexec_b64 s[10:11], s[2:3]
	s_cbranch_execz .LBB201_37
.LBB201_48:                             ;   in Loop: Header=BB201_3 Depth=1
	v_add_co_u32_e32 v4, vcc, v34, v28
	v_addc_co_u32_e32 v5, vcc, v33, v29, vcc
	global_load_ushort v2, v[4:5], off
	v_add_co_u32_e32 v4, vcc, v36, v28
	v_addc_co_u32_e32 v5, vcc, v35, v29, vcc
	global_load_ushort v4, v[4:5], off
	s_waitcnt vmcnt(1)
	v_lshlrev_b32_e32 v24, 16, v2
	s_waitcnt vmcnt(0)
	v_lshlrev_b32_e32 v16, 16, v4
	s_or_b64 exec, exec, s[10:11]
	s_and_saveexec_b64 s[10:11], s[2:3]
	s_cbranch_execnz .LBB201_38
	s_branch .LBB201_39
.LBB201_49:
                                        ; implicit-def: $vgpr4
	s_load_dwordx2 s[2:3], s[4:5], 0x30
	s_branch .LBB201_51
.LBB201_50:
	s_load_dwordx2 s[2:3], s[4:5], 0x30
	s_cbranch_execnz .LBB201_83
.LBB201_51:
	s_and_b64 vcc, exec, s[0:1]
	v_mov_b32_e32 v4, 0
	s_cbranch_vccnz .LBB201_83
; %bb.52:
	v_bfe_u32 v87, v0, 10, 10
	s_add_u32 s10, s4, 64
	s_addc_u32 s11, s5, 0
	v_lshlrev_b32_e32 v1, 4, v87
	s_lshl_b64 s[0:1], s[30:31], 1
	v_mov_b32_e32 v2, s1
	v_add_co_u32_e32 v1, vcc, s0, v1
	v_addc_co_u32_e32 v4, vcc, 0, v2, vcc
	v_add_co_u32_e32 v6, vcc, 2, v1
	v_addc_co_u32_e32 v5, vcc, 0, v4, vcc
	v_add_co_u32_e32 v9, vcc, 4, v1
	v_mul_lo_u32 v7, s14, v5
	v_addc_co_u32_e32 v5, vcc, 0, v4, vcc
	v_add_co_u32_e32 v12, vcc, 6, v1
	v_mul_lo_u32 v10, s14, v5
	;; [unrolled: 3-line block ×5, first 2 shown]
	v_addc_co_u32_e32 v5, vcc, 0, v4, vcc
	v_add_co_u32_e32 v24, vcc, 14, v1
	v_lshlrev_b32_e32 v26, 3, v87
	v_addc_co_u32_e32 v1, vcc, 0, v4, vcc
	v_mul_lo_u32 v25, s14, v1
	v_mov_b32_e32 v1, s31
	v_add_co_u32_e32 v43, vcc, s30, v26
	v_pk_mov_b32 v[2:3], s[16:17], s[16:17] op_sel:[0,1]
	v_addc_co_u32_e32 v59, vcc, 0, v1, vcc
	v_mad_u64_u32 v[28:29], s[0:1], s14, v6, v[2:3]
	v_mad_u64_u32 v[30:31], s[0:1], s14, v9, v[2:3]
	;; [unrolled: 1-line block ×7, first 2 shown]
	v_mul_lo_u32 v60, s15, v43
	v_mul_lo_u32 v61, s14, v59
	v_mad_u64_u32 v[2:3], s[0:1], s14, v43, 0
	v_add3_u32 v3, v3, v61, v60
	v_lshlrev_b64 v[2:3], 1, v[2:3]
	v_mul_lo_u32 v22, s14, v5
	v_mov_b32_e32 v81, s17
	v_add_co_u32_e32 v42, vcc, s16, v2
	v_pk_mov_b32 v[4:5], s[18:19], s[18:19] op_sel:[0,1]
	v_mul_lo_u32 v17, s15, v15
	v_addc_co_u32_e32 v1, vcc, v81, v3, vcc
	v_mad_u64_u32 v[50:51], s[0:1], s14, v15, v[4:5]
	v_add3_u32 v35, v17, v35, v16
	v_mul_lo_u32 v27, s15, v24
	v_add3_u32 v51, v17, v51, v16
	v_mad_u64_u32 v[56:57], s[0:1], s14, v24, v[4:5]
	v_mov_b32_e32 v16, s19
	v_add_co_u32_e32 v58, vcc, s18, v2
	v_add3_u32 v41, v27, v41, v25
	v_add3_u32 v57, v27, v57, v25
	v_addc_co_u32_e32 v27, vcc, v16, v3, vcc
	v_add_co_u32_e32 v2, vcc, 7, v43
	v_addc_co_u32_e32 v3, vcc, 0, v59, vcc
	v_mad_u64_u32 v[44:45], s[0:1], s14, v6, v[4:5]
	v_mad_u64_u32 v[46:47], s[0:1], s14, v9, v[4:5]
	;; [unrolled: 1-line block ×5, first 2 shown]
	v_mul_lo_u32 v4, s15, v2
	v_mul_lo_u32 v5, s14, v3
	v_mad_u64_u32 v[2:3], s[0:1], s14, v2, 0
	v_add3_u32 v3, v3, v5, v4
	v_add_co_u32_e32 v4, vcc, 6, v43
	v_mul_lo_u32 v8, s15, v6
	v_addc_co_u32_e32 v5, vcc, 0, v59, vcc
	v_add3_u32 v29, v8, v29, v7
	v_add3_u32 v45, v8, v45, v7
	v_mul_lo_u32 v6, s15, v4
	v_mul_lo_u32 v7, s14, v5
	v_mad_u64_u32 v[4:5], s[0:1], s14, v4, 0
	v_add3_u32 v5, v5, v7, v6
	v_add_co_u32_e32 v6, vcc, 5, v43
	v_addc_co_u32_e32 v7, vcc, 0, v59, vcc
	v_mul_lo_u32 v11, s15, v9
	v_mul_lo_u32 v8, s15, v6
	;; [unrolled: 1-line block ×3, first 2 shown]
	v_mad_u64_u32 v[6:7], s[0:1], s14, v6, 0
	v_add3_u32 v7, v7, v9, v8
	v_add_co_u32_e32 v8, vcc, 4, v43
	v_addc_co_u32_e32 v9, vcc, 0, v59, vcc
	v_add3_u32 v31, v11, v31, v10
	v_add3_u32 v47, v11, v47, v10
	v_mul_lo_u32 v10, s15, v8
	v_mul_lo_u32 v11, s14, v9
	v_mad_u64_u32 v[8:9], s[0:1], s14, v8, 0
	v_add3_u32 v9, v9, v11, v10
	v_add_co_u32_e32 v10, vcc, 3, v43
	v_mul_lo_u32 v14, s15, v12
	v_addc_co_u32_e32 v11, vcc, 0, v59, vcc
	v_add3_u32 v33, v14, v33, v13
	v_add3_u32 v49, v14, v49, v13
	v_mul_lo_u32 v12, s15, v10
	v_mul_lo_u32 v13, s14, v11
	v_mad_u64_u32 v[10:11], s[0:1], s14, v10, 0
	v_add3_u32 v11, v11, v13, v12
	v_add_co_u32_e32 v12, vcc, 2, v43
	v_addc_co_u32_e32 v13, vcc, 0, v59, vcc
	v_mul_lo_u32 v14, s15, v12
	v_mul_lo_u32 v15, s14, v13
	v_mad_u64_u32 v[12:13], s[0:1], s14, v12, 0
	v_add3_u32 v13, v13, v15, v14
	v_pk_mov_b32 v[14:15], s[14:15], s[14:15] op_sel:[0,1]
	v_lshlrev_b64 v[2:3], 1, v[2:3]
	v_mad_u64_u32 v[14:15], s[0:1], s14, v43, v[14:15]
	v_add3_u32 v15, v60, v15, v61
	v_add_co_u32_e32 v60, vcc, s16, v2
	v_addc_co_u32_e32 v43, vcc, v81, v3, vcc
	v_add_co_u32_e32 v62, vcc, s18, v2
	v_addc_co_u32_e32 v59, vcc, v16, v3, vcc
	v_lshlrev_b64 v[2:3], 1, v[4:5]
	v_add_co_u32_e32 v64, vcc, s16, v2
	v_addc_co_u32_e32 v61, vcc, v81, v3, vcc
	v_add_co_u32_e32 v66, vcc, s18, v2
	v_addc_co_u32_e32 v63, vcc, v16, v3, vcc
	v_lshlrev_b64 v[2:3], 1, v[6:7]
	;; [unrolled: 5-line block ×5, first 2 shown]
	v_add_co_u32_e32 v80, vcc, s16, v2
	v_addc_co_u32_e32 v77, vcc, v81, v3, vcc
	s_load_dword s0, s[4:5], 0x44
	v_add_co_u32_e32 v82, vcc, s18, v2
	v_addc_co_u32_e32 v79, vcc, v16, v3, vcc
	v_lshlrev_b64 v[2:3], 1, v[14:15]
	v_add_co_u32_e32 v84, vcc, s16, v2
	v_addc_co_u32_e32 v81, vcc, v81, v3, vcc
	v_and_b32_e32 v92, 0x3ff, v0
	v_add_co_u32_e32 v86, vcc, s18, v2
	v_add_u32_e32 v2, s7, v92
	s_waitcnt lgkmcnt(0)
	s_lshl_b32 s7, s0, 3
	v_mbcnt_lo_u32_b32 v4, -1, 0
	s_mul_i32 s0, s15, s7
	s_mul_hi_u32 s1, s14, s7
	v_mbcnt_hi_u32_b32 v4, -1, v4
	v_mul_lo_u32 v20, s15, v18
	v_mul_lo_u32 v23, s15, v21
	v_addc_co_u32_e32 v83, vcc, v16, v3, vcc
	s_mov_b32 s16, 0
	v_mov_b32_e32 v3, 0
	s_add_i32 s1, s1, s0
	s_mul_i32 s0, s14, s7
	v_lshlrev_b32_e32 v4, 2, v4
	v_add3_u32 v37, v20, v37, v19
	v_add3_u32 v39, v23, v39, v22
	v_add3_u32 v53, v20, v53, v19
	v_add3_u32 v55, v23, v55, v22
	s_mov_b32 s9, s16
	s_lshl_b64 s[24:25], s[0:1], 1
	s_mov_b64 s[26:27], 7
	v_and_b32_e32 v93, 0x100, v4
	s_mov_b64 s[34:35], s[30:31]
	v_mov_b32_e32 v94, 0
	v_mov_b32_e32 v85, v3
	v_lshlrev_b64 v[88:89], 1, v[2:3]
.LBB201_53:                             ; =>This Inner Loop Header: Depth=1
	s_add_u32 s0, s30, s26
	s_addc_u32 s1, 0, s27
	v_pk_mov_b32 v[4:5], s[12:13], s[12:13] op_sel:[0,1]
	v_cmp_ge_i64_e32 vcc, s[0:1], v[4:5]
	v_mov_b32_e32 v2, s31
	v_add_co_u32_e64 v90, s[0:1], s30, v26
	v_addc_co_u32_e64 v91, s[0:1], v2, v85, s[0:1]
	s_cbranch_vccz .LBB201_75
; %bb.54:                               ;   in Loop: Header=BB201_53 Depth=1
	s_load_dword s0, s[10:11], 0xc
	v_mov_b32_e32 v95, 0
	s_waitcnt lgkmcnt(0)
	s_and_b32 s0, s0, 0xffff
	v_mad_u32_u24 v2, v87, s0, v92
	v_and_b32_e32 v2, 63, v2
	v_cmp_gt_u32_e32 vcc, 8, v2
	s_and_saveexec_b64 s[0:1], vcc
	s_cbranch_execz .LBB201_58
; %bb.55:                               ;   in Loop: Header=BB201_53 Depth=1
	v_add_co_u32_e32 v4, vcc, v90, v2
	v_addc_co_u32_e32 v5, vcc, 0, v91, vcc
	v_cmp_gt_i64_e32 vcc, s[12:13], v[4:5]
	v_mov_b32_e32 v95, 0
	s_and_saveexec_b64 s[18:19], vcc
	s_cbranch_execz .LBB201_57
; %bb.56:                               ;   in Loop: Header=BB201_53 Depth=1
	v_lshlrev_b64 v[4:5], 2, v[4:5]
	v_mov_b32_e32 v2, s29
	v_add_co_u32_e32 v4, vcc, s28, v4
	v_addc_co_u32_e32 v5, vcc, v2, v5, vcc
	global_load_dword v95, v[4:5], off
.LBB201_57:                             ;   in Loop: Header=BB201_53 Depth=1
	s_or_b64 exec, exec, s[18:19]
.LBB201_58:                             ;   in Loop: Header=BB201_53 Depth=1
	s_or_b64 exec, exec, s[0:1]
	s_mov_b32 s17, s16
	s_mov_b32 s18, s16
	s_mov_b32 s19, s16
	s_mov_b32 s20, s16
	s_mov_b32 s21, s16
	s_mov_b32 s22, s16
	s_mov_b32 s23, s16
	v_pk_mov_b32 v[10:11], s[16:17], s[16:17] op_sel:[0,1]
	v_pk_mov_b32 v[16:17], s[22:23], s[22:23] op_sel:[0,1]
	;; [unrolled: 1-line block ×5, first 2 shown]
	v_cmp_gt_i64_e32 vcc, s[12:13], v[90:91]
	v_pk_mov_b32 v[22:23], v[14:15], v[14:15] op_sel:[0,1]
	v_pk_mov_b32 v[20:21], v[12:13], v[12:13] op_sel:[0,1]
	;; [unrolled: 1-line block ×3, first 2 shown]
	s_and_saveexec_b64 s[0:1], vcc
	s_cbranch_execz .LBB201_60
; %bb.59:                               ;   in Loop: Header=BB201_53 Depth=1
	v_add_co_u32_e32 v4, vcc, v42, v88
	v_addc_co_u32_e32 v5, vcc, v1, v89, vcc
	global_load_ushort v2, v[4:5], off
	v_add_co_u32_e32 v4, vcc, v58, v88
	v_addc_co_u32_e32 v5, vcc, v27, v89, vcc
	global_load_ushort v10, v[4:5], off
	v_mov_b32_e32 v8, v3
	v_mov_b32_e32 v9, v3
	;; [unrolled: 1-line block ×13, first 2 shown]
	s_waitcnt vmcnt(1)
	v_lshlrev_b32_e32 v2, 16, v2
	v_pk_mov_b32 v[24:25], v[8:9], v[8:9] op_sel:[0,1]
	v_pk_mov_b32 v[22:23], v[6:7], v[6:7] op_sel:[0,1]
	;; [unrolled: 1-line block ×4, first 2 shown]
	s_waitcnt vmcnt(0)
	v_lshlrev_b32_e32 v10, 16, v10
.LBB201_60:                             ;   in Loop: Header=BB201_53 Depth=1
	s_or_b64 exec, exec, s[0:1]
	v_add_co_u32_e32 v4, vcc, 1, v90
	v_addc_co_u32_e32 v5, vcc, 0, v91, vcc
	v_cmp_gt_i64_e32 vcc, s[12:13], v[4:5]
	s_and_saveexec_b64 s[0:1], vcc
	s_cbranch_execz .LBB201_62
; %bb.61:                               ;   in Loop: Header=BB201_53 Depth=1
	v_add_co_u32_e32 v4, vcc, v84, v88
	v_addc_co_u32_e32 v5, vcc, v81, v89, vcc
	global_load_ushort v2, v[4:5], off
	v_add_co_u32_e32 v4, vcc, v86, v88
	v_addc_co_u32_e32 v5, vcc, v83, v89, vcc
	global_load_ushort v4, v[4:5], off
	s_waitcnt vmcnt(1)
	v_lshlrev_b32_e32 v19, 16, v2
	s_waitcnt vmcnt(0)
	v_lshlrev_b32_e32 v11, 16, v4
.LBB201_62:                             ;   in Loop: Header=BB201_53 Depth=1
	s_or_b64 exec, exec, s[0:1]
	v_add_co_u32_e32 v4, vcc, 2, v90
	v_addc_co_u32_e32 v5, vcc, 0, v91, vcc
	v_cmp_gt_i64_e32 vcc, s[12:13], v[4:5]
	s_and_saveexec_b64 s[0:1], vcc
	s_cbranch_execz .LBB201_64
; %bb.63:                               ;   in Loop: Header=BB201_53 Depth=1
	v_add_co_u32_e32 v4, vcc, v80, v88
	v_addc_co_u32_e32 v5, vcc, v77, v89, vcc
	global_load_ushort v2, v[4:5], off
	v_add_co_u32_e32 v4, vcc, v82, v88
	v_addc_co_u32_e32 v5, vcc, v79, v89, vcc
	global_load_ushort v4, v[4:5], off
	s_waitcnt vmcnt(1)
	v_lshlrev_b32_e32 v20, 16, v2
	s_waitcnt vmcnt(0)
	v_lshlrev_b32_e32 v12, 16, v4
.LBB201_64:                             ;   in Loop: Header=BB201_53 Depth=1
	;; [unrolled: 18-line block ×7, first 2 shown]
	s_or_b64 exec, exec, s[0:1]
	s_waitcnt vmcnt(0)
	ds_bpermute_b32 v4, v93, v95
	ds_bpermute_b32 v5, v93, v95 offset:4
	v_pk_mul_f32 v[8:9], v[14:15], v[22:23]
	ds_bpermute_b32 v14, v93, v95 offset:8
	ds_bpermute_b32 v15, v93, v95 offset:12
	v_pk_mul_f32 v[10:11], v[10:11], v[18:19]
	s_waitcnt lgkmcnt(2)
	v_pk_mul_f32 v[4:5], v[10:11], v[4:5]
	ds_bpermute_b32 v10, v93, v95 offset:16
	ds_bpermute_b32 v11, v93, v95 offset:20
	v_pk_mul_f32 v[12:13], v[12:13], v[20:21]
	v_add_f32_e32 v2, v94, v4
	v_add_f32_e32 v2, v2, v5
	s_waitcnt lgkmcnt(2)
	v_pk_mul_f32 v[4:5], v[12:13], v[14:15]
	ds_bpermute_b32 v12, v93, v95 offset:24
	ds_bpermute_b32 v13, v93, v95 offset:28
	v_add_f32_e32 v2, v2, v4
	v_add_f32_e32 v2, v2, v5
	s_waitcnt lgkmcnt(2)
	v_pk_mul_f32 v[4:5], v[8:9], v[10:11]
	v_pk_mul_f32 v[6:7], v[16:17], v[24:25]
	v_add_f32_e32 v2, v2, v4
	v_add_f32_e32 v2, v2, v5
	s_waitcnt lgkmcnt(0)
	v_pk_mul_f32 v[4:5], v[6:7], v[12:13]
	v_add_f32_e32 v2, v2, v4
	v_add_f32_e32 v4, v2, v5
	s_branch .LBB201_81
.LBB201_75:                             ;   in Loop: Header=BB201_53 Depth=1
                                        ; implicit-def: $vgpr4
	s_cbranch_execz .LBB201_81
; %bb.76:                               ;   in Loop: Header=BB201_53 Depth=1
	s_load_dword s0, s[10:11], 0x0
	s_waitcnt lgkmcnt(0)
	s_cmp_lt_u32 s6, s0
	s_cselect_b32 s0, 12, 18
	s_add_u32 s0, s10, s0
	s_addc_u32 s1, s11, 0
	global_load_ushort v2, v3, s[0:1]
	s_waitcnt vmcnt(0)
	v_mad_u32_u24 v2, v87, v2, v92
	v_and_b32_e32 v4, 63, v2
	v_cmp_gt_u32_e32 vcc, 8, v4
	v_mov_b32_e32 v2, 0
	s_and_saveexec_b64 s[0:1], vcc
	s_cbranch_execz .LBB201_80
; %bb.77:                               ;   in Loop: Header=BB201_53 Depth=1
	v_add_co_u32_e32 v4, vcc, v90, v4
	v_addc_co_u32_e32 v5, vcc, 0, v91, vcc
	v_cmp_gt_i64_e32 vcc, s[12:13], v[4:5]
	v_mov_b32_e32 v2, 0
	s_and_saveexec_b64 s[18:19], vcc
	s_cbranch_execz .LBB201_79
; %bb.78:                               ;   in Loop: Header=BB201_53 Depth=1
	v_lshlrev_b64 v[4:5], 2, v[4:5]
	v_mov_b32_e32 v2, s29
	v_add_co_u32_e32 v4, vcc, s28, v4
	v_addc_co_u32_e32 v5, vcc, v2, v5, vcc
	global_load_dword v2, v[4:5], off
.LBB201_79:                             ;   in Loop: Header=BB201_53 Depth=1
	s_or_b64 exec, exec, s[18:19]
.LBB201_80:                             ;   in Loop: Header=BB201_53 Depth=1
	s_or_b64 exec, exec, s[0:1]
	v_add_co_u32_e32 v4, vcc, v42, v88
	v_addc_co_u32_e32 v5, vcc, v1, v89, vcc
	v_add_co_u32_e32 v6, vcc, v58, v88
	v_addc_co_u32_e32 v7, vcc, v27, v89, vcc
	;; [unrolled: 2-line block ×5, first 2 shown]
	v_add_co_u32_e32 v14, vcc, v46, v88
	global_load_ushort v90, v[4:5], off
	global_load_ushort v91, v[8:9], off
	;; [unrolled: 1-line block ×3, first 2 shown]
                                        ; kill: killed $vgpr4 killed $vgpr5
                                        ; kill: killed $vgpr6 killed $vgpr7
                                        ; kill: killed $vgpr8 killed $vgpr9
	global_load_ushort v96, v[10:11], off
	v_addc_co_u32_e32 v15, vcc, v47, v89, vcc
	v_add_co_u32_e32 v16, vcc, v32, v88
	v_addc_co_u32_e32 v17, vcc, v33, v89, vcc
	v_add_co_u32_e32 v18, vcc, v48, v88
	;; [unrolled: 2-line block ×3, first 2 shown]
	v_addc_co_u32_e32 v21, vcc, v35, v89, vcc
	global_load_ushort v97, v[16:17], off
	global_load_ushort v98, v[12:13], off
	;; [unrolled: 1-line block ×3, first 2 shown]
                                        ; kill: killed $vgpr16 killed $vgpr17
                                        ; kill: killed $vgpr12 killed $vgpr13
                                        ; kill: killed $vgpr18 killed $vgpr19
	s_nop 0
	global_load_ushort v12, v[14:15], off
	v_add_co_u32_e32 v22, vcc, v50, v88
	v_addc_co_u32_e32 v23, vcc, v51, v89, vcc
	v_add_co_u32_e32 v24, vcc, v36, v88
	v_addc_co_u32_e32 v25, vcc, v37, v89, vcc
	v_add_co_u32_e32 v4, vcc, v52, v88
	v_addc_co_u32_e32 v5, vcc, v53, v89, vcc
	v_add_co_u32_e32 v6, vcc, v38, v88
	global_load_ushort v13, v[20:21], off
	global_load_ushort v14, v[24:25], off
	;; [unrolled: 1-line block ×4, first 2 shown]
	v_addc_co_u32_e32 v7, vcc, v39, v89, vcc
	v_add_co_u32_e32 v8, vcc, v54, v88
	v_addc_co_u32_e32 v9, vcc, v55, v89, vcc
	v_add_co_u32_e32 v4, vcc, v40, v88
	;; [unrolled: 2-line block ×3, first 2 shown]
	v_addc_co_u32_e32 v11, vcc, v57, v89, vcc
	global_load_ushort v17, v[4:5], off
	global_load_ushort v18, v[6:7], off
	;; [unrolled: 1-line block ×4, first 2 shown]
	s_waitcnt vmcnt(16)
	ds_bpermute_b32 v4, v93, v2
	ds_bpermute_b32 v5, v93, v2 offset:4
	s_waitcnt vmcnt(15)
	v_lshlrev_b32_e32 v6, 16, v90
	s_waitcnt vmcnt(14)
	v_lshlrev_b32_e32 v7, 16, v91
	s_waitcnt vmcnt(13)
	v_lshlrev_b32_e32 v8, 16, v95
	s_waitcnt vmcnt(12)
	v_lshlrev_b32_e32 v9, 16, v96
	v_pk_mul_f32 v[6:7], v[6:7], v[8:9]
	s_waitcnt lgkmcnt(0)
	v_pk_mul_f32 v[4:5], v[6:7], v[4:5]
	v_add_f32_e32 v4, v94, v4
	v_add_f32_e32 v10, v4, v5
	ds_bpermute_b32 v4, v93, v2 offset:8
	ds_bpermute_b32 v5, v93, v2 offset:12
	s_waitcnt vmcnt(11)
	v_lshlrev_b32_e32 v7, 16, v97
	s_waitcnt vmcnt(10)
	v_lshlrev_b32_e32 v6, 16, v98
	s_waitcnt vmcnt(9)
	v_lshlrev_b32_e32 v9, 16, v99
	s_waitcnt vmcnt(8)
	v_lshlrev_b32_e32 v8, 16, v12
	v_pk_mul_f32 v[6:7], v[6:7], v[8:9]
	s_waitcnt lgkmcnt(0)
	v_pk_mul_f32 v[4:5], v[6:7], v[4:5]
	v_add_f32_e32 v4, v10, v4
	v_add_f32_e32 v10, v4, v5
	ds_bpermute_b32 v4, v93, v2 offset:16
	;; [unrolled: 15-line block ×3, first 2 shown]
	ds_bpermute_b32 v5, v93, v2 offset:28
	s_waitcnt vmcnt(3)
	v_lshlrev_b32_e32 v7, 16, v17
	s_waitcnt vmcnt(2)
	v_lshlrev_b32_e32 v6, 16, v18
	;; [unrolled: 2-line block ×4, first 2 shown]
	v_pk_mul_f32 v[6:7], v[6:7], v[8:9]
	s_waitcnt lgkmcnt(0)
	v_pk_mul_f32 v[4:5], v[6:7], v[4:5]
	v_add_f32_e32 v2, v10, v4
	v_add_f32_e32 v4, v2, v5
.LBB201_81:                             ;   in Loop: Header=BB201_53 Depth=1
	v_mov_b32_e32 v2, s9
	v_add_co_u32_e64 v26, s[0:1], s7, v26
	v_addc_co_u32_e64 v85, s[0:1], v85, v2, s[0:1]
	v_mov_b32_e32 v2, s25
	v_add_co_u32_e64 v28, s[0:1], s24, v28
	v_addc_co_u32_e64 v29, s[0:1], v29, v2, s[0:1]
	v_add_co_u32_e64 v30, s[0:1], s24, v30
	v_addc_co_u32_e64 v31, s[0:1], v31, v2, s[0:1]
	;; [unrolled: 2-line block ×28, first 2 shown]
	s_add_u32 s34, s34, s7
	v_add_co_u32_e64 v84, s[0:1], s24, v84
	s_addc_u32 s35, s35, 0
	v_pk_mov_b32 v[6:7], s[12:13], s[12:13] op_sel:[0,1]
	v_addc_co_u32_e64 v81, s[0:1], v81, v2, s[0:1]
	v_cmp_ge_i64_e32 vcc, s[34:35], v[6:7]
	v_add_co_u32_e64 v86, s[0:1], s24, v86
	s_add_u32 s26, s26, s7
	v_addc_co_u32_e64 v83, s[0:1], v83, v2, s[0:1]
	s_addc_u32 s27, s27, 0
	s_cbranch_vccnz .LBB201_83
; %bb.82:                               ;   in Loop: Header=BB201_53 Depth=1
	v_mov_b32_e32 v94, v4
	s_branch .LBB201_53
.LBB201_83:
	s_mov_b32 s7, 0
	s_lshl_b64 s[0:1], s[6:7], 5
	v_and_b32_e32 v1, 0x3ff, v0
	v_or_b32_e32 v2, s0, v1
	v_mov_b32_e32 v3, s1
	s_waitcnt lgkmcnt(0)
	s_cmp_lg_u64 s[2:3], 0
	v_cmp_gt_i64_e32 vcc, s[14:15], v[2:3]
	s_cselect_b64 s[0:1], -1, 0
	s_and_b64 s[0:1], vcc, s[0:1]
	s_and_saveexec_b64 s[6:7], s[0:1]
	s_cbranch_execz .LBB201_85
; %bb.84:
	s_load_dword s0, s[4:5], 0x4c
	v_bfe_u32 v0, v0, 10, 10
	v_mov_b32_e32 v1, 0
	v_mov_b32_e32 v5, s8
	;; [unrolled: 1-line block ×3, first 2 shown]
	s_waitcnt lgkmcnt(0)
	s_lshr_b32 s0, s0, 16
	v_mad_u64_u32 v[0:1], s[0:1], s0, v5, v[0:1]
	v_bfe_u32 v5, v4, 16, 1
	s_movk_i32 s0, 0x7fff
	v_add3_u32 v5, v4, v5, s0
	v_lshrrev_b32_e32 v5, 16, v5
	v_cmp_o_f32_e32 vcc, v4, v4
	v_cndmask_b32_e32 v4, v6, v5, vcc
	v_mul_lo_u32 v5, v1, s14
	v_mul_lo_u32 v6, v0, s15
	v_mad_u64_u32 v[0:1], s[0:1], v0, s14, 0
	v_add3_u32 v1, v1, v6, v5
	v_lshlrev_b64 v[0:1], 1, v[0:1]
	v_mov_b32_e32 v5, s3
	v_add_co_u32_e32 v6, vcc, s2, v0
	v_addc_co_u32_e32 v5, vcc, v5, v1, vcc
	v_lshlrev_b64 v[0:1], 1, v[2:3]
	v_add_co_u32_e32 v0, vcc, v6, v0
	v_addc_co_u32_e32 v1, vcc, v5, v1, vcc
	global_store_short v[0:1], v4, off
.LBB201_85:
	s_endpgm
	.section	.rodata,"a",@progbits
	.p2align	6, 0x0
	.amdhsa_kernel _ZN2at6native12_GLOBAL__N_135GammaBetaBackwardCUDAKernelTemplateIN3c108BFloat16EfLj32ELj1ELj8ELb1ELb0ELb1EEEvllPKT_S7_PKT0_SA_PS5_SB_
		.amdhsa_group_segment_fixed_size 0
		.amdhsa_private_segment_fixed_size 0
		.amdhsa_kernarg_size 320
		.amdhsa_user_sgpr_count 6
		.amdhsa_user_sgpr_private_segment_buffer 1
		.amdhsa_user_sgpr_dispatch_ptr 0
		.amdhsa_user_sgpr_queue_ptr 0
		.amdhsa_user_sgpr_kernarg_segment_ptr 1
		.amdhsa_user_sgpr_dispatch_id 0
		.amdhsa_user_sgpr_flat_scratch_init 0
		.amdhsa_user_sgpr_kernarg_preload_length 0
		.amdhsa_user_sgpr_kernarg_preload_offset 0
		.amdhsa_user_sgpr_private_segment_size 0
		.amdhsa_uses_dynamic_stack 0
		.amdhsa_system_sgpr_private_segment_wavefront_offset 0
		.amdhsa_system_sgpr_workgroup_id_x 1
		.amdhsa_system_sgpr_workgroup_id_y 1
		.amdhsa_system_sgpr_workgroup_id_z 0
		.amdhsa_system_sgpr_workgroup_info 0
		.amdhsa_system_vgpr_workitem_id 1
		.amdhsa_next_free_vgpr 100
		.amdhsa_next_free_sgpr 44
		.amdhsa_accum_offset 100
		.amdhsa_reserve_vcc 1
		.amdhsa_reserve_flat_scratch 0
		.amdhsa_float_round_mode_32 0
		.amdhsa_float_round_mode_16_64 0
		.amdhsa_float_denorm_mode_32 3
		.amdhsa_float_denorm_mode_16_64 3
		.amdhsa_dx10_clamp 1
		.amdhsa_ieee_mode 1
		.amdhsa_fp16_overflow 0
		.amdhsa_tg_split 0
		.amdhsa_exception_fp_ieee_invalid_op 0
		.amdhsa_exception_fp_denorm_src 0
		.amdhsa_exception_fp_ieee_div_zero 0
		.amdhsa_exception_fp_ieee_overflow 0
		.amdhsa_exception_fp_ieee_underflow 0
		.amdhsa_exception_fp_ieee_inexact 0
		.amdhsa_exception_int_div_zero 0
	.end_amdhsa_kernel
	.section	.text._ZN2at6native12_GLOBAL__N_135GammaBetaBackwardCUDAKernelTemplateIN3c108BFloat16EfLj32ELj1ELj8ELb1ELb0ELb1EEEvllPKT_S7_PKT0_SA_PS5_SB_,"axG",@progbits,_ZN2at6native12_GLOBAL__N_135GammaBetaBackwardCUDAKernelTemplateIN3c108BFloat16EfLj32ELj1ELj8ELb1ELb0ELb1EEEvllPKT_S7_PKT0_SA_PS5_SB_,comdat
.Lfunc_end201:
	.size	_ZN2at6native12_GLOBAL__N_135GammaBetaBackwardCUDAKernelTemplateIN3c108BFloat16EfLj32ELj1ELj8ELb1ELb0ELb1EEEvllPKT_S7_PKT0_SA_PS5_SB_, .Lfunc_end201-_ZN2at6native12_GLOBAL__N_135GammaBetaBackwardCUDAKernelTemplateIN3c108BFloat16EfLj32ELj1ELj8ELb1ELb0ELb1EEEvllPKT_S7_PKT0_SA_PS5_SB_
                                        ; -- End function
	.section	.AMDGPU.csdata,"",@progbits
; Kernel info:
; codeLenInByte = 6788
; NumSgprs: 48
; NumVgprs: 100
; NumAgprs: 0
; TotalNumVgprs: 100
; ScratchSize: 0
; MemoryBound: 0
; FloatMode: 240
; IeeeMode: 1
; LDSByteSize: 0 bytes/workgroup (compile time only)
; SGPRBlocks: 5
; VGPRBlocks: 12
; NumSGPRsForWavesPerEU: 48
; NumVGPRsForWavesPerEU: 100
; AccumOffset: 100
; Occupancy: 4
; WaveLimiterHint : 0
; COMPUTE_PGM_RSRC2:SCRATCH_EN: 0
; COMPUTE_PGM_RSRC2:USER_SGPR: 6
; COMPUTE_PGM_RSRC2:TRAP_HANDLER: 0
; COMPUTE_PGM_RSRC2:TGID_X_EN: 1
; COMPUTE_PGM_RSRC2:TGID_Y_EN: 1
; COMPUTE_PGM_RSRC2:TGID_Z_EN: 0
; COMPUTE_PGM_RSRC2:TIDIG_COMP_CNT: 1
; COMPUTE_PGM_RSRC3_GFX90A:ACCUM_OFFSET: 24
; COMPUTE_PGM_RSRC3_GFX90A:TG_SPLIT: 0
	.section	.text._ZN2at6native12_GLOBAL__N_135GammaBetaBackwardCUDAKernelTemplateIN3c108BFloat16EfLj32ELj8ELj64ELb0ELb1ELb1EEEvllPKT_S7_PKT0_SA_PS5_SB_,"axG",@progbits,_ZN2at6native12_GLOBAL__N_135GammaBetaBackwardCUDAKernelTemplateIN3c108BFloat16EfLj32ELj8ELj64ELb0ELb1ELb1EEEvllPKT_S7_PKT0_SA_PS5_SB_,comdat
	.globl	_ZN2at6native12_GLOBAL__N_135GammaBetaBackwardCUDAKernelTemplateIN3c108BFloat16EfLj32ELj8ELj64ELb0ELb1ELb1EEEvllPKT_S7_PKT0_SA_PS5_SB_ ; -- Begin function _ZN2at6native12_GLOBAL__N_135GammaBetaBackwardCUDAKernelTemplateIN3c108BFloat16EfLj32ELj8ELj64ELb0ELb1ELb1EEEvllPKT_S7_PKT0_SA_PS5_SB_
	.p2align	8
	.type	_ZN2at6native12_GLOBAL__N_135GammaBetaBackwardCUDAKernelTemplateIN3c108BFloat16EfLj32ELj8ELj64ELb0ELb1ELb1EEEvllPKT_S7_PKT0_SA_PS5_SB_,@function
_ZN2at6native12_GLOBAL__N_135GammaBetaBackwardCUDAKernelTemplateIN3c108BFloat16EfLj32ELj8ELj64ELb0ELb1ELb1EEEvllPKT_S7_PKT0_SA_PS5_SB_: ; @_ZN2at6native12_GLOBAL__N_135GammaBetaBackwardCUDAKernelTemplateIN3c108BFloat16EfLj32ELj8ELj64ELb0ELb1ELb1EEEvllPKT_S7_PKT0_SA_PS5_SB_
; %bb.0:
	s_load_dwordx4 s[8:11], s[4:5], 0x0
	s_lshl_b32 s16, s7, 6
	s_mov_b32 s17, 0
	v_bfe_u32 v11, v0, 10, 10
	s_waitcnt lgkmcnt(0)
	v_pk_mov_b32 v[2:3], s[8:9], s[8:9] op_sel:[0,1]
	v_cmp_lt_i64_e32 vcc, s[16:17], v[2:3]
	s_cbranch_vccnz .LBB202_2
; %bb.1:
	s_mov_b64 s[0:1], 0
	v_bfe_u32 v2, v0, 10, 10
	s_branch .LBB202_3
.LBB202_2:
	s_mov_b64 s[0:1], -1
                                        ; implicit-def: $vgpr2
.LBB202_3:
	s_load_dwordx2 s[2:3], s[4:5], 0x30
	v_and_b32_e32 v6, 0x3ff, v0
	s_andn2_b64 vcc, exec, s[0:1]
	v_mov_b32_e32 v1, s17
	v_mbcnt_lo_u32_b32 v10, -1, 0
	s_cbranch_vccnz .LBB202_11
; %bb.4:
	s_load_dword s0, s[4:5], 0x4c
	s_load_dword s7, s[4:5], 0x44
	s_load_dwordx4 s[12:15], s[4:5], 0x10
	s_load_dwordx2 s[18:19], s[4:5], 0x28
	v_mbcnt_hi_u32_b32 v4, -1, v10
	v_lshlrev_b32_e32 v2, 3, v11
	s_waitcnt lgkmcnt(0)
	s_and_b32 s0, s0, 0xffff
	v_lshlrev_b32_e32 v4, 2, v4
	v_mad_u32_u24 v0, v11, s0, v6
	v_and_b32_e32 v12, 0x100, v4
	v_mov_b32_e32 v4, s17
	v_add_co_u32_e32 v7, vcc, s16, v2
	v_and_b32_e32 v3, 63, v0
	v_addc_co_u32_e32 v8, vcc, 0, v4, vcc
	v_add_co_u32_e32 v2, vcc, v7, v3
	v_cmp_gt_u32_e64 s[0:1], 8, v3
	v_addc_co_u32_e32 v3, vcc, 0, v8, vcc
	v_lshlrev_b64 v[4:5], 2, v[2:3]
	v_mov_b32_e32 v9, s19
	v_add_co_u32_e32 v4, vcc, s18, v4
	s_lshl_b32 s4, s7, 6
	v_addc_co_u32_e32 v5, vcc, v9, v5, vcc
	v_mul_lo_u32 v20, s11, v7
	v_mul_lo_u32 v21, s10, v8
	v_mad_u64_u32 v[8:9], s[20:21], s10, v7, 0
	v_mov_b32_e32 v1, 0
	v_lshl_add_u32 v0, s6, 5, v6
	v_add3_u32 v9, v9, v21, v20
	s_mul_i32 s7, s11, s4
	s_mul_hi_u32 s20, s10, s4
	s_mov_b32 s5, 0
	v_lshlrev_b64 v[8:9], 1, v[8:9]
	v_lshlrev_b64 v[20:21], 1, v[0:1]
	s_add_i32 s21, s20, s7
	s_mul_i32 s20, s10, s4
	s_lshl_b64 s[18:19], s[4:5], 2
	v_add_co_u32_e32 v0, vcc, v8, v20
	s_lshl_b64 s[20:21], s[20:21], 1
	s_lshl_b64 s[10:11], s[10:11], 1
	v_or_b32_e32 v13, 4, v12
	v_or_b32_e32 v14, 8, v12
	;; [unrolled: 1-line block ×7, first 2 shown]
	v_addc_co_u32_e32 v7, vcc, v9, v21, vcc
	v_mov_b32_e32 v20, s13
	v_mov_b32_e32 v21, s15
	v_mov_b32_e32 v22, s11
	v_mov_b32_e32 v23, s19
	v_mov_b32_e32 v24, s5
	v_mov_b32_e32 v25, s21
	v_pk_mov_b32 v[8:9], s[8:9], s[8:9] op_sel:[0,1]
	s_branch .LBB202_7
.LBB202_5:                              ;   in Loop: Header=BB202_7 Depth=1
	s_or_b64 exec, exec, s[24:25]
.LBB202_6:                              ;   in Loop: Header=BB202_7 Depth=1
	s_or_b64 exec, exec, s[22:23]
	v_add_co_u32_e32 v28, vcc, s12, v0
	v_addc_co_u32_e32 v29, vcc, v20, v7, vcc
	v_add_co_u32_e32 v30, vcc, s14, v0
	v_addc_co_u32_e32 v31, vcc, v21, v7, vcc
	;; [unrolled: 2-line block ×5, first 2 shown]
	v_add_co_u32_e32 v38, vcc, s10, v34
	global_load_ushort v27, v[32:33], off
	global_load_ushort v50, v[28:29], off
	;; [unrolled: 1-line block ×4, first 2 shown]
	v_addc_co_u32_e32 v39, vcc, v35, v22, vcc
	v_add_co_u32_e32 v40, vcc, s10, v36
	v_addc_co_u32_e32 v41, vcc, v37, v22, vcc
	v_add_co_u32_e32 v42, vcc, s10, v38
	v_addc_co_u32_e32 v43, vcc, v39, v22, vcc
	v_add_co_u32_e32 v44, vcc, s10, v40
	v_addc_co_u32_e32 v45, vcc, v41, v22, vcc
	global_load_ushort v53, v[36:37], off
	global_load_ushort v54, v[40:41], off
	;; [unrolled: 1-line block ×4, first 2 shown]
	v_add_co_u32_e32 v46, vcc, s10, v42
	v_addc_co_u32_e32 v47, vcc, v43, v22, vcc
	v_add_co_u32_e32 v48, vcc, s10, v44
	v_addc_co_u32_e32 v49, vcc, v45, v22, vcc
	;; [unrolled: 2-line block ×3, first 2 shown]
	v_add_co_u32_e32 v30, vcc, s10, v48
	global_load_ushort v36, v[48:49], off
	global_load_ushort v37, v[44:45], off
	;; [unrolled: 1-line block ×4, first 2 shown]
	v_addc_co_u32_e32 v31, vcc, v49, v22, vcc
	v_add_co_u32_e32 v32, vcc, s10, v28
	v_addc_co_u32_e32 v33, vcc, v29, v22, vcc
	v_add_co_u32_e32 v28, vcc, s10, v30
	;; [unrolled: 2-line block ×3, first 2 shown]
	v_addc_co_u32_e32 v35, vcc, v33, v22, vcc
	global_load_ushort v40, v[30:31], off
	global_load_ushort v41, v[28:29], off
	;; [unrolled: 1-line block ×4, first 2 shown]
	s_waitcnt vmcnt(16)
	ds_bpermute_b32 v28, v12, v26
	ds_bpermute_b32 v29, v13, v26
	v_add_co_u32_e32 v4, vcc, s18, v4
	v_addc_co_u32_e32 v5, vcc, v5, v23, vcc
	v_add_co_u32_e32 v2, vcc, s4, v2
	v_addc_co_u32_e32 v3, vcc, v3, v24, vcc
	s_add_u32 s16, s16, s4
	v_add_co_u32_e32 v0, vcc, s20, v0
	s_addc_u32 s17, s17, 0
	v_addc_co_u32_e32 v7, vcc, v7, v25, vcc
	v_cmp_lt_i64_e32 vcc, s[16:17], v[8:9]
	s_and_b64 vcc, exec, vcc
	s_waitcnt vmcnt(15)
	v_lshlrev_b32_e32 v31, 16, v27
	s_waitcnt vmcnt(14)
	v_lshlrev_b32_e32 v30, 16, v50
	s_waitcnt vmcnt(13)
	v_lshlrev_b32_e32 v33, 16, v51
	s_waitcnt vmcnt(12)
	v_lshlrev_b32_e32 v32, 16, v52
	v_pk_mul_f32 v[30:31], v[30:31], v[32:33]
	s_waitcnt lgkmcnt(0)
	v_pk_mul_f32 v[28:29], v[30:31], v[28:29]
	v_add_f32_e32 v1, v1, v28
	v_add_f32_e32 v1, v1, v29
	ds_bpermute_b32 v28, v14, v26
	ds_bpermute_b32 v29, v15, v26
	s_waitcnt vmcnt(11)
	v_lshlrev_b32_e32 v30, 16, v53
	s_waitcnt vmcnt(10)
	v_lshlrev_b32_e32 v31, 16, v54
	s_waitcnt vmcnt(9)
	v_lshlrev_b32_e32 v32, 16, v55
	s_waitcnt vmcnt(8)
	v_lshlrev_b32_e32 v33, 16, v56
	v_pk_mul_f32 v[30:31], v[30:31], v[32:33]
	s_waitcnt lgkmcnt(0)
	v_pk_mul_f32 v[28:29], v[30:31], v[28:29]
	v_add_f32_e32 v1, v1, v28
	v_add_f32_e32 v1, v1, v29
	ds_bpermute_b32 v28, v16, v26
	ds_bpermute_b32 v29, v17, v26
	;; [unrolled: 15-line block ×3, first 2 shown]
	s_waitcnt vmcnt(3)
	v_lshlrev_b32_e32 v26, 16, v40
	s_waitcnt vmcnt(2)
	v_lshlrev_b32_e32 v27, 16, v41
	;; [unrolled: 2-line block ×4, first 2 shown]
	v_pk_mul_f32 v[26:27], v[26:27], v[30:31]
	s_waitcnt lgkmcnt(0)
	v_pk_mul_f32 v[26:27], v[26:27], v[28:29]
	v_add_f32_e32 v1, v1, v26
	v_add_f32_e32 v1, v1, v27
	s_cbranch_vccz .LBB202_10
.LBB202_7:                              ; =>This Inner Loop Header: Depth=1
	v_mov_b32_e32 v26, 0
	s_and_saveexec_b64 s[22:23], s[0:1]
	s_cbranch_execz .LBB202_6
; %bb.8:                                ;   in Loop: Header=BB202_7 Depth=1
	v_cmp_gt_i64_e32 vcc, s[8:9], v[2:3]
	v_mov_b32_e32 v26, 0
	s_and_saveexec_b64 s[24:25], vcc
	s_cbranch_execz .LBB202_5
; %bb.9:                                ;   in Loop: Header=BB202_7 Depth=1
	global_load_dword v26, v[4:5], off
	s_branch .LBB202_5
.LBB202_10:
	v_mov_b32_e32 v2, v11
.LBB202_11:
	v_mad_u32_u24 v0, v2, 33, v6
	v_lshl_add_u32 v3, v0, 2, 0
	v_sub_u32_e32 v0, v0, v2
	s_movk_i32 s0, 0x800
	s_mov_b32 s7, 0
	ds_write_b32 v3, v1
	v_mov_b32_e32 v1, 0
	v_cmp_gt_u32_e32 vcc, s0, v0
	ds_write_b32 v3, v1 offset:1056
	s_waitcnt lgkmcnt(0)
	s_barrier
	s_and_saveexec_b64 s[0:1], vcc
	s_cbranch_execz .LBB202_18
; %bb.12:
	v_mbcnt_hi_u32_b32 v4, -1, v10
	v_and_b32_e32 v2, 64, v4
	s_cmp_lg_u64 s[2:3], 0
	v_add_u32_e32 v5, 64, v2
	v_cmp_eq_u32_e64 s[0:1], 0, v6
	s_cselect_b64 s[8:9], -1, 0
	v_xor_b32_e32 v2, 4, v4
	s_and_b64 s[8:9], s[0:1], s[8:9]
	v_cmp_lt_i32_e64 s[0:1], v2, v5
	v_xor_b32_e32 v3, 2, v4
	v_cndmask_b32_e64 v2, v4, v2, s[0:1]
	v_cmp_lt_i32_e64 s[0:1], v3, v5
	v_xor_b32_e32 v6, 1, v4
	v_cndmask_b32_e64 v3, v4, v3, s[0:1]
	v_cmp_lt_i32_e64 s[0:1], v6, v5
	v_lshrrev_b32_e32 v1, 6, v0
	v_and_b32_e32 v0, 63, v0
	v_cndmask_b32_e64 v4, v4, v6, s[0:1]
	s_lshl_b64 s[0:1], s[6:7], 6
	v_cmp_gt_u32_e32 vcc, 8, v0
	v_mul_u32_u24_e32 v0, 0x84, v0
	v_lshlrev_b32_e32 v5, 2, v1
	s_add_u32 s0, s2, s0
	v_add3_u32 v5, v0, v5, 0
	v_lshlrev_b32_e32 v0, 1, v1
	s_addc_u32 s1, s3, s1
	v_add_u32_e32 v6, -4, v1
	v_mov_b32_e32 v1, s1
	v_add_co_u32_e64 v0, s[0:1], s0, v0
	s_mov_b64 s[4:5], 0
	v_lshlrev_b32_e32 v2, 2, v2
	v_lshlrev_b32_e32 v3, 2, v3
	;; [unrolled: 1-line block ×3, first 2 shown]
	v_addc_co_u32_e64 v1, s[0:1], 0, v1, s[0:1]
	s_movk_i32 s6, 0x7fff
	v_mov_b32_e32 v7, 0x7fc0
                                        ; implicit-def: $vgpr8
	s_branch .LBB202_14
.LBB202_13:                             ;   in Loop: Header=BB202_14 Depth=1
	s_or_b64 exec, exec, s[2:3]
	v_add_u32_e32 v6, 4, v6
	v_cmp_lt_u32_e64 s[0:1], 27, v6
	s_or_b64 s[4:5], s[0:1], s[4:5]
	v_add_co_u32_e64 v0, s[0:1], 8, v0
	v_add_u32_e32 v5, 16, v5
	v_addc_co_u32_e64 v1, s[0:1], 0, v1, s[0:1]
	s_andn2_b64 exec, exec, s[4:5]
	s_cbranch_execz .LBB202_18
.LBB202_14:                             ; =>This Inner Loop Header: Depth=1
	s_and_saveexec_b64 s[0:1], vcc
	s_cbranch_execz .LBB202_16
; %bb.15:                               ;   in Loop: Header=BB202_14 Depth=1
	ds_read_b32 v8, v5
.LBB202_16:                             ;   in Loop: Header=BB202_14 Depth=1
	s_or_b64 exec, exec, s[0:1]
	s_waitcnt lgkmcnt(0)
	ds_bpermute_b32 v9, v2, v8
	s_waitcnt lgkmcnt(0)
	v_add_f32_e32 v8, v8, v9
	ds_bpermute_b32 v9, v3, v8
	s_waitcnt lgkmcnt(0)
	v_add_f32_e32 v8, v8, v9
	;; [unrolled: 3-line block ×3, first 2 shown]
	s_and_saveexec_b64 s[2:3], s[8:9]
	s_cbranch_execz .LBB202_13
; %bb.17:                               ;   in Loop: Header=BB202_14 Depth=1
	v_bfe_u32 v9, v8, 16, 1
	v_add3_u32 v9, v8, v9, s6
	v_lshrrev_b32_e32 v9, 16, v9
	v_cmp_o_f32_e64 s[0:1], v8, v8
	v_cndmask_b32_e64 v9, v7, v9, s[0:1]
	global_store_short v[0:1], v9, off
	s_branch .LBB202_13
.LBB202_18:
	s_endpgm
	.section	.rodata,"a",@progbits
	.p2align	6, 0x0
	.amdhsa_kernel _ZN2at6native12_GLOBAL__N_135GammaBetaBackwardCUDAKernelTemplateIN3c108BFloat16EfLj32ELj8ELj64ELb0ELb1ELb1EEEvllPKT_S7_PKT0_SA_PS5_SB_
		.amdhsa_group_segment_fixed_size 0
		.amdhsa_private_segment_fixed_size 0
		.amdhsa_kernarg_size 320
		.amdhsa_user_sgpr_count 6
		.amdhsa_user_sgpr_private_segment_buffer 1
		.amdhsa_user_sgpr_dispatch_ptr 0
		.amdhsa_user_sgpr_queue_ptr 0
		.amdhsa_user_sgpr_kernarg_segment_ptr 1
		.amdhsa_user_sgpr_dispatch_id 0
		.amdhsa_user_sgpr_flat_scratch_init 0
		.amdhsa_user_sgpr_kernarg_preload_length 0
		.amdhsa_user_sgpr_kernarg_preload_offset 0
		.amdhsa_user_sgpr_private_segment_size 0
		.amdhsa_uses_dynamic_stack 0
		.amdhsa_system_sgpr_private_segment_wavefront_offset 0
		.amdhsa_system_sgpr_workgroup_id_x 1
		.amdhsa_system_sgpr_workgroup_id_y 1
		.amdhsa_system_sgpr_workgroup_id_z 0
		.amdhsa_system_sgpr_workgroup_info 0
		.amdhsa_system_vgpr_workitem_id 1
		.amdhsa_next_free_vgpr 57
		.amdhsa_next_free_sgpr 26
		.amdhsa_accum_offset 60
		.amdhsa_reserve_vcc 1
		.amdhsa_reserve_flat_scratch 0
		.amdhsa_float_round_mode_32 0
		.amdhsa_float_round_mode_16_64 0
		.amdhsa_float_denorm_mode_32 3
		.amdhsa_float_denorm_mode_16_64 3
		.amdhsa_dx10_clamp 1
		.amdhsa_ieee_mode 1
		.amdhsa_fp16_overflow 0
		.amdhsa_tg_split 0
		.amdhsa_exception_fp_ieee_invalid_op 0
		.amdhsa_exception_fp_denorm_src 0
		.amdhsa_exception_fp_ieee_div_zero 0
		.amdhsa_exception_fp_ieee_overflow 0
		.amdhsa_exception_fp_ieee_underflow 0
		.amdhsa_exception_fp_ieee_inexact 0
		.amdhsa_exception_int_div_zero 0
	.end_amdhsa_kernel
	.section	.text._ZN2at6native12_GLOBAL__N_135GammaBetaBackwardCUDAKernelTemplateIN3c108BFloat16EfLj32ELj8ELj64ELb0ELb1ELb1EEEvllPKT_S7_PKT0_SA_PS5_SB_,"axG",@progbits,_ZN2at6native12_GLOBAL__N_135GammaBetaBackwardCUDAKernelTemplateIN3c108BFloat16EfLj32ELj8ELj64ELb0ELb1ELb1EEEvllPKT_S7_PKT0_SA_PS5_SB_,comdat
.Lfunc_end202:
	.size	_ZN2at6native12_GLOBAL__N_135GammaBetaBackwardCUDAKernelTemplateIN3c108BFloat16EfLj32ELj8ELj64ELb0ELb1ELb1EEEvllPKT_S7_PKT0_SA_PS5_SB_, .Lfunc_end202-_ZN2at6native12_GLOBAL__N_135GammaBetaBackwardCUDAKernelTemplateIN3c108BFloat16EfLj32ELj8ELj64ELb0ELb1ELb1EEEvllPKT_S7_PKT0_SA_PS5_SB_
                                        ; -- End function
	.section	.AMDGPU.csdata,"",@progbits
; Kernel info:
; codeLenInByte = 1504
; NumSgprs: 30
; NumVgprs: 57
; NumAgprs: 0
; TotalNumVgprs: 57
; ScratchSize: 0
; MemoryBound: 0
; FloatMode: 240
; IeeeMode: 1
; LDSByteSize: 0 bytes/workgroup (compile time only)
; SGPRBlocks: 3
; VGPRBlocks: 7
; NumSGPRsForWavesPerEU: 30
; NumVGPRsForWavesPerEU: 57
; AccumOffset: 60
; Occupancy: 8
; WaveLimiterHint : 0
; COMPUTE_PGM_RSRC2:SCRATCH_EN: 0
; COMPUTE_PGM_RSRC2:USER_SGPR: 6
; COMPUTE_PGM_RSRC2:TRAP_HANDLER: 0
; COMPUTE_PGM_RSRC2:TGID_X_EN: 1
; COMPUTE_PGM_RSRC2:TGID_Y_EN: 1
; COMPUTE_PGM_RSRC2:TGID_Z_EN: 0
; COMPUTE_PGM_RSRC2:TIDIG_COMP_CNT: 1
; COMPUTE_PGM_RSRC3_GFX90A:ACCUM_OFFSET: 14
; COMPUTE_PGM_RSRC3_GFX90A:TG_SPLIT: 0
	.section	.text._ZN2at6native12_GLOBAL__N_135GammaBetaBackwardCUDAKernelTemplateIN3c108BFloat16EfLj32ELj8ELj64ELb0ELb0ELb1EEEvllPKT_S7_PKT0_SA_PS5_SB_,"axG",@progbits,_ZN2at6native12_GLOBAL__N_135GammaBetaBackwardCUDAKernelTemplateIN3c108BFloat16EfLj32ELj8ELj64ELb0ELb0ELb1EEEvllPKT_S7_PKT0_SA_PS5_SB_,comdat
	.globl	_ZN2at6native12_GLOBAL__N_135GammaBetaBackwardCUDAKernelTemplateIN3c108BFloat16EfLj32ELj8ELj64ELb0ELb0ELb1EEEvllPKT_S7_PKT0_SA_PS5_SB_ ; -- Begin function _ZN2at6native12_GLOBAL__N_135GammaBetaBackwardCUDAKernelTemplateIN3c108BFloat16EfLj32ELj8ELj64ELb0ELb0ELb1EEEvllPKT_S7_PKT0_SA_PS5_SB_
	.p2align	8
	.type	_ZN2at6native12_GLOBAL__N_135GammaBetaBackwardCUDAKernelTemplateIN3c108BFloat16EfLj32ELj8ELj64ELb0ELb0ELb1EEEvllPKT_S7_PKT0_SA_PS5_SB_,@function
_ZN2at6native12_GLOBAL__N_135GammaBetaBackwardCUDAKernelTemplateIN3c108BFloat16EfLj32ELj8ELj64ELb0ELb0ELb1EEEvllPKT_S7_PKT0_SA_PS5_SB_: ; @_ZN2at6native12_GLOBAL__N_135GammaBetaBackwardCUDAKernelTemplateIN3c108BFloat16EfLj32ELj8ELj64ELb0ELb0ELb1EEEvllPKT_S7_PKT0_SA_PS5_SB_
; %bb.0:
	s_load_dwordx8 s[12:19], s[4:5], 0x0
	s_load_dwordx2 s[10:11], s[4:5], 0x28
	s_lshl_b32 s33, s6, 5
	s_or_b32 s28, s33, 31
	s_mov_b32 s29, 0
	s_waitcnt lgkmcnt(0)
	v_pk_mov_b32 v[2:3], s[14:15], s[14:15] op_sel:[0,1]
	v_cmp_ge_i64_e32 vcc, s[28:29], v[2:3]
	s_lshl_b32 s28, s7, 6
	v_pk_mov_b32 v[2:3], s[12:13], s[12:13] op_sel:[0,1]
	v_cmp_lt_i64_e64 s[0:1], s[28:29], v[2:3]
	v_cndmask_b32_e64 v1, 0, 1, s[0:1]
	v_cmp_ne_u32_e64 s[0:1], 1, v1
	s_cbranch_vccz .LBB203_49
; %bb.1:
	s_and_b64 vcc, exec, s[0:1]
	v_mov_b32_e32 v2, 0
	s_cbranch_vccnz .LBB203_50
; %bb.2:
	v_and_b32_e32 v59, 0x3ff, v0
	v_bfe_u32 v61, v0, 10, 10
	v_add_u32_e32 v2, s33, v59
	v_mov_b32_e32 v3, 0
	v_lshlrev_b32_e32 v26, 3, v61
	v_cmp_gt_i64_e64 s[2:3], s[14:15], v[2:3]
	v_lshlrev_b64 v[28:29], 1, v[2:3]
	v_mov_b32_e32 v1, s29
	v_add_co_u32_e32 v2, vcc, s28, v26
	v_addc_co_u32_e32 v6, vcc, 0, v1, vcc
	v_add_co_u32_e32 v1, vcc, 7, v2
	v_addc_co_u32_e32 v4, vcc, 0, v6, vcc
	v_mul_lo_u32 v7, s15, v1
	v_mul_lo_u32 v8, s14, v4
	v_mad_u64_u32 v[4:5], s[8:9], s14, v1, 0
	s_load_dword s7, s[4:5], 0x44
	v_add3_u32 v5, v5, v8, v7
	v_lshlrev_b64 v[4:5], 1, v[4:5]
	v_mov_b32_e32 v7, s17
	v_add_co_u32_e32 v30, vcc, s16, v4
	v_addc_co_u32_e32 v1, vcc, v7, v5, vcc
	s_add_u32 s30, s4, 64
	v_mov_b32_e32 v8, s19
	v_add_co_u32_e32 v32, vcc, s18, v4
	s_addc_u32 s31, s5, 0
	s_waitcnt lgkmcnt(0)
	s_lshl_b32 s7, s7, 6
	v_addc_co_u32_e32 v27, vcc, v8, v5, vcc
	s_mul_i32 s8, s15, s7
	s_mul_hi_u32 s9, s14, s7
	v_add_co_u32_e32 v4, vcc, 6, v2
	s_add_i32 s9, s9, s8
	s_mul_i32 s8, s14, s7
	v_addc_co_u32_e32 v5, vcc, 0, v6, vcc
	s_lshl_b64 s[34:35], s[8:9], 1
	v_mul_lo_u32 v9, s15, v4
	v_mul_lo_u32 v10, s14, v5
	v_mad_u64_u32 v[4:5], s[8:9], s14, v4, 0
	v_add3_u32 v5, v5, v10, v9
	v_lshlrev_b64 v[4:5], 1, v[4:5]
	v_add_co_u32_e32 v34, vcc, s16, v4
	v_addc_co_u32_e32 v31, vcc, v7, v5, vcc
	v_add_co_u32_e32 v36, vcc, s18, v4
	v_addc_co_u32_e32 v33, vcc, v8, v5, vcc
	v_add_co_u32_e32 v4, vcc, 5, v2
	v_addc_co_u32_e32 v5, vcc, 0, v6, vcc
	v_mul_lo_u32 v9, s15, v4
	v_mul_lo_u32 v10, s14, v5
	v_mad_u64_u32 v[4:5], s[8:9], s14, v4, 0
	v_add3_u32 v5, v5, v10, v9
	v_lshlrev_b64 v[4:5], 1, v[4:5]
	v_add_co_u32_e32 v38, vcc, s16, v4
	v_addc_co_u32_e32 v35, vcc, v7, v5, vcc
	v_add_co_u32_e32 v40, vcc, s18, v4
	v_addc_co_u32_e32 v37, vcc, v8, v5, vcc
	v_add_co_u32_e32 v4, vcc, 4, v2
	v_addc_co_u32_e32 v5, vcc, 0, v6, vcc
	;; [unrolled: 11-line block ×4, first 2 shown]
	v_mul_lo_u32 v9, s15, v4
	v_mul_lo_u32 v10, s14, v5
	v_mad_u64_u32 v[4:5], s[8:9], s14, v4, 0
	v_add3_u32 v5, v5, v10, v9
	v_lshlrev_b64 v[4:5], 1, v[4:5]
	v_add_co_u32_e32 v50, vcc, s16, v4
	v_addc_co_u32_e32 v47, vcc, v7, v5, vcc
	v_add_co_u32_e32 v52, vcc, s18, v4
	v_addc_co_u32_e32 v49, vcc, v8, v5, vcc
	v_pk_mov_b32 v[4:5], s[14:15], s[14:15] op_sel:[0,1]
	v_mad_u64_u32 v[4:5], s[8:9], s14, v2, v[4:5]
	v_mul_lo_u32 v6, s14, v6
	v_mul_lo_u32 v9, s15, v2
	v_add3_u32 v5, v9, v5, v6
	v_lshlrev_b64 v[4:5], 1, v[4:5]
	v_add_co_u32_e32 v54, vcc, s16, v4
	v_addc_co_u32_e32 v51, vcc, v7, v5, vcc
	v_add_co_u32_e32 v56, vcc, s18, v4
	v_addc_co_u32_e32 v53, vcc, v8, v5, vcc
	v_mad_u64_u32 v[4:5], s[8:9], s14, v2, 0
	v_add3_u32 v5, v5, v6, v9
	v_lshlrev_b64 v[4:5], 1, v[4:5]
	v_add_co_u32_e32 v58, vcc, s16, v4
	v_mbcnt_lo_u32_b32 v2, -1, 0
	v_addc_co_u32_e32 v55, vcc, v7, v5, vcc
	v_mbcnt_hi_u32_b32 v2, -1, v2
	s_add_u32 s36, s28, 63
	v_add_co_u32_e32 v60, vcc, s18, v4
	v_lshlrev_b32_e32 v2, 2, v2
	s_mov_b32 s20, 0
	s_addc_u32 s37, 0, 0
	v_addc_co_u32_e32 v57, vcc, v8, v5, vcc
	v_and_b32_e32 v62, 0x100, v2
	s_mov_b64 s[38:39], s[28:29]
	v_mov_b32_e32 v63, 0
.LBB203_3:                              ; =>This Inner Loop Header: Depth=1
	v_pk_mov_b32 v[4:5], s[12:13], s[12:13] op_sel:[0,1]
	v_cmp_ge_i64_e32 vcc, s[36:37], v[4:5]
	v_mov_b32_e32 v2, s37
	v_add_co_u32_e64 v64, s[8:9], s36, v26
	v_addc_co_u32_e64 v65, s[8:9], 0, v2, s[8:9]
	s_cbranch_vccz .LBB203_25
; %bb.4:                                ;   in Loop: Header=BB203_3 Depth=1
	s_load_dword s8, s[30:31], 0xc
	v_mov_b32_e32 v66, 0
	s_waitcnt lgkmcnt(0)
	s_and_b32 s8, s8, 0xffff
	v_mad_u32_u24 v2, v61, s8, v59
	v_and_b32_e32 v2, 63, v2
	v_cmp_gt_u32_e32 vcc, 8, v2
	s_and_saveexec_b64 s[8:9], vcc
	s_cbranch_execz .LBB203_8
; %bb.5:                                ;   in Loop: Header=BB203_3 Depth=1
	v_add_co_u32_e32 v2, vcc, v64, v2
	v_addc_co_u32_e32 v5, vcc, 0, v65, vcc
	v_add_co_u32_e32 v4, vcc, 0xffffffc1, v2
	v_addc_co_u32_e32 v5, vcc, -1, v5, vcc
	v_cmp_gt_i64_e32 vcc, s[12:13], v[4:5]
	v_mov_b32_e32 v66, 0
	s_and_saveexec_b64 s[22:23], vcc
	s_cbranch_execz .LBB203_7
; %bb.6:                                ;   in Loop: Header=BB203_3 Depth=1
	v_lshlrev_b64 v[4:5], 2, v[4:5]
	v_mov_b32_e32 v2, s11
	v_add_co_u32_e32 v4, vcc, s10, v4
	v_addc_co_u32_e32 v5, vcc, v2, v5, vcc
	global_load_dword v66, v[4:5], off
.LBB203_7:                              ;   in Loop: Header=BB203_3 Depth=1
	s_or_b64 exec, exec, s[22:23]
.LBB203_8:                              ;   in Loop: Header=BB203_3 Depth=1
	s_or_b64 exec, exec, s[8:9]
	s_mov_b32 s21, s20
	v_add_co_u32_e32 v4, vcc, 0xffffffc1, v64
	s_mov_b32 s22, s20
	s_mov_b32 s23, s20
	;; [unrolled: 1-line block ×6, first 2 shown]
	v_pk_mov_b32 v[10:11], s[20:21], s[20:21] op_sel:[0,1]
	v_addc_co_u32_e32 v5, vcc, -1, v65, vcc
	v_pk_mov_b32 v[16:17], s[26:27], s[26:27] op_sel:[0,1]
	v_cmp_gt_i64_e32 vcc, s[12:13], v[4:5]
	v_pk_mov_b32 v[12:13], s[22:23], s[22:23] op_sel:[0,1]
	v_pk_mov_b32 v[14:15], s[24:25], s[24:25] op_sel:[0,1]
	;; [unrolled: 1-line block ×3, first 2 shown]
	s_and_b64 s[40:41], s[2:3], vcc
	v_pk_mov_b32 v[22:23], v[14:15], v[14:15] op_sel:[0,1]
	v_pk_mov_b32 v[20:21], v[12:13], v[12:13] op_sel:[0,1]
	;; [unrolled: 1-line block ×3, first 2 shown]
	s_and_saveexec_b64 s[8:9], s[40:41]
	s_cbranch_execz .LBB203_10
; %bb.9:                                ;   in Loop: Header=BB203_3 Depth=1
	v_add_co_u32_e32 v4, vcc, v58, v28
	v_addc_co_u32_e32 v5, vcc, v55, v29, vcc
	global_load_ushort v2, v[4:5], off
	v_add_co_u32_e32 v4, vcc, v60, v28
	v_addc_co_u32_e32 v5, vcc, v57, v29, vcc
	global_load_ushort v10, v[4:5], off
	v_mov_b32_e32 v8, v3
	v_mov_b32_e32 v9, v3
	;; [unrolled: 1-line block ×13, first 2 shown]
	s_waitcnt vmcnt(1)
	v_lshlrev_b32_e32 v2, 16, v2
	v_pk_mov_b32 v[24:25], v[8:9], v[8:9] op_sel:[0,1]
	v_pk_mov_b32 v[22:23], v[6:7], v[6:7] op_sel:[0,1]
	;; [unrolled: 1-line block ×4, first 2 shown]
	s_waitcnt vmcnt(0)
	v_lshlrev_b32_e32 v10, 16, v10
.LBB203_10:                             ;   in Loop: Header=BB203_3 Depth=1
	s_or_b64 exec, exec, s[8:9]
	v_add_co_u32_e32 v4, vcc, 0xffffffc2, v64
	v_addc_co_u32_e32 v5, vcc, -1, v65, vcc
	v_cmp_gt_i64_e32 vcc, s[12:13], v[4:5]
	s_and_b64 s[22:23], s[2:3], vcc
	s_and_saveexec_b64 s[8:9], s[22:23]
	s_cbranch_execz .LBB203_12
; %bb.11:                               ;   in Loop: Header=BB203_3 Depth=1
	v_add_co_u32_e32 v4, vcc, v54, v28
	v_addc_co_u32_e32 v5, vcc, v51, v29, vcc
	global_load_ushort v2, v[4:5], off
	v_add_co_u32_e32 v4, vcc, v56, v28
	v_addc_co_u32_e32 v5, vcc, v53, v29, vcc
	global_load_ushort v4, v[4:5], off
	s_waitcnt vmcnt(1)
	v_lshlrev_b32_e32 v19, 16, v2
	s_waitcnt vmcnt(0)
	v_lshlrev_b32_e32 v11, 16, v4
.LBB203_12:                             ;   in Loop: Header=BB203_3 Depth=1
	s_or_b64 exec, exec, s[8:9]
	v_add_co_u32_e32 v4, vcc, 0xffffffc3, v64
	v_addc_co_u32_e32 v5, vcc, -1, v65, vcc
	v_cmp_gt_i64_e32 vcc, s[12:13], v[4:5]
	s_and_b64 s[22:23], s[2:3], vcc
	s_and_saveexec_b64 s[8:9], s[22:23]
	s_cbranch_execz .LBB203_14
; %bb.13:                               ;   in Loop: Header=BB203_3 Depth=1
	v_add_co_u32_e32 v4, vcc, v50, v28
	v_addc_co_u32_e32 v5, vcc, v47, v29, vcc
	global_load_ushort v2, v[4:5], off
	v_add_co_u32_e32 v4, vcc, v52, v28
	v_addc_co_u32_e32 v5, vcc, v49, v29, vcc
	global_load_ushort v4, v[4:5], off
	s_waitcnt vmcnt(1)
	v_lshlrev_b32_e32 v20, 16, v2
	s_waitcnt vmcnt(0)
	v_lshlrev_b32_e32 v12, 16, v4
.LBB203_14:                             ;   in Loop: Header=BB203_3 Depth=1
	;; [unrolled: 19-line block ×7, first 2 shown]
	s_or_b64 exec, exec, s[8:9]
	s_waitcnt vmcnt(0)
	ds_bpermute_b32 v4, v62, v66 offset:4
	ds_bpermute_b32 v5, v62, v66 offset:8
	ds_bpermute_b32 v2, v62, v66
	v_mul_f32_e32 v8, v10, v18
	v_pk_mul_f32 v[10:11], v[10:11], v[18:19]
	v_pk_mul_f32 v[12:13], v[12:13], v[20:21]
	v_mov_b32_e32 v10, v11
	v_mov_b32_e32 v11, v12
	s_waitcnt lgkmcnt(1)
	v_pk_mul_f32 v[4:5], v[10:11], v[4:5]
	ds_bpermute_b32 v10, v62, v66 offset:12
	ds_bpermute_b32 v11, v62, v66 offset:16
	s_waitcnt lgkmcnt(2)
	v_fma_f32 v2, v8, v2, v63
	v_pk_mul_f32 v[8:9], v[14:15], v[22:23]
	v_add_f32_e32 v2, v2, v4
	v_add_f32_e32 v2, v2, v5
	v_mov_b32_e32 v4, v13
	v_mov_b32_e32 v5, v8
	s_waitcnt lgkmcnt(0)
	v_pk_mul_f32 v[4:5], v[4:5], v[10:11]
	ds_bpermute_b32 v10, v62, v66 offset:20
	ds_bpermute_b32 v11, v62, v66 offset:24
	v_pk_mul_f32 v[6:7], v[16:17], v[24:25]
	v_add_f32_e32 v2, v2, v4
	ds_bpermute_b32 v4, v62, v66 offset:28
	v_mov_b32_e32 v8, v9
	v_mov_b32_e32 v9, v6
	v_add_f32_e32 v2, v2, v5
	s_waitcnt lgkmcnt(1)
	v_pk_mul_f32 v[6:7], v[8:9], v[10:11]
	v_add_f32_e32 v2, v2, v6
	v_add_f32_e32 v2, v2, v7
	s_branch .LBB203_40
.LBB203_25:                             ;   in Loop: Header=BB203_3 Depth=1
                                        ; implicit-def: $vgpr2
                                        ; implicit-def: $vgpr10_vgpr11_vgpr12_vgpr13_vgpr14_vgpr15_vgpr16_vgpr17
                                        ; implicit-def: $vgpr18_vgpr19_vgpr20_vgpr21_vgpr22_vgpr23_vgpr24_vgpr25
                                        ; implicit-def: $vgpr4
	s_cbranch_execz .LBB203_40
; %bb.26:                               ;   in Loop: Header=BB203_3 Depth=1
	s_load_dword s8, s[30:31], 0x0
	v_mov_b32_e32 v66, 0
	s_waitcnt lgkmcnt(0)
	s_cmp_lt_u32 s6, s8
	s_cselect_b32 s8, 12, 18
	s_add_u32 s8, s30, s8
	s_addc_u32 s9, s31, 0
	global_load_ushort v2, v3, s[8:9]
	s_waitcnt vmcnt(0)
	v_mad_u32_u24 v2, v61, v2, v59
	v_and_b32_e32 v2, 63, v2
	v_cmp_gt_u32_e32 vcc, 8, v2
	s_and_saveexec_b64 s[8:9], vcc
	s_cbranch_execz .LBB203_30
; %bb.27:                               ;   in Loop: Header=BB203_3 Depth=1
	v_add_co_u32_e32 v2, vcc, v64, v2
	v_addc_co_u32_e32 v5, vcc, 0, v65, vcc
	v_add_co_u32_e32 v4, vcc, 0xffffffc1, v2
	v_addc_co_u32_e32 v5, vcc, -1, v5, vcc
	v_cmp_gt_i64_e32 vcc, s[12:13], v[4:5]
	v_mov_b32_e32 v66, 0
	s_and_saveexec_b64 s[22:23], vcc
	s_cbranch_execz .LBB203_29
; %bb.28:                               ;   in Loop: Header=BB203_3 Depth=1
	v_lshlrev_b64 v[4:5], 2, v[4:5]
	v_mov_b32_e32 v2, s11
	v_add_co_u32_e32 v4, vcc, s10, v4
	v_addc_co_u32_e32 v5, vcc, v2, v5, vcc
	global_load_dword v66, v[4:5], off
.LBB203_29:                             ;   in Loop: Header=BB203_3 Depth=1
	s_or_b64 exec, exec, s[22:23]
.LBB203_30:                             ;   in Loop: Header=BB203_3 Depth=1
	s_or_b64 exec, exec, s[8:9]
	s_mov_b32 s21, s20
	s_mov_b32 s22, s20
	;; [unrolled: 1-line block ×7, first 2 shown]
	v_pk_mov_b32 v[10:11], s[20:21], s[20:21] op_sel:[0,1]
	v_pk_mov_b32 v[16:17], s[26:27], s[26:27] op_sel:[0,1]
	;; [unrolled: 1-line block ×8, first 2 shown]
	s_and_saveexec_b64 s[8:9], s[2:3]
	s_cbranch_execnz .LBB203_42
; %bb.31:                               ;   in Loop: Header=BB203_3 Depth=1
	s_or_b64 exec, exec, s[8:9]
	s_and_saveexec_b64 s[8:9], s[2:3]
	s_cbranch_execnz .LBB203_43
.LBB203_32:                             ;   in Loop: Header=BB203_3 Depth=1
	s_or_b64 exec, exec, s[8:9]
	s_and_saveexec_b64 s[8:9], s[2:3]
	s_cbranch_execnz .LBB203_44
.LBB203_33:                             ;   in Loop: Header=BB203_3 Depth=1
	s_or_b64 exec, exec, s[8:9]
	s_and_saveexec_b64 s[8:9], s[2:3]
	s_cbranch_execnz .LBB203_45
.LBB203_34:                             ;   in Loop: Header=BB203_3 Depth=1
	s_or_b64 exec, exec, s[8:9]
	s_and_saveexec_b64 s[8:9], s[2:3]
	s_cbranch_execnz .LBB203_46
.LBB203_35:                             ;   in Loop: Header=BB203_3 Depth=1
	s_or_b64 exec, exec, s[8:9]
	s_and_saveexec_b64 s[8:9], s[2:3]
	s_cbranch_execnz .LBB203_47
.LBB203_36:                             ;   in Loop: Header=BB203_3 Depth=1
	s_or_b64 exec, exec, s[8:9]
	s_and_saveexec_b64 s[8:9], s[2:3]
	s_cbranch_execnz .LBB203_48
.LBB203_37:                             ;   in Loop: Header=BB203_3 Depth=1
	s_or_b64 exec, exec, s[8:9]
	s_and_saveexec_b64 s[8:9], s[2:3]
	s_cbranch_execz .LBB203_39
.LBB203_38:                             ;   in Loop: Header=BB203_3 Depth=1
	v_add_co_u32_e32 v4, vcc, v30, v28
	v_addc_co_u32_e32 v5, vcc, v1, v29, vcc
	global_load_ushort v2, v[4:5], off
	v_add_co_u32_e32 v4, vcc, v32, v28
	v_addc_co_u32_e32 v5, vcc, v27, v29, vcc
	global_load_ushort v4, v[4:5], off
	s_waitcnt vmcnt(1)
	v_lshlrev_b32_e32 v25, 16, v2
	s_waitcnt vmcnt(0)
	v_lshlrev_b32_e32 v17, 16, v4
.LBB203_39:                             ;   in Loop: Header=BB203_3 Depth=1
	s_or_b64 exec, exec, s[8:9]
	s_waitcnt vmcnt(0)
	ds_bpermute_b32 v4, v62, v66 offset:4
	ds_bpermute_b32 v5, v62, v66 offset:8
	ds_bpermute_b32 v2, v62, v66
	v_mul_f32_e32 v8, v10, v18
	v_pk_mul_f32 v[10:11], v[10:11], v[18:19]
	v_pk_mul_f32 v[12:13], v[12:13], v[20:21]
	v_mov_b32_e32 v10, v11
	v_mov_b32_e32 v11, v12
	s_waitcnt lgkmcnt(1)
	v_pk_mul_f32 v[4:5], v[10:11], v[4:5]
	ds_bpermute_b32 v10, v62, v66 offset:12
	ds_bpermute_b32 v11, v62, v66 offset:16
	s_waitcnt lgkmcnt(2)
	v_fmac_f32_e32 v63, v8, v2
	v_pk_mul_f32 v[8:9], v[14:15], v[22:23]
	v_add_f32_e32 v2, v63, v4
	v_add_f32_e32 v2, v2, v5
	v_mov_b32_e32 v4, v13
	v_mov_b32_e32 v5, v8
	s_waitcnt lgkmcnt(0)
	v_pk_mul_f32 v[4:5], v[4:5], v[10:11]
	ds_bpermute_b32 v10, v62, v66 offset:20
	ds_bpermute_b32 v11, v62, v66 offset:24
	v_pk_mul_f32 v[6:7], v[16:17], v[24:25]
	v_add_f32_e32 v2, v2, v4
	v_mov_b32_e32 v8, v9
	v_mov_b32_e32 v9, v6
	v_add_f32_e32 v2, v2, v5
	s_waitcnt lgkmcnt(0)
	v_pk_mul_f32 v[6:7], v[8:9], v[10:11]
	v_add_f32_e32 v2, v2, v6
	ds_bpermute_b32 v4, v62, v66 offset:28
	v_add_f32_e32 v2, v2, v7
.LBB203_40:                             ;   in Loop: Header=BB203_3 Depth=1
	v_mul_f32_e32 v5, v25, v17
	s_waitcnt lgkmcnt(0)
	v_fmac_f32_e32 v2, v5, v4
	v_mov_b32_e32 v4, s35
	v_add_co_u32_e32 v30, vcc, s34, v30
	v_addc_co_u32_e32 v1, vcc, v1, v4, vcc
	v_add_co_u32_e32 v32, vcc, s34, v32
	v_addc_co_u32_e32 v27, vcc, v27, v4, vcc
	;; [unrolled: 2-line block ×15, first 2 shown]
	s_add_u32 s38, s38, s7
	v_add_co_u32_e32 v60, vcc, s34, v60
	s_addc_u32 s39, s39, 0
	v_addc_co_u32_e32 v57, vcc, v57, v4, vcc
	v_pk_mov_b32 v[4:5], s[12:13], s[12:13] op_sel:[0,1]
	s_add_u32 s36, s36, s7
	v_cmp_lt_i64_e32 vcc, s[38:39], v[4:5]
	s_addc_u32 s37, s37, 0
	s_cbranch_vccz .LBB203_50
; %bb.41:                               ;   in Loop: Header=BB203_3 Depth=1
	v_mov_b32_e32 v63, v2
	s_branch .LBB203_3
.LBB203_42:                             ;   in Loop: Header=BB203_3 Depth=1
	v_add_co_u32_e32 v4, vcc, v58, v28
	v_addc_co_u32_e32 v5, vcc, v55, v29, vcc
	global_load_ushort v2, v[4:5], off
	v_add_co_u32_e32 v4, vcc, v60, v28
	v_addc_co_u32_e32 v5, vcc, v57, v29, vcc
	global_load_ushort v10, v[4:5], off
	v_mov_b32_e32 v8, v3
	v_mov_b32_e32 v9, v3
	;; [unrolled: 1-line block ×13, first 2 shown]
	s_waitcnt vmcnt(1)
	v_lshlrev_b32_e32 v2, 16, v2
	v_pk_mov_b32 v[24:25], v[8:9], v[8:9] op_sel:[0,1]
	v_pk_mov_b32 v[22:23], v[6:7], v[6:7] op_sel:[0,1]
	;; [unrolled: 1-line block ×4, first 2 shown]
	s_waitcnt vmcnt(0)
	v_lshlrev_b32_e32 v10, 16, v10
	s_or_b64 exec, exec, s[8:9]
	s_and_saveexec_b64 s[8:9], s[2:3]
	s_cbranch_execz .LBB203_32
.LBB203_43:                             ;   in Loop: Header=BB203_3 Depth=1
	v_add_co_u32_e32 v4, vcc, v54, v28
	v_addc_co_u32_e32 v5, vcc, v51, v29, vcc
	global_load_ushort v2, v[4:5], off
	v_add_co_u32_e32 v4, vcc, v56, v28
	v_addc_co_u32_e32 v5, vcc, v53, v29, vcc
	global_load_ushort v4, v[4:5], off
	s_waitcnt vmcnt(1)
	v_lshlrev_b32_e32 v19, 16, v2
	s_waitcnt vmcnt(0)
	v_lshlrev_b32_e32 v11, 16, v4
	s_or_b64 exec, exec, s[8:9]
	s_and_saveexec_b64 s[8:9], s[2:3]
	s_cbranch_execz .LBB203_33
.LBB203_44:                             ;   in Loop: Header=BB203_3 Depth=1
	v_add_co_u32_e32 v4, vcc, v50, v28
	v_addc_co_u32_e32 v5, vcc, v47, v29, vcc
	global_load_ushort v2, v[4:5], off
	v_add_co_u32_e32 v4, vcc, v52, v28
	v_addc_co_u32_e32 v5, vcc, v49, v29, vcc
	global_load_ushort v4, v[4:5], off
	s_waitcnt vmcnt(1)
	v_lshlrev_b32_e32 v20, 16, v2
	s_waitcnt vmcnt(0)
	v_lshlrev_b32_e32 v12, 16, v4
	s_or_b64 exec, exec, s[8:9]
	s_and_saveexec_b64 s[8:9], s[2:3]
	s_cbranch_execz .LBB203_34
.LBB203_45:                             ;   in Loop: Header=BB203_3 Depth=1
	v_add_co_u32_e32 v4, vcc, v46, v28
	v_addc_co_u32_e32 v5, vcc, v43, v29, vcc
	global_load_ushort v2, v[4:5], off
	v_add_co_u32_e32 v4, vcc, v48, v28
	v_addc_co_u32_e32 v5, vcc, v45, v29, vcc
	global_load_ushort v4, v[4:5], off
	s_waitcnt vmcnt(1)
	v_lshlrev_b32_e32 v21, 16, v2
	s_waitcnt vmcnt(0)
	v_lshlrev_b32_e32 v13, 16, v4
	s_or_b64 exec, exec, s[8:9]
	s_and_saveexec_b64 s[8:9], s[2:3]
	s_cbranch_execz .LBB203_35
.LBB203_46:                             ;   in Loop: Header=BB203_3 Depth=1
	v_add_co_u32_e32 v4, vcc, v42, v28
	v_addc_co_u32_e32 v5, vcc, v39, v29, vcc
	global_load_ushort v2, v[4:5], off
	v_add_co_u32_e32 v4, vcc, v44, v28
	v_addc_co_u32_e32 v5, vcc, v41, v29, vcc
	global_load_ushort v4, v[4:5], off
	s_waitcnt vmcnt(1)
	v_lshlrev_b32_e32 v22, 16, v2
	s_waitcnt vmcnt(0)
	v_lshlrev_b32_e32 v14, 16, v4
	s_or_b64 exec, exec, s[8:9]
	s_and_saveexec_b64 s[8:9], s[2:3]
	s_cbranch_execz .LBB203_36
.LBB203_47:                             ;   in Loop: Header=BB203_3 Depth=1
	v_add_co_u32_e32 v4, vcc, v38, v28
	v_addc_co_u32_e32 v5, vcc, v35, v29, vcc
	global_load_ushort v2, v[4:5], off
	v_add_co_u32_e32 v4, vcc, v40, v28
	v_addc_co_u32_e32 v5, vcc, v37, v29, vcc
	global_load_ushort v4, v[4:5], off
	s_waitcnt vmcnt(1)
	v_lshlrev_b32_e32 v23, 16, v2
	s_waitcnt vmcnt(0)
	v_lshlrev_b32_e32 v15, 16, v4
	s_or_b64 exec, exec, s[8:9]
	s_and_saveexec_b64 s[8:9], s[2:3]
	s_cbranch_execz .LBB203_37
.LBB203_48:                             ;   in Loop: Header=BB203_3 Depth=1
	v_add_co_u32_e32 v4, vcc, v34, v28
	v_addc_co_u32_e32 v5, vcc, v31, v29, vcc
	global_load_ushort v2, v[4:5], off
	v_add_co_u32_e32 v4, vcc, v36, v28
	v_addc_co_u32_e32 v5, vcc, v33, v29, vcc
	global_load_ushort v4, v[4:5], off
	s_waitcnt vmcnt(1)
	v_lshlrev_b32_e32 v24, 16, v2
	s_waitcnt vmcnt(0)
	v_lshlrev_b32_e32 v16, 16, v4
	s_or_b64 exec, exec, s[8:9]
	s_and_saveexec_b64 s[8:9], s[2:3]
	s_cbranch_execnz .LBB203_38
	s_branch .LBB203_39
.LBB203_49:
                                        ; implicit-def: $vgpr2
	s_branch .LBB203_51
.LBB203_50:
	s_cbranch_execnz .LBB203_83
.LBB203_51:
	s_and_b64 vcc, exec, s[0:1]
	v_mov_b32_e32 v2, 0
	s_cbranch_vccnz .LBB203_83
; %bb.52:
	s_load_dword s0, s[4:5], 0x44
	s_add_u32 s2, s4, 64
	s_addc_u32 s3, s5, 0
	v_bfe_u32 v85, v0, 10, 10
	v_lshlrev_b32_e32 v1, 4, v85
	s_waitcnt lgkmcnt(0)
	s_lshl_b32 s7, s0, 6
	s_add_u32 s8, s28, 63
	s_addc_u32 s9, 0, 0
	s_lshl_b64 s[0:1], s[28:29], 1
	v_mov_b32_e32 v2, s1
	v_add_co_u32_e32 v1, vcc, s0, v1
	v_addc_co_u32_e32 v4, vcc, 0, v2, vcc
	v_add_co_u32_e32 v6, vcc, 2, v1
	v_addc_co_u32_e32 v5, vcc, 0, v4, vcc
	v_add_co_u32_e32 v9, vcc, 4, v1
	v_mul_lo_u32 v7, s14, v5
	v_addc_co_u32_e32 v5, vcc, 0, v4, vcc
	v_add_co_u32_e32 v12, vcc, 6, v1
	v_mul_lo_u32 v10, s14, v5
	;; [unrolled: 3-line block ×5, first 2 shown]
	v_addc_co_u32_e32 v5, vcc, 0, v4, vcc
	v_add_co_u32_e32 v24, vcc, 14, v1
	v_lshlrev_b32_e32 v26, 3, v85
	v_addc_co_u32_e32 v1, vcc, 0, v4, vcc
	v_mul_lo_u32 v25, s14, v1
	v_mov_b32_e32 v1, s29
	v_add_co_u32_e32 v43, vcc, s28, v26
	v_pk_mov_b32 v[2:3], s[16:17], s[16:17] op_sel:[0,1]
	v_addc_co_u32_e32 v59, vcc, 0, v1, vcc
	v_mad_u64_u32 v[28:29], s[0:1], s14, v6, v[2:3]
	v_mad_u64_u32 v[30:31], s[0:1], s14, v9, v[2:3]
	;; [unrolled: 1-line block ×7, first 2 shown]
	v_mul_lo_u32 v60, s15, v43
	v_mul_lo_u32 v61, s14, v59
	v_mad_u64_u32 v[2:3], s[0:1], s14, v43, 0
	v_add3_u32 v3, v3, v61, v60
	v_lshlrev_b64 v[2:3], 1, v[2:3]
	v_mul_lo_u32 v22, s14, v5
	v_mov_b32_e32 v81, s17
	v_add_co_u32_e32 v42, vcc, s16, v2
	v_pk_mov_b32 v[4:5], s[18:19], s[18:19] op_sel:[0,1]
	v_mul_lo_u32 v17, s15, v15
	v_addc_co_u32_e32 v1, vcc, v81, v3, vcc
	v_mad_u64_u32 v[50:51], s[0:1], s14, v15, v[4:5]
	v_add3_u32 v35, v17, v35, v16
	v_mul_lo_u32 v27, s15, v24
	v_add3_u32 v51, v17, v51, v16
	v_mad_u64_u32 v[56:57], s[0:1], s14, v24, v[4:5]
	v_mov_b32_e32 v16, s19
	v_add_co_u32_e32 v58, vcc, s18, v2
	v_add3_u32 v41, v27, v41, v25
	v_add3_u32 v57, v27, v57, v25
	v_addc_co_u32_e32 v27, vcc, v16, v3, vcc
	v_add_co_u32_e32 v2, vcc, 7, v43
	v_addc_co_u32_e32 v3, vcc, 0, v59, vcc
	v_mad_u64_u32 v[44:45], s[0:1], s14, v6, v[4:5]
	v_mad_u64_u32 v[46:47], s[0:1], s14, v9, v[4:5]
	;; [unrolled: 1-line block ×5, first 2 shown]
	v_mul_lo_u32 v4, s15, v2
	v_mul_lo_u32 v5, s14, v3
	v_mad_u64_u32 v[2:3], s[0:1], s14, v2, 0
	v_add3_u32 v3, v3, v5, v4
	v_add_co_u32_e32 v4, vcc, 6, v43
	v_mul_lo_u32 v8, s15, v6
	v_addc_co_u32_e32 v5, vcc, 0, v59, vcc
	v_add3_u32 v29, v8, v29, v7
	v_add3_u32 v45, v8, v45, v7
	v_mul_lo_u32 v6, s15, v4
	v_mul_lo_u32 v7, s14, v5
	v_mad_u64_u32 v[4:5], s[0:1], s14, v4, 0
	v_add3_u32 v5, v5, v7, v6
	v_add_co_u32_e32 v6, vcc, 5, v43
	v_addc_co_u32_e32 v7, vcc, 0, v59, vcc
	v_mul_lo_u32 v11, s15, v9
	v_mul_lo_u32 v8, s15, v6
	;; [unrolled: 1-line block ×3, first 2 shown]
	v_mad_u64_u32 v[6:7], s[0:1], s14, v6, 0
	v_add3_u32 v7, v7, v9, v8
	v_add_co_u32_e32 v8, vcc, 4, v43
	v_addc_co_u32_e32 v9, vcc, 0, v59, vcc
	v_add3_u32 v31, v11, v31, v10
	v_add3_u32 v47, v11, v47, v10
	v_mul_lo_u32 v10, s15, v8
	v_mul_lo_u32 v11, s14, v9
	v_mad_u64_u32 v[8:9], s[0:1], s14, v8, 0
	v_add3_u32 v9, v9, v11, v10
	v_add_co_u32_e32 v10, vcc, 3, v43
	v_mul_lo_u32 v14, s15, v12
	v_addc_co_u32_e32 v11, vcc, 0, v59, vcc
	v_add3_u32 v33, v14, v33, v13
	v_add3_u32 v49, v14, v49, v13
	v_mul_lo_u32 v12, s15, v10
	v_mul_lo_u32 v13, s14, v11
	v_mad_u64_u32 v[10:11], s[0:1], s14, v10, 0
	v_add3_u32 v11, v11, v13, v12
	v_add_co_u32_e32 v12, vcc, 2, v43
	v_addc_co_u32_e32 v13, vcc, 0, v59, vcc
	v_mul_lo_u32 v14, s15, v12
	v_mul_lo_u32 v15, s14, v13
	v_mad_u64_u32 v[12:13], s[0:1], s14, v12, 0
	v_add3_u32 v13, v13, v15, v14
	v_pk_mov_b32 v[14:15], s[14:15], s[14:15] op_sel:[0,1]
	v_lshlrev_b64 v[2:3], 1, v[2:3]
	v_mad_u64_u32 v[14:15], s[0:1], s14, v43, v[14:15]
	v_add3_u32 v15, v60, v15, v61
	v_add_co_u32_e32 v60, vcc, s16, v2
	v_addc_co_u32_e32 v43, vcc, v81, v3, vcc
	v_add_co_u32_e32 v62, vcc, s18, v2
	v_addc_co_u32_e32 v59, vcc, v16, v3, vcc
	v_lshlrev_b64 v[2:3], 1, v[4:5]
	v_add_co_u32_e32 v64, vcc, s16, v2
	v_addc_co_u32_e32 v61, vcc, v81, v3, vcc
	v_add_co_u32_e32 v66, vcc, s18, v2
	v_addc_co_u32_e32 v63, vcc, v16, v3, vcc
	v_lshlrev_b64 v[2:3], 1, v[6:7]
	;; [unrolled: 5-line block ×6, first 2 shown]
	v_add_co_u32_e32 v84, vcc, s16, v2
	v_addc_co_u32_e32 v81, vcc, v81, v3, vcc
	v_mbcnt_lo_u32_b32 v4, -1, 0
	v_add_co_u32_e32 v86, vcc, s18, v2
	v_and_b32_e32 v87, 0x3ff, v0
	s_mul_i32 s0, s15, s7
	s_mul_hi_u32 s1, s14, s7
	v_mbcnt_hi_u32_b32 v4, -1, v4
	v_mul_lo_u32 v20, s15, v18
	v_mul_lo_u32 v23, s15, v21
	v_addc_co_u32_e32 v83, vcc, v16, v3, vcc
	v_add_u32_e32 v2, s33, v87
	v_mov_b32_e32 v3, 0
	s_add_i32 s1, s1, s0
	s_mul_i32 s0, s14, s7
	v_lshlrev_b32_e32 v4, 2, v4
	v_add3_u32 v37, v20, v37, v19
	v_add3_u32 v39, v23, v39, v22
	;; [unrolled: 1-line block ×4, first 2 shown]
	s_mov_b32 s16, 0
	s_lshl_b64 s[24:25], s[0:1], 1
	v_and_b32_e32 v90, 0x100, v4
	v_mov_b32_e32 v91, 0
	v_lshlrev_b64 v[88:89], 1, v[2:3]
.LBB203_53:                             ; =>This Inner Loop Header: Depth=1
	v_pk_mov_b32 v[4:5], s[12:13], s[12:13] op_sel:[0,1]
	v_cmp_ge_i64_e32 vcc, s[8:9], v[4:5]
	v_mov_b32_e32 v2, s9
	v_add_co_u32_e64 v92, s[0:1], s8, v26
	v_addc_co_u32_e64 v93, s[0:1], 0, v2, s[0:1]
	s_cbranch_vccz .LBB203_75
; %bb.54:                               ;   in Loop: Header=BB203_53 Depth=1
	s_load_dword s0, s[2:3], 0xc
	v_mov_b32_e32 v94, 0
	s_waitcnt lgkmcnt(0)
	s_and_b32 s0, s0, 0xffff
	v_mad_u32_u24 v2, v85, s0, v87
	v_and_b32_e32 v2, 63, v2
	v_cmp_gt_u32_e32 vcc, 8, v2
	s_and_saveexec_b64 s[0:1], vcc
	s_cbranch_execz .LBB203_58
; %bb.55:                               ;   in Loop: Header=BB203_53 Depth=1
	v_add_co_u32_e32 v2, vcc, v92, v2
	v_addc_co_u32_e32 v5, vcc, 0, v93, vcc
	v_add_co_u32_e32 v4, vcc, 0xffffffc1, v2
	v_addc_co_u32_e32 v5, vcc, -1, v5, vcc
	v_cmp_gt_i64_e32 vcc, s[12:13], v[4:5]
	v_mov_b32_e32 v94, 0
	s_and_saveexec_b64 s[18:19], vcc
	s_cbranch_execz .LBB203_57
; %bb.56:                               ;   in Loop: Header=BB203_53 Depth=1
	v_lshlrev_b64 v[4:5], 2, v[4:5]
	v_mov_b32_e32 v2, s11
	v_add_co_u32_e32 v4, vcc, s10, v4
	v_addc_co_u32_e32 v5, vcc, v2, v5, vcc
	global_load_dword v94, v[4:5], off
.LBB203_57:                             ;   in Loop: Header=BB203_53 Depth=1
	s_or_b64 exec, exec, s[18:19]
.LBB203_58:                             ;   in Loop: Header=BB203_53 Depth=1
	s_or_b64 exec, exec, s[0:1]
	s_mov_b32 s17, s16
	s_mov_b32 s18, s16
	s_mov_b32 s19, s16
	s_mov_b32 s20, s16
	s_mov_b32 s21, s16
	s_mov_b32 s22, s16
	s_mov_b32 s23, s16
	v_pk_mov_b32 v[10:11], s[16:17], s[16:17] op_sel:[0,1]
	v_add_co_u32_e32 v4, vcc, 0xffffffc1, v92
	v_pk_mov_b32 v[16:17], s[22:23], s[22:23] op_sel:[0,1]
	v_addc_co_u32_e32 v5, vcc, -1, v93, vcc
	v_pk_mov_b32 v[12:13], s[18:19], s[18:19] op_sel:[0,1]
	v_pk_mov_b32 v[14:15], s[20:21], s[20:21] op_sel:[0,1]
	;; [unrolled: 1-line block ×3, first 2 shown]
	v_cmp_gt_i64_e32 vcc, s[12:13], v[4:5]
	v_pk_mov_b32 v[22:23], v[14:15], v[14:15] op_sel:[0,1]
	v_pk_mov_b32 v[20:21], v[12:13], v[12:13] op_sel:[0,1]
	;; [unrolled: 1-line block ×3, first 2 shown]
	s_and_saveexec_b64 s[0:1], vcc
	s_cbranch_execz .LBB203_60
; %bb.59:                               ;   in Loop: Header=BB203_53 Depth=1
	v_add_co_u32_e32 v4, vcc, v42, v88
	v_addc_co_u32_e32 v5, vcc, v1, v89, vcc
	global_load_ushort v2, v[4:5], off
	v_add_co_u32_e32 v4, vcc, v58, v88
	v_addc_co_u32_e32 v5, vcc, v27, v89, vcc
	global_load_ushort v10, v[4:5], off
	v_mov_b32_e32 v8, v3
	v_mov_b32_e32 v9, v3
	v_mov_b32_e32 v4, v3
	v_mov_b32_e32 v5, v3
	v_mov_b32_e32 v6, v3
	v_mov_b32_e32 v7, v3
	v_mov_b32_e32 v11, v3
	v_mov_b32_e32 v12, v3
	v_mov_b32_e32 v13, v3
	v_mov_b32_e32 v14, v3
	v_mov_b32_e32 v15, v3
	v_mov_b32_e32 v16, v3
	v_mov_b32_e32 v17, v3
	s_waitcnt vmcnt(1)
	v_lshlrev_b32_e32 v2, 16, v2
	v_pk_mov_b32 v[24:25], v[8:9], v[8:9] op_sel:[0,1]
	v_pk_mov_b32 v[22:23], v[6:7], v[6:7] op_sel:[0,1]
	;; [unrolled: 1-line block ×4, first 2 shown]
	s_waitcnt vmcnt(0)
	v_lshlrev_b32_e32 v10, 16, v10
.LBB203_60:                             ;   in Loop: Header=BB203_53 Depth=1
	s_or_b64 exec, exec, s[0:1]
	v_add_co_u32_e32 v4, vcc, 0xffffffc2, v92
	v_addc_co_u32_e32 v5, vcc, -1, v93, vcc
	v_cmp_gt_i64_e32 vcc, s[12:13], v[4:5]
	s_and_saveexec_b64 s[0:1], vcc
	s_cbranch_execz .LBB203_62
; %bb.61:                               ;   in Loop: Header=BB203_53 Depth=1
	v_add_co_u32_e32 v4, vcc, v84, v88
	v_addc_co_u32_e32 v5, vcc, v81, v89, vcc
	global_load_ushort v2, v[4:5], off
	v_add_co_u32_e32 v4, vcc, v86, v88
	v_addc_co_u32_e32 v5, vcc, v83, v89, vcc
	global_load_ushort v4, v[4:5], off
	s_waitcnt vmcnt(1)
	v_lshlrev_b32_e32 v19, 16, v2
	s_waitcnt vmcnt(0)
	v_lshlrev_b32_e32 v11, 16, v4
.LBB203_62:                             ;   in Loop: Header=BB203_53 Depth=1
	s_or_b64 exec, exec, s[0:1]
	v_add_co_u32_e32 v4, vcc, 0xffffffc3, v92
	v_addc_co_u32_e32 v5, vcc, -1, v93, vcc
	v_cmp_gt_i64_e32 vcc, s[12:13], v[4:5]
	s_and_saveexec_b64 s[0:1], vcc
	s_cbranch_execz .LBB203_64
; %bb.63:                               ;   in Loop: Header=BB203_53 Depth=1
	v_add_co_u32_e32 v4, vcc, v80, v88
	v_addc_co_u32_e32 v5, vcc, v77, v89, vcc
	global_load_ushort v2, v[4:5], off
	v_add_co_u32_e32 v4, vcc, v82, v88
	v_addc_co_u32_e32 v5, vcc, v79, v89, vcc
	global_load_ushort v4, v[4:5], off
	s_waitcnt vmcnt(1)
	v_lshlrev_b32_e32 v20, 16, v2
	s_waitcnt vmcnt(0)
	v_lshlrev_b32_e32 v12, 16, v4
.LBB203_64:                             ;   in Loop: Header=BB203_53 Depth=1
	;; [unrolled: 18-line block ×7, first 2 shown]
	s_or_b64 exec, exec, s[0:1]
	s_waitcnt vmcnt(0)
	ds_bpermute_b32 v4, v90, v94
	ds_bpermute_b32 v5, v90, v94 offset:4
	v_pk_mul_f32 v[8:9], v[14:15], v[22:23]
	ds_bpermute_b32 v14, v90, v94 offset:8
	ds_bpermute_b32 v15, v90, v94 offset:12
	v_pk_mul_f32 v[10:11], v[10:11], v[18:19]
	s_waitcnt lgkmcnt(2)
	v_pk_mul_f32 v[4:5], v[10:11], v[4:5]
	ds_bpermute_b32 v10, v90, v94 offset:16
	ds_bpermute_b32 v11, v90, v94 offset:20
	v_pk_mul_f32 v[12:13], v[12:13], v[20:21]
	v_add_f32_e32 v2, v91, v4
	v_add_f32_e32 v2, v2, v5
	s_waitcnt lgkmcnt(2)
	v_pk_mul_f32 v[4:5], v[12:13], v[14:15]
	ds_bpermute_b32 v12, v90, v94 offset:24
	ds_bpermute_b32 v13, v90, v94 offset:28
	v_add_f32_e32 v2, v2, v4
	v_add_f32_e32 v2, v2, v5
	s_waitcnt lgkmcnt(2)
	v_pk_mul_f32 v[4:5], v[8:9], v[10:11]
	v_pk_mul_f32 v[6:7], v[16:17], v[24:25]
	v_add_f32_e32 v2, v2, v4
	v_add_f32_e32 v2, v2, v5
	s_waitcnt lgkmcnt(0)
	v_pk_mul_f32 v[4:5], v[6:7], v[12:13]
	v_add_f32_e32 v2, v2, v4
	v_add_f32_e32 v2, v2, v5
	s_branch .LBB203_81
.LBB203_75:                             ;   in Loop: Header=BB203_53 Depth=1
                                        ; implicit-def: $vgpr2
	s_cbranch_execz .LBB203_81
; %bb.76:                               ;   in Loop: Header=BB203_53 Depth=1
	s_load_dword s0, s[2:3], 0x0
	s_waitcnt lgkmcnt(0)
	s_cmp_lt_u32 s6, s0
	s_cselect_b32 s0, 12, 18
	s_add_u32 s0, s2, s0
	s_addc_u32 s1, s3, 0
	global_load_ushort v2, v3, s[0:1]
	s_waitcnt vmcnt(0)
	v_mad_u32_u24 v2, v85, v2, v87
	v_and_b32_e32 v4, 63, v2
	v_cmp_gt_u32_e32 vcc, 8, v4
	v_mov_b32_e32 v2, 0
	s_and_saveexec_b64 s[0:1], vcc
	s_cbranch_execz .LBB203_80
; %bb.77:                               ;   in Loop: Header=BB203_53 Depth=1
	v_add_co_u32_e32 v2, vcc, v92, v4
	v_addc_co_u32_e32 v5, vcc, 0, v93, vcc
	v_add_co_u32_e32 v4, vcc, 0xffffffc1, v2
	v_addc_co_u32_e32 v5, vcc, -1, v5, vcc
	v_cmp_gt_i64_e32 vcc, s[12:13], v[4:5]
	v_mov_b32_e32 v2, 0
	s_and_saveexec_b64 s[18:19], vcc
	s_cbranch_execz .LBB203_79
; %bb.78:                               ;   in Loop: Header=BB203_53 Depth=1
	v_lshlrev_b64 v[4:5], 2, v[4:5]
	v_mov_b32_e32 v2, s11
	v_add_co_u32_e32 v4, vcc, s10, v4
	v_addc_co_u32_e32 v5, vcc, v2, v5, vcc
	global_load_dword v2, v[4:5], off
.LBB203_79:                             ;   in Loop: Header=BB203_53 Depth=1
	s_or_b64 exec, exec, s[18:19]
.LBB203_80:                             ;   in Loop: Header=BB203_53 Depth=1
	s_or_b64 exec, exec, s[0:1]
	v_add_co_u32_e32 v4, vcc, v42, v88
	v_addc_co_u32_e32 v5, vcc, v1, v89, vcc
	v_add_co_u32_e32 v6, vcc, v58, v88
	v_addc_co_u32_e32 v7, vcc, v27, v89, vcc
	;; [unrolled: 2-line block ×5, first 2 shown]
	v_add_co_u32_e32 v14, vcc, v46, v88
	global_load_ushort v92, v[4:5], off
	global_load_ushort v93, v[8:9], off
	;; [unrolled: 1-line block ×4, first 2 shown]
	v_addc_co_u32_e32 v15, vcc, v47, v89, vcc
	v_add_co_u32_e32 v16, vcc, v32, v88
	v_addc_co_u32_e32 v17, vcc, v33, v89, vcc
	v_add_co_u32_e32 v18, vcc, v48, v88
	;; [unrolled: 2-line block ×3, first 2 shown]
	v_addc_co_u32_e32 v21, vcc, v35, v89, vcc
	global_load_ushort v96, v[16:17], off
	global_load_ushort v97, v[12:13], off
	;; [unrolled: 1-line block ×4, first 2 shown]
	v_add_co_u32_e32 v22, vcc, v50, v88
	v_addc_co_u32_e32 v23, vcc, v51, v89, vcc
	v_add_co_u32_e32 v24, vcc, v36, v88
	v_addc_co_u32_e32 v25, vcc, v37, v89, vcc
	;; [unrolled: 2-line block ×3, first 2 shown]
	v_add_co_u32_e32 v6, vcc, v38, v88
	global_load_ushort v12, v[20:21], off
	global_load_ushort v13, v[24:25], off
	;; [unrolled: 1-line block ×4, first 2 shown]
	v_addc_co_u32_e32 v7, vcc, v39, v89, vcc
	v_add_co_u32_e32 v8, vcc, v54, v88
	v_addc_co_u32_e32 v9, vcc, v55, v89, vcc
	v_add_co_u32_e32 v4, vcc, v40, v88
	;; [unrolled: 2-line block ×3, first 2 shown]
	v_addc_co_u32_e32 v11, vcc, v57, v89, vcc
	global_load_ushort v16, v[4:5], off
	global_load_ushort v17, v[6:7], off
	;; [unrolled: 1-line block ×4, first 2 shown]
	s_waitcnt vmcnt(16)
	ds_bpermute_b32 v4, v90, v2
	ds_bpermute_b32 v5, v90, v2 offset:4
	s_waitcnt vmcnt(15)
	v_lshlrev_b32_e32 v6, 16, v92
	s_waitcnt vmcnt(14)
	v_lshlrev_b32_e32 v7, 16, v93
	s_waitcnt vmcnt(13)
	v_lshlrev_b32_e32 v8, 16, v94
	s_waitcnt vmcnt(12)
	v_lshlrev_b32_e32 v9, 16, v95
	v_pk_mul_f32 v[6:7], v[6:7], v[8:9]
	s_waitcnt lgkmcnt(0)
	v_pk_mul_f32 v[4:5], v[6:7], v[4:5]
	v_add_f32_e32 v4, v91, v4
	v_add_f32_e32 v10, v4, v5
	ds_bpermute_b32 v4, v90, v2 offset:8
	ds_bpermute_b32 v5, v90, v2 offset:12
	s_waitcnt vmcnt(11)
	v_lshlrev_b32_e32 v7, 16, v96
	s_waitcnt vmcnt(10)
	v_lshlrev_b32_e32 v6, 16, v97
	s_waitcnt vmcnt(9)
	v_lshlrev_b32_e32 v9, 16, v98
	s_waitcnt vmcnt(8)
	v_lshlrev_b32_e32 v8, 16, v99
	v_pk_mul_f32 v[6:7], v[6:7], v[8:9]
	s_waitcnt lgkmcnt(0)
	v_pk_mul_f32 v[4:5], v[6:7], v[4:5]
	v_add_f32_e32 v4, v10, v4
	v_add_f32_e32 v10, v4, v5
	ds_bpermute_b32 v4, v90, v2 offset:16
	;; [unrolled: 15-line block ×3, first 2 shown]
	ds_bpermute_b32 v5, v90, v2 offset:28
	s_waitcnt vmcnt(3)
	v_lshlrev_b32_e32 v7, 16, v16
	s_waitcnt vmcnt(2)
	v_lshlrev_b32_e32 v6, 16, v17
	;; [unrolled: 2-line block ×4, first 2 shown]
	v_pk_mul_f32 v[6:7], v[6:7], v[8:9]
	s_waitcnt lgkmcnt(0)
	v_pk_mul_f32 v[4:5], v[6:7], v[4:5]
	v_add_f32_e32 v2, v10, v4
	v_add_f32_e32 v2, v2, v5
.LBB203_81:                             ;   in Loop: Header=BB203_53 Depth=1
	s_add_u32 s28, s28, s7
	s_addc_u32 s29, s29, 0
	v_pk_mov_b32 v[4:5], s[12:13], s[12:13] op_sel:[0,1]
	v_cmp_ge_i64_e32 vcc, s[28:29], v[4:5]
	v_mov_b32_e32 v4, s25
	v_add_co_u32_e64 v28, s[0:1], s24, v28
	v_addc_co_u32_e64 v29, s[0:1], v29, v4, s[0:1]
	v_add_co_u32_e64 v30, s[0:1], s24, v30
	v_addc_co_u32_e64 v31, s[0:1], v31, v4, s[0:1]
	;; [unrolled: 2-line block ×29, first 2 shown]
	v_add_co_u32_e64 v86, s[0:1], s24, v86
	s_add_u32 s8, s8, s7
	v_addc_co_u32_e64 v83, s[0:1], v83, v4, s[0:1]
	s_addc_u32 s9, s9, 0
	s_cbranch_vccnz .LBB203_83
; %bb.82:                               ;   in Loop: Header=BB203_53 Depth=1
	v_mov_b32_e32 v91, v2
	s_branch .LBB203_53
.LBB203_83:
	v_and_b32_e32 v3, 0x3ff, v0
	v_bfe_u32 v0, v0, 10, 10
	v_mad_u32_u24 v4, v0, 33, v3
	v_lshl_add_u32 v5, v4, 2, 0
	ds_write_b32 v5, v2
	v_sub_u32_e32 v2, v4, v0
	s_movk_i32 s0, 0x800
	s_mov_b32 s7, 0
	v_mov_b32_e32 v1, 0
	v_cmp_gt_u32_e32 vcc, s0, v2
	ds_write_b32 v5, v1 offset:1056
	s_waitcnt lgkmcnt(0)
	s_barrier
	s_and_saveexec_b64 s[0:1], vcc
	s_cbranch_execz .LBB203_90
; %bb.84:
	v_mbcnt_lo_u32_b32 v4, -1, 0
	v_mbcnt_hi_u32_b32 v6, -1, v4
	v_and_b32_e32 v4, 64, v6
	v_add_u32_e32 v7, 64, v4
	v_cmp_ne_u32_e64 s[0:1], 0, v3
	v_xor_b32_e32 v3, 4, v6
	v_cmp_lt_i32_e64 s[2:3], v3, v7
	s_load_dwordx2 s[12:13], s[4:5], 0x30
	v_cndmask_b32_e64 v3, v6, v3, s[2:3]
	v_lshlrev_b32_e32 v4, 2, v3
	v_xor_b32_e32 v3, 2, v6
	v_cmp_lt_i32_e64 s[2:3], v3, v7
	v_cndmask_b32_e64 v3, v6, v3, s[2:3]
	s_lshl_b64 s[4:5], s[6:7], 5
	v_lshlrev_b32_e32 v5, 2, v3
	v_xor_b32_e32 v3, 1, v6
	s_waitcnt lgkmcnt(0)
	s_cmp_eq_u64 s[12:13], 0
	v_cmp_lt_i32_e64 s[2:3], v3, v7
	v_lshrrev_b32_e32 v0, 6, v2
	v_and_b32_e32 v2, 63, v2
	s_cselect_b64 s[10:11], -1, 0
	v_cndmask_b32_e64 v3, v6, v3, s[2:3]
	s_lshl_b64 s[2:3], s[6:7], 6
	v_cmp_gt_u32_e32 vcc, 8, v2
	v_mul_u32_u24_e32 v2, 0x84, v2
	v_lshlrev_b32_e32 v6, 2, v3
	v_lshlrev_b32_e32 v3, 2, v0
	s_add_u32 s2, s12, s2
	v_add3_u32 v7, v2, v3, 0
	v_lshlrev_b32_e32 v2, 1, v0
	s_addc_u32 s3, s13, s3
	v_mov_b32_e32 v3, s3
	v_add_co_u32_e64 v2, s[2:3], s2, v2
	s_mov_b64 s[8:9], 0
	v_addc_co_u32_e64 v3, s[2:3], 0, v3, s[2:3]
	v_mov_b32_e32 v8, s5
	s_movk_i32 s5, 0x7fff
	v_mov_b32_e32 v9, 0x7fc0
                                        ; implicit-def: $vgpr10
	s_branch .LBB203_86
.LBB203_85:                             ;   in Loop: Header=BB203_86 Depth=1
	s_or_b64 exec, exec, s[6:7]
	v_add_co_u32_e64 v0, s[2:3], 4, v0
	v_addc_co_u32_e64 v1, s[2:3], 0, v1, s[2:3]
	v_add_u32_e32 v11, -4, v0
	v_cmp_lt_u32_e64 s[2:3], 27, v11
	s_or_b64 s[8:9], s[2:3], s[8:9]
	v_add_co_u32_e64 v2, s[2:3], 8, v2
	v_add_u32_e32 v7, 16, v7
	v_addc_co_u32_e64 v3, s[2:3], 0, v3, s[2:3]
	s_andn2_b64 exec, exec, s[8:9]
	s_cbranch_execz .LBB203_90
.LBB203_86:                             ; =>This Inner Loop Header: Depth=1
	s_and_saveexec_b64 s[2:3], vcc
	s_cbranch_execz .LBB203_88
; %bb.87:                               ;   in Loop: Header=BB203_86 Depth=1
	ds_read_b32 v10, v7
.LBB203_88:                             ;   in Loop: Header=BB203_86 Depth=1
	s_or_b64 exec, exec, s[2:3]
	s_waitcnt lgkmcnt(0)
	ds_bpermute_b32 v11, v4, v10
	s_waitcnt lgkmcnt(0)
	v_add_f32_e32 v10, v10, v11
	ds_bpermute_b32 v11, v5, v10
	s_waitcnt lgkmcnt(0)
	v_add_f32_e32 v12, v10, v11
	ds_bpermute_b32 v13, v6, v12
	v_add_co_u32_e64 v10, s[2:3], s4, v0
	v_addc_co_u32_e64 v11, s[2:3], v8, v1, s[2:3]
	v_cmp_le_i64_e64 s[2:3], s[14:15], v[10:11]
	s_or_b64 s[2:3], s[0:1], s[2:3]
	s_or_b64 s[2:3], s[10:11], s[2:3]
	s_waitcnt lgkmcnt(0)
	v_add_f32_e32 v10, v12, v13
	s_xor_b64 s[2:3], s[2:3], -1
	s_and_saveexec_b64 s[6:7], s[2:3]
	s_cbranch_execz .LBB203_85
; %bb.89:                               ;   in Loop: Header=BB203_86 Depth=1
	v_bfe_u32 v11, v10, 16, 1
	v_add3_u32 v11, v10, v11, s5
	v_lshrrev_b32_e32 v11, 16, v11
	v_cmp_o_f32_e64 s[2:3], v10, v10
	v_cndmask_b32_e64 v11, v9, v11, s[2:3]
	global_store_short v[2:3], v11, off
	s_branch .LBB203_85
.LBB203_90:
	s_endpgm
	.section	.rodata,"a",@progbits
	.p2align	6, 0x0
	.amdhsa_kernel _ZN2at6native12_GLOBAL__N_135GammaBetaBackwardCUDAKernelTemplateIN3c108BFloat16EfLj32ELj8ELj64ELb0ELb0ELb1EEEvllPKT_S7_PKT0_SA_PS5_SB_
		.amdhsa_group_segment_fixed_size 0
		.amdhsa_private_segment_fixed_size 0
		.amdhsa_kernarg_size 320
		.amdhsa_user_sgpr_count 6
		.amdhsa_user_sgpr_private_segment_buffer 1
		.amdhsa_user_sgpr_dispatch_ptr 0
		.amdhsa_user_sgpr_queue_ptr 0
		.amdhsa_user_sgpr_kernarg_segment_ptr 1
		.amdhsa_user_sgpr_dispatch_id 0
		.amdhsa_user_sgpr_flat_scratch_init 0
		.amdhsa_user_sgpr_kernarg_preload_length 0
		.amdhsa_user_sgpr_kernarg_preload_offset 0
		.amdhsa_user_sgpr_private_segment_size 0
		.amdhsa_uses_dynamic_stack 0
		.amdhsa_system_sgpr_private_segment_wavefront_offset 0
		.amdhsa_system_sgpr_workgroup_id_x 1
		.amdhsa_system_sgpr_workgroup_id_y 1
		.amdhsa_system_sgpr_workgroup_id_z 0
		.amdhsa_system_sgpr_workgroup_info 0
		.amdhsa_system_vgpr_workitem_id 1
		.amdhsa_next_free_vgpr 100
		.amdhsa_next_free_sgpr 42
		.amdhsa_accum_offset 100
		.amdhsa_reserve_vcc 1
		.amdhsa_reserve_flat_scratch 0
		.amdhsa_float_round_mode_32 0
		.amdhsa_float_round_mode_16_64 0
		.amdhsa_float_denorm_mode_32 3
		.amdhsa_float_denorm_mode_16_64 3
		.amdhsa_dx10_clamp 1
		.amdhsa_ieee_mode 1
		.amdhsa_fp16_overflow 0
		.amdhsa_tg_split 0
		.amdhsa_exception_fp_ieee_invalid_op 0
		.amdhsa_exception_fp_denorm_src 0
		.amdhsa_exception_fp_ieee_div_zero 0
		.amdhsa_exception_fp_ieee_overflow 0
		.amdhsa_exception_fp_ieee_underflow 0
		.amdhsa_exception_fp_ieee_inexact 0
		.amdhsa_exception_int_div_zero 0
	.end_amdhsa_kernel
	.section	.text._ZN2at6native12_GLOBAL__N_135GammaBetaBackwardCUDAKernelTemplateIN3c108BFloat16EfLj32ELj8ELj64ELb0ELb0ELb1EEEvllPKT_S7_PKT0_SA_PS5_SB_,"axG",@progbits,_ZN2at6native12_GLOBAL__N_135GammaBetaBackwardCUDAKernelTemplateIN3c108BFloat16EfLj32ELj8ELj64ELb0ELb0ELb1EEEvllPKT_S7_PKT0_SA_PS5_SB_,comdat
.Lfunc_end203:
	.size	_ZN2at6native12_GLOBAL__N_135GammaBetaBackwardCUDAKernelTemplateIN3c108BFloat16EfLj32ELj8ELj64ELb0ELb0ELb1EEEvllPKT_S7_PKT0_SA_PS5_SB_, .Lfunc_end203-_ZN2at6native12_GLOBAL__N_135GammaBetaBackwardCUDAKernelTemplateIN3c108BFloat16EfLj32ELj8ELj64ELb0ELb0ELb1EEEvllPKT_S7_PKT0_SA_PS5_SB_
                                        ; -- End function
	.section	.AMDGPU.csdata,"",@progbits
; Kernel info:
; codeLenInByte = 7156
; NumSgprs: 46
; NumVgprs: 100
; NumAgprs: 0
; TotalNumVgprs: 100
; ScratchSize: 0
; MemoryBound: 0
; FloatMode: 240
; IeeeMode: 1
; LDSByteSize: 0 bytes/workgroup (compile time only)
; SGPRBlocks: 5
; VGPRBlocks: 12
; NumSGPRsForWavesPerEU: 46
; NumVGPRsForWavesPerEU: 100
; AccumOffset: 100
; Occupancy: 4
; WaveLimiterHint : 0
; COMPUTE_PGM_RSRC2:SCRATCH_EN: 0
; COMPUTE_PGM_RSRC2:USER_SGPR: 6
; COMPUTE_PGM_RSRC2:TRAP_HANDLER: 0
; COMPUTE_PGM_RSRC2:TGID_X_EN: 1
; COMPUTE_PGM_RSRC2:TGID_Y_EN: 1
; COMPUTE_PGM_RSRC2:TGID_Z_EN: 0
; COMPUTE_PGM_RSRC2:TIDIG_COMP_CNT: 1
; COMPUTE_PGM_RSRC3_GFX90A:ACCUM_OFFSET: 24
; COMPUTE_PGM_RSRC3_GFX90A:TG_SPLIT: 0
	.section	.text._ZN2at6native12_GLOBAL__N_135GammaBetaBackwardCUDAKernelTemplateIN3c108BFloat16EfLj32ELj16ELj128ELb0ELb1ELb1EEEvllPKT_S7_PKT0_SA_PS5_SB_,"axG",@progbits,_ZN2at6native12_GLOBAL__N_135GammaBetaBackwardCUDAKernelTemplateIN3c108BFloat16EfLj32ELj16ELj128ELb0ELb1ELb1EEEvllPKT_S7_PKT0_SA_PS5_SB_,comdat
	.globl	_ZN2at6native12_GLOBAL__N_135GammaBetaBackwardCUDAKernelTemplateIN3c108BFloat16EfLj32ELj16ELj128ELb0ELb1ELb1EEEvllPKT_S7_PKT0_SA_PS5_SB_ ; -- Begin function _ZN2at6native12_GLOBAL__N_135GammaBetaBackwardCUDAKernelTemplateIN3c108BFloat16EfLj32ELj16ELj128ELb0ELb1ELb1EEEvllPKT_S7_PKT0_SA_PS5_SB_
	.p2align	8
	.type	_ZN2at6native12_GLOBAL__N_135GammaBetaBackwardCUDAKernelTemplateIN3c108BFloat16EfLj32ELj16ELj128ELb0ELb1ELb1EEEvllPKT_S7_PKT0_SA_PS5_SB_,@function
_ZN2at6native12_GLOBAL__N_135GammaBetaBackwardCUDAKernelTemplateIN3c108BFloat16EfLj32ELj16ELj128ELb0ELb1ELb1EEEvllPKT_S7_PKT0_SA_PS5_SB_: ; @_ZN2at6native12_GLOBAL__N_135GammaBetaBackwardCUDAKernelTemplateIN3c108BFloat16EfLj32ELj16ELj128ELb0ELb1ELb1EEEvllPKT_S7_PKT0_SA_PS5_SB_
; %bb.0:
	s_load_dwordx4 s[8:11], s[4:5], 0x0
	s_lshl_b32 s16, s7, 7
	s_mov_b32 s17, 0
	v_bfe_u32 v11, v0, 10, 10
	s_waitcnt lgkmcnt(0)
	v_pk_mov_b32 v[2:3], s[8:9], s[8:9] op_sel:[0,1]
	v_cmp_lt_i64_e32 vcc, s[16:17], v[2:3]
	s_cbranch_vccnz .LBB204_2
; %bb.1:
	s_mov_b64 s[0:1], 0
	v_bfe_u32 v2, v0, 10, 10
	s_branch .LBB204_3
.LBB204_2:
	s_mov_b64 s[0:1], -1
                                        ; implicit-def: $vgpr2
.LBB204_3:
	s_load_dwordx2 s[2:3], s[4:5], 0x30
	v_and_b32_e32 v6, 0x3ff, v0
	s_andn2_b64 vcc, exec, s[0:1]
	v_mov_b32_e32 v1, s17
	v_mbcnt_lo_u32_b32 v10, -1, 0
	s_cbranch_vccnz .LBB204_11
; %bb.4:
	s_load_dword s0, s[4:5], 0x4c
	s_load_dword s7, s[4:5], 0x44
	s_load_dwordx4 s[12:15], s[4:5], 0x10
	s_load_dwordx2 s[18:19], s[4:5], 0x28
	v_mbcnt_hi_u32_b32 v4, -1, v10
	v_lshlrev_b32_e32 v2, 3, v11
	s_waitcnt lgkmcnt(0)
	s_and_b32 s0, s0, 0xffff
	v_lshlrev_b32_e32 v4, 2, v4
	v_mad_u32_u24 v0, v11, s0, v6
	v_and_b32_e32 v12, 0x100, v4
	v_mov_b32_e32 v4, s17
	v_add_co_u32_e32 v7, vcc, s16, v2
	v_and_b32_e32 v3, 63, v0
	v_addc_co_u32_e32 v8, vcc, 0, v4, vcc
	v_add_co_u32_e32 v2, vcc, v7, v3
	v_cmp_gt_u32_e64 s[0:1], 8, v3
	v_addc_co_u32_e32 v3, vcc, 0, v8, vcc
	v_lshlrev_b64 v[4:5], 2, v[2:3]
	v_mov_b32_e32 v9, s19
	v_add_co_u32_e32 v4, vcc, s18, v4
	s_lshl_b32 s4, s7, 7
	v_addc_co_u32_e32 v5, vcc, v9, v5, vcc
	v_mul_lo_u32 v20, s11, v7
	v_mul_lo_u32 v21, s10, v8
	v_mad_u64_u32 v[8:9], s[20:21], s10, v7, 0
	v_mov_b32_e32 v1, 0
	v_lshl_add_u32 v0, s6, 5, v6
	v_add3_u32 v9, v9, v21, v20
	s_mul_i32 s7, s11, s4
	s_mul_hi_u32 s20, s10, s4
	s_mov_b32 s5, 0
	v_lshlrev_b64 v[8:9], 1, v[8:9]
	v_lshlrev_b64 v[20:21], 1, v[0:1]
	s_add_i32 s21, s20, s7
	s_mul_i32 s20, s10, s4
	s_lshl_b64 s[18:19], s[4:5], 2
	v_add_co_u32_e32 v0, vcc, v8, v20
	s_lshl_b64 s[20:21], s[20:21], 1
	s_lshl_b64 s[10:11], s[10:11], 1
	v_or_b32_e32 v13, 4, v12
	v_or_b32_e32 v14, 8, v12
	;; [unrolled: 1-line block ×7, first 2 shown]
	v_addc_co_u32_e32 v7, vcc, v9, v21, vcc
	v_mov_b32_e32 v20, s13
	v_mov_b32_e32 v21, s15
	v_mov_b32_e32 v22, s11
	v_mov_b32_e32 v23, s19
	v_mov_b32_e32 v24, s5
	v_mov_b32_e32 v25, s21
	v_pk_mov_b32 v[8:9], s[8:9], s[8:9] op_sel:[0,1]
	s_branch .LBB204_7
.LBB204_5:                              ;   in Loop: Header=BB204_7 Depth=1
	s_or_b64 exec, exec, s[24:25]
.LBB204_6:                              ;   in Loop: Header=BB204_7 Depth=1
	s_or_b64 exec, exec, s[22:23]
	v_add_co_u32_e32 v28, vcc, s12, v0
	v_addc_co_u32_e32 v29, vcc, v20, v7, vcc
	v_add_co_u32_e32 v30, vcc, s14, v0
	v_addc_co_u32_e32 v31, vcc, v21, v7, vcc
	;; [unrolled: 2-line block ×5, first 2 shown]
	v_add_co_u32_e32 v38, vcc, s10, v34
	global_load_ushort v27, v[32:33], off
	global_load_ushort v50, v[28:29], off
	;; [unrolled: 1-line block ×4, first 2 shown]
	v_addc_co_u32_e32 v39, vcc, v35, v22, vcc
	v_add_co_u32_e32 v40, vcc, s10, v36
	v_addc_co_u32_e32 v41, vcc, v37, v22, vcc
	v_add_co_u32_e32 v42, vcc, s10, v38
	;; [unrolled: 2-line block ×3, first 2 shown]
	v_addc_co_u32_e32 v45, vcc, v41, v22, vcc
	global_load_ushort v53, v[36:37], off
	global_load_ushort v54, v[40:41], off
	;; [unrolled: 1-line block ×4, first 2 shown]
	v_add_co_u32_e32 v46, vcc, s10, v42
	v_addc_co_u32_e32 v47, vcc, v43, v22, vcc
	v_add_co_u32_e32 v48, vcc, s10, v44
	v_addc_co_u32_e32 v49, vcc, v45, v22, vcc
	;; [unrolled: 2-line block ×3, first 2 shown]
	v_add_co_u32_e32 v30, vcc, s10, v48
	global_load_ushort v36, v[48:49], off
	global_load_ushort v37, v[44:45], off
	;; [unrolled: 1-line block ×4, first 2 shown]
	v_addc_co_u32_e32 v31, vcc, v49, v22, vcc
	v_add_co_u32_e32 v32, vcc, s10, v28
	v_addc_co_u32_e32 v33, vcc, v29, v22, vcc
	v_add_co_u32_e32 v28, vcc, s10, v30
	;; [unrolled: 2-line block ×3, first 2 shown]
	v_addc_co_u32_e32 v35, vcc, v33, v22, vcc
	global_load_ushort v40, v[30:31], off
	global_load_ushort v41, v[28:29], off
	;; [unrolled: 1-line block ×4, first 2 shown]
	s_waitcnt vmcnt(16)
	ds_bpermute_b32 v28, v12, v26
	ds_bpermute_b32 v29, v13, v26
	v_add_co_u32_e32 v4, vcc, s18, v4
	v_addc_co_u32_e32 v5, vcc, v5, v23, vcc
	v_add_co_u32_e32 v2, vcc, s4, v2
	v_addc_co_u32_e32 v3, vcc, v3, v24, vcc
	s_add_u32 s16, s16, s4
	v_add_co_u32_e32 v0, vcc, s20, v0
	s_addc_u32 s17, s17, 0
	v_addc_co_u32_e32 v7, vcc, v7, v25, vcc
	v_cmp_lt_i64_e32 vcc, s[16:17], v[8:9]
	s_and_b64 vcc, exec, vcc
	s_waitcnt vmcnt(15)
	v_lshlrev_b32_e32 v31, 16, v27
	s_waitcnt vmcnt(14)
	v_lshlrev_b32_e32 v30, 16, v50
	s_waitcnt vmcnt(13)
	v_lshlrev_b32_e32 v33, 16, v51
	s_waitcnt vmcnt(12)
	v_lshlrev_b32_e32 v32, 16, v52
	v_pk_mul_f32 v[30:31], v[30:31], v[32:33]
	s_waitcnt lgkmcnt(0)
	v_pk_mul_f32 v[28:29], v[30:31], v[28:29]
	v_add_f32_e32 v1, v1, v28
	v_add_f32_e32 v1, v1, v29
	ds_bpermute_b32 v28, v14, v26
	ds_bpermute_b32 v29, v15, v26
	s_waitcnt vmcnt(11)
	v_lshlrev_b32_e32 v30, 16, v53
	s_waitcnt vmcnt(10)
	v_lshlrev_b32_e32 v31, 16, v54
	s_waitcnt vmcnt(9)
	v_lshlrev_b32_e32 v32, 16, v55
	s_waitcnt vmcnt(8)
	v_lshlrev_b32_e32 v33, 16, v56
	v_pk_mul_f32 v[30:31], v[30:31], v[32:33]
	s_waitcnt lgkmcnt(0)
	v_pk_mul_f32 v[28:29], v[30:31], v[28:29]
	v_add_f32_e32 v1, v1, v28
	v_add_f32_e32 v1, v1, v29
	ds_bpermute_b32 v28, v16, v26
	ds_bpermute_b32 v29, v17, v26
	;; [unrolled: 15-line block ×3, first 2 shown]
	s_waitcnt vmcnt(3)
	v_lshlrev_b32_e32 v26, 16, v40
	s_waitcnt vmcnt(2)
	v_lshlrev_b32_e32 v27, 16, v41
	;; [unrolled: 2-line block ×4, first 2 shown]
	v_pk_mul_f32 v[26:27], v[26:27], v[30:31]
	s_waitcnt lgkmcnt(0)
	v_pk_mul_f32 v[26:27], v[26:27], v[28:29]
	v_add_f32_e32 v1, v1, v26
	v_add_f32_e32 v1, v1, v27
	s_cbranch_vccz .LBB204_10
.LBB204_7:                              ; =>This Inner Loop Header: Depth=1
	v_mov_b32_e32 v26, 0
	s_and_saveexec_b64 s[22:23], s[0:1]
	s_cbranch_execz .LBB204_6
; %bb.8:                                ;   in Loop: Header=BB204_7 Depth=1
	v_cmp_gt_i64_e32 vcc, s[8:9], v[2:3]
	v_mov_b32_e32 v26, 0
	s_and_saveexec_b64 s[24:25], vcc
	s_cbranch_execz .LBB204_5
; %bb.9:                                ;   in Loop: Header=BB204_7 Depth=1
	global_load_dword v26, v[4:5], off
	s_branch .LBB204_5
.LBB204_10:
	v_mov_b32_e32 v2, v11
.LBB204_11:
	v_mad_u32_u24 v0, v2, 33, v6
	v_lshl_add_u32 v3, v0, 2, 0
	v_sub_u32_e32 v0, v0, v2
	s_movk_i32 s0, 0x800
	s_mov_b32 s7, 0
	ds_write_b32 v3, v1
	v_mov_b32_e32 v1, 0
	v_cmp_gt_u32_e32 vcc, s0, v0
	ds_write_b32 v3, v1 offset:2112
	s_waitcnt lgkmcnt(0)
	s_barrier
	s_and_saveexec_b64 s[0:1], vcc
	s_cbranch_execz .LBB204_18
; %bb.12:
	v_mbcnt_hi_u32_b32 v5, -1, v10
	v_and_b32_e32 v2, 64, v5
	s_cmp_lg_u64 s[2:3], 0
	v_add_u32_e32 v7, 64, v2
	v_cmp_eq_u32_e64 s[0:1], 0, v6
	s_cselect_b64 s[8:9], -1, 0
	v_xor_b32_e32 v2, 8, v5
	s_and_b64 s[8:9], s[0:1], s[8:9]
	v_cmp_lt_i32_e64 s[0:1], v2, v7
	v_xor_b32_e32 v3, 4, v5
	v_cndmask_b32_e64 v2, v5, v2, s[0:1]
	v_cmp_lt_i32_e64 s[0:1], v3, v7
	v_xor_b32_e32 v4, 2, v5
	v_cndmask_b32_e64 v3, v5, v3, s[0:1]
	;; [unrolled: 3-line block ×3, first 2 shown]
	v_cmp_lt_i32_e64 s[0:1], v6, v7
	v_lshrrev_b32_e32 v1, 6, v0
	v_and_b32_e32 v0, 63, v0
	v_cndmask_b32_e64 v5, v5, v6, s[0:1]
	s_lshl_b64 s[0:1], s[6:7], 6
	v_cmp_gt_u32_e32 vcc, 16, v0
	v_mul_u32_u24_e32 v0, 0x84, v0
	v_lshlrev_b32_e32 v6, 2, v1
	s_add_u32 s0, s2, s0
	v_add3_u32 v6, v0, v6, 0
	v_lshlrev_b32_e32 v0, 1, v1
	s_addc_u32 s1, s3, s1
	v_add_u32_e32 v7, -8, v1
	v_mov_b32_e32 v1, s1
	v_add_co_u32_e64 v0, s[0:1], s0, v0
	s_mov_b64 s[4:5], 0
	v_lshlrev_b32_e32 v2, 2, v2
	v_lshlrev_b32_e32 v3, 2, v3
	;; [unrolled: 1-line block ×4, first 2 shown]
	v_addc_co_u32_e64 v1, s[0:1], 0, v1, s[0:1]
	s_movk_i32 s6, 0x7fff
	v_mov_b32_e32 v8, 0x7fc0
                                        ; implicit-def: $vgpr9
	s_branch .LBB204_14
.LBB204_13:                             ;   in Loop: Header=BB204_14 Depth=1
	s_or_b64 exec, exec, s[2:3]
	v_add_u32_e32 v7, 8, v7
	v_cmp_lt_u32_e64 s[0:1], 23, v7
	s_or_b64 s[4:5], s[0:1], s[4:5]
	v_add_co_u32_e64 v0, s[0:1], 16, v0
	v_add_u32_e32 v6, 32, v6
	v_addc_co_u32_e64 v1, s[0:1], 0, v1, s[0:1]
	s_andn2_b64 exec, exec, s[4:5]
	s_cbranch_execz .LBB204_18
.LBB204_14:                             ; =>This Inner Loop Header: Depth=1
	s_and_saveexec_b64 s[0:1], vcc
	s_cbranch_execz .LBB204_16
; %bb.15:                               ;   in Loop: Header=BB204_14 Depth=1
	ds_read_b32 v9, v6
.LBB204_16:                             ;   in Loop: Header=BB204_14 Depth=1
	s_or_b64 exec, exec, s[0:1]
	s_waitcnt lgkmcnt(0)
	ds_bpermute_b32 v10, v2, v9
	s_waitcnt lgkmcnt(0)
	v_add_f32_e32 v9, v9, v10
	ds_bpermute_b32 v10, v3, v9
	s_waitcnt lgkmcnt(0)
	v_add_f32_e32 v9, v9, v10
	;; [unrolled: 3-line block ×4, first 2 shown]
	s_and_saveexec_b64 s[2:3], s[8:9]
	s_cbranch_execz .LBB204_13
; %bb.17:                               ;   in Loop: Header=BB204_14 Depth=1
	v_bfe_u32 v10, v9, 16, 1
	v_add3_u32 v10, v9, v10, s6
	v_lshrrev_b32_e32 v10, 16, v10
	v_cmp_o_f32_e64 s[0:1], v9, v9
	v_cndmask_b32_e64 v10, v8, v10, s[0:1]
	global_store_short v[0:1], v10, off
	s_branch .LBB204_13
.LBB204_18:
	s_endpgm
	.section	.rodata,"a",@progbits
	.p2align	6, 0x0
	.amdhsa_kernel _ZN2at6native12_GLOBAL__N_135GammaBetaBackwardCUDAKernelTemplateIN3c108BFloat16EfLj32ELj16ELj128ELb0ELb1ELb1EEEvllPKT_S7_PKT0_SA_PS5_SB_
		.amdhsa_group_segment_fixed_size 0
		.amdhsa_private_segment_fixed_size 0
		.amdhsa_kernarg_size 320
		.amdhsa_user_sgpr_count 6
		.amdhsa_user_sgpr_private_segment_buffer 1
		.amdhsa_user_sgpr_dispatch_ptr 0
		.amdhsa_user_sgpr_queue_ptr 0
		.amdhsa_user_sgpr_kernarg_segment_ptr 1
		.amdhsa_user_sgpr_dispatch_id 0
		.amdhsa_user_sgpr_flat_scratch_init 0
		.amdhsa_user_sgpr_kernarg_preload_length 0
		.amdhsa_user_sgpr_kernarg_preload_offset 0
		.amdhsa_user_sgpr_private_segment_size 0
		.amdhsa_uses_dynamic_stack 0
		.amdhsa_system_sgpr_private_segment_wavefront_offset 0
		.amdhsa_system_sgpr_workgroup_id_x 1
		.amdhsa_system_sgpr_workgroup_id_y 1
		.amdhsa_system_sgpr_workgroup_id_z 0
		.amdhsa_system_sgpr_workgroup_info 0
		.amdhsa_system_vgpr_workitem_id 1
		.amdhsa_next_free_vgpr 57
		.amdhsa_next_free_sgpr 26
		.amdhsa_accum_offset 60
		.amdhsa_reserve_vcc 1
		.amdhsa_reserve_flat_scratch 0
		.amdhsa_float_round_mode_32 0
		.amdhsa_float_round_mode_16_64 0
		.amdhsa_float_denorm_mode_32 3
		.amdhsa_float_denorm_mode_16_64 3
		.amdhsa_dx10_clamp 1
		.amdhsa_ieee_mode 1
		.amdhsa_fp16_overflow 0
		.amdhsa_tg_split 0
		.amdhsa_exception_fp_ieee_invalid_op 0
		.amdhsa_exception_fp_denorm_src 0
		.amdhsa_exception_fp_ieee_div_zero 0
		.amdhsa_exception_fp_ieee_overflow 0
		.amdhsa_exception_fp_ieee_underflow 0
		.amdhsa_exception_fp_ieee_inexact 0
		.amdhsa_exception_int_div_zero 0
	.end_amdhsa_kernel
	.section	.text._ZN2at6native12_GLOBAL__N_135GammaBetaBackwardCUDAKernelTemplateIN3c108BFloat16EfLj32ELj16ELj128ELb0ELb1ELb1EEEvllPKT_S7_PKT0_SA_PS5_SB_,"axG",@progbits,_ZN2at6native12_GLOBAL__N_135GammaBetaBackwardCUDAKernelTemplateIN3c108BFloat16EfLj32ELj16ELj128ELb0ELb1ELb1EEEvllPKT_S7_PKT0_SA_PS5_SB_,comdat
.Lfunc_end204:
	.size	_ZN2at6native12_GLOBAL__N_135GammaBetaBackwardCUDAKernelTemplateIN3c108BFloat16EfLj32ELj16ELj128ELb0ELb1ELb1EEEvllPKT_S7_PKT0_SA_PS5_SB_, .Lfunc_end204-_ZN2at6native12_GLOBAL__N_135GammaBetaBackwardCUDAKernelTemplateIN3c108BFloat16EfLj32ELj16ELj128ELb0ELb1ELb1EEEvllPKT_S7_PKT0_SA_PS5_SB_
                                        ; -- End function
	.section	.AMDGPU.csdata,"",@progbits
; Kernel info:
; codeLenInByte = 1544
; NumSgprs: 30
; NumVgprs: 57
; NumAgprs: 0
; TotalNumVgprs: 57
; ScratchSize: 0
; MemoryBound: 0
; FloatMode: 240
; IeeeMode: 1
; LDSByteSize: 0 bytes/workgroup (compile time only)
; SGPRBlocks: 3
; VGPRBlocks: 7
; NumSGPRsForWavesPerEU: 30
; NumVGPRsForWavesPerEU: 57
; AccumOffset: 60
; Occupancy: 8
; WaveLimiterHint : 0
; COMPUTE_PGM_RSRC2:SCRATCH_EN: 0
; COMPUTE_PGM_RSRC2:USER_SGPR: 6
; COMPUTE_PGM_RSRC2:TRAP_HANDLER: 0
; COMPUTE_PGM_RSRC2:TGID_X_EN: 1
; COMPUTE_PGM_RSRC2:TGID_Y_EN: 1
; COMPUTE_PGM_RSRC2:TGID_Z_EN: 0
; COMPUTE_PGM_RSRC2:TIDIG_COMP_CNT: 1
; COMPUTE_PGM_RSRC3_GFX90A:ACCUM_OFFSET: 14
; COMPUTE_PGM_RSRC3_GFX90A:TG_SPLIT: 0
	.section	.text._ZN2at6native12_GLOBAL__N_135GammaBetaBackwardCUDAKernelTemplateIN3c108BFloat16EfLj32ELj16ELj128ELb0ELb0ELb1EEEvllPKT_S7_PKT0_SA_PS5_SB_,"axG",@progbits,_ZN2at6native12_GLOBAL__N_135GammaBetaBackwardCUDAKernelTemplateIN3c108BFloat16EfLj32ELj16ELj128ELb0ELb0ELb1EEEvllPKT_S7_PKT0_SA_PS5_SB_,comdat
	.globl	_ZN2at6native12_GLOBAL__N_135GammaBetaBackwardCUDAKernelTemplateIN3c108BFloat16EfLj32ELj16ELj128ELb0ELb0ELb1EEEvllPKT_S7_PKT0_SA_PS5_SB_ ; -- Begin function _ZN2at6native12_GLOBAL__N_135GammaBetaBackwardCUDAKernelTemplateIN3c108BFloat16EfLj32ELj16ELj128ELb0ELb0ELb1EEEvllPKT_S7_PKT0_SA_PS5_SB_
	.p2align	8
	.type	_ZN2at6native12_GLOBAL__N_135GammaBetaBackwardCUDAKernelTemplateIN3c108BFloat16EfLj32ELj16ELj128ELb0ELb0ELb1EEEvllPKT_S7_PKT0_SA_PS5_SB_,@function
_ZN2at6native12_GLOBAL__N_135GammaBetaBackwardCUDAKernelTemplateIN3c108BFloat16EfLj32ELj16ELj128ELb0ELb0ELb1EEEvllPKT_S7_PKT0_SA_PS5_SB_: ; @_ZN2at6native12_GLOBAL__N_135GammaBetaBackwardCUDAKernelTemplateIN3c108BFloat16EfLj32ELj16ELj128ELb0ELb0ELb1EEEvllPKT_S7_PKT0_SA_PS5_SB_
; %bb.0:
	s_load_dwordx8 s[12:19], s[4:5], 0x0
	s_load_dwordx2 s[10:11], s[4:5], 0x28
	s_lshl_b32 s33, s6, 5
	s_or_b32 s28, s33, 31
	s_mov_b32 s29, 0
	s_waitcnt lgkmcnt(0)
	v_pk_mov_b32 v[2:3], s[14:15], s[14:15] op_sel:[0,1]
	v_cmp_ge_i64_e32 vcc, s[28:29], v[2:3]
	s_lshl_b32 s28, s7, 7
	v_pk_mov_b32 v[2:3], s[12:13], s[12:13] op_sel:[0,1]
	v_cmp_lt_i64_e64 s[0:1], s[28:29], v[2:3]
	v_cndmask_b32_e64 v1, 0, 1, s[0:1]
	v_cmp_ne_u32_e64 s[0:1], 1, v1
	s_cbranch_vccz .LBB205_49
; %bb.1:
	s_and_b64 vcc, exec, s[0:1]
	v_mov_b32_e32 v2, 0
	s_cbranch_vccnz .LBB205_50
; %bb.2:
	v_and_b32_e32 v59, 0x3ff, v0
	v_bfe_u32 v61, v0, 10, 10
	v_add_u32_e32 v2, s33, v59
	v_mov_b32_e32 v3, 0
	v_lshlrev_b32_e32 v26, 3, v61
	v_cmp_gt_i64_e64 s[2:3], s[14:15], v[2:3]
	v_lshlrev_b64 v[28:29], 1, v[2:3]
	v_mov_b32_e32 v1, s29
	v_add_co_u32_e32 v2, vcc, s28, v26
	v_addc_co_u32_e32 v6, vcc, 0, v1, vcc
	v_add_co_u32_e32 v1, vcc, 7, v2
	v_addc_co_u32_e32 v4, vcc, 0, v6, vcc
	v_mul_lo_u32 v7, s15, v1
	v_mul_lo_u32 v8, s14, v4
	v_mad_u64_u32 v[4:5], s[8:9], s14, v1, 0
	s_load_dword s7, s[4:5], 0x44
	v_add3_u32 v5, v5, v8, v7
	v_lshlrev_b64 v[4:5], 1, v[4:5]
	v_mov_b32_e32 v7, s17
	v_add_co_u32_e32 v30, vcc, s16, v4
	v_addc_co_u32_e32 v1, vcc, v7, v5, vcc
	s_add_u32 s30, s4, 64
	v_mov_b32_e32 v8, s19
	v_add_co_u32_e32 v32, vcc, s18, v4
	s_addc_u32 s31, s5, 0
	s_waitcnt lgkmcnt(0)
	s_lshl_b32 s7, s7, 7
	v_addc_co_u32_e32 v27, vcc, v8, v5, vcc
	s_mul_i32 s8, s15, s7
	s_mul_hi_u32 s9, s14, s7
	v_add_co_u32_e32 v4, vcc, 6, v2
	s_add_i32 s9, s9, s8
	s_mul_i32 s8, s14, s7
	v_addc_co_u32_e32 v5, vcc, 0, v6, vcc
	s_lshl_b64 s[34:35], s[8:9], 1
	v_mul_lo_u32 v9, s15, v4
	v_mul_lo_u32 v10, s14, v5
	v_mad_u64_u32 v[4:5], s[8:9], s14, v4, 0
	v_add3_u32 v5, v5, v10, v9
	v_lshlrev_b64 v[4:5], 1, v[4:5]
	v_add_co_u32_e32 v34, vcc, s16, v4
	v_addc_co_u32_e32 v31, vcc, v7, v5, vcc
	v_add_co_u32_e32 v36, vcc, s18, v4
	v_addc_co_u32_e32 v33, vcc, v8, v5, vcc
	v_add_co_u32_e32 v4, vcc, 5, v2
	v_addc_co_u32_e32 v5, vcc, 0, v6, vcc
	v_mul_lo_u32 v9, s15, v4
	v_mul_lo_u32 v10, s14, v5
	v_mad_u64_u32 v[4:5], s[8:9], s14, v4, 0
	v_add3_u32 v5, v5, v10, v9
	v_lshlrev_b64 v[4:5], 1, v[4:5]
	v_add_co_u32_e32 v38, vcc, s16, v4
	v_addc_co_u32_e32 v35, vcc, v7, v5, vcc
	v_add_co_u32_e32 v40, vcc, s18, v4
	v_addc_co_u32_e32 v37, vcc, v8, v5, vcc
	v_add_co_u32_e32 v4, vcc, 4, v2
	v_addc_co_u32_e32 v5, vcc, 0, v6, vcc
	;; [unrolled: 11-line block ×4, first 2 shown]
	v_mul_lo_u32 v9, s15, v4
	v_mul_lo_u32 v10, s14, v5
	v_mad_u64_u32 v[4:5], s[8:9], s14, v4, 0
	v_add3_u32 v5, v5, v10, v9
	v_lshlrev_b64 v[4:5], 1, v[4:5]
	v_add_co_u32_e32 v50, vcc, s16, v4
	v_addc_co_u32_e32 v47, vcc, v7, v5, vcc
	v_add_co_u32_e32 v52, vcc, s18, v4
	v_addc_co_u32_e32 v49, vcc, v8, v5, vcc
	v_pk_mov_b32 v[4:5], s[14:15], s[14:15] op_sel:[0,1]
	v_mad_u64_u32 v[4:5], s[8:9], s14, v2, v[4:5]
	v_mul_lo_u32 v6, s14, v6
	v_mul_lo_u32 v9, s15, v2
	v_add3_u32 v5, v9, v5, v6
	v_lshlrev_b64 v[4:5], 1, v[4:5]
	v_add_co_u32_e32 v54, vcc, s16, v4
	v_addc_co_u32_e32 v51, vcc, v7, v5, vcc
	v_add_co_u32_e32 v56, vcc, s18, v4
	v_addc_co_u32_e32 v53, vcc, v8, v5, vcc
	v_mad_u64_u32 v[4:5], s[8:9], s14, v2, 0
	v_add3_u32 v5, v5, v6, v9
	v_lshlrev_b64 v[4:5], 1, v[4:5]
	v_add_co_u32_e32 v58, vcc, s16, v4
	v_mbcnt_lo_u32_b32 v2, -1, 0
	v_addc_co_u32_e32 v55, vcc, v7, v5, vcc
	v_mbcnt_hi_u32_b32 v2, -1, v2
	s_add_u32 s36, s28, 0x7f
	v_add_co_u32_e32 v60, vcc, s18, v4
	v_lshlrev_b32_e32 v2, 2, v2
	s_mov_b32 s20, 0
	s_addc_u32 s37, 0, 0
	v_addc_co_u32_e32 v57, vcc, v8, v5, vcc
	v_and_b32_e32 v62, 0x100, v2
	s_mov_b64 s[38:39], s[28:29]
	v_mov_b32_e32 v63, 0
.LBB205_3:                              ; =>This Inner Loop Header: Depth=1
	v_pk_mov_b32 v[4:5], s[12:13], s[12:13] op_sel:[0,1]
	v_cmp_ge_i64_e32 vcc, s[36:37], v[4:5]
	v_mov_b32_e32 v2, s37
	v_add_co_u32_e64 v64, s[8:9], s36, v26
	v_addc_co_u32_e64 v65, s[8:9], 0, v2, s[8:9]
	s_cbranch_vccz .LBB205_25
; %bb.4:                                ;   in Loop: Header=BB205_3 Depth=1
	s_load_dword s8, s[30:31], 0xc
	v_mov_b32_e32 v66, 0
	s_waitcnt lgkmcnt(0)
	s_and_b32 s8, s8, 0xffff
	v_mad_u32_u24 v2, v61, s8, v59
	v_and_b32_e32 v2, 63, v2
	v_cmp_gt_u32_e32 vcc, 8, v2
	s_and_saveexec_b64 s[8:9], vcc
	s_cbranch_execz .LBB205_8
; %bb.5:                                ;   in Loop: Header=BB205_3 Depth=1
	v_add_co_u32_e32 v2, vcc, v64, v2
	v_addc_co_u32_e32 v5, vcc, 0, v65, vcc
	v_add_co_u32_e32 v4, vcc, 0xffffff81, v2
	v_addc_co_u32_e32 v5, vcc, -1, v5, vcc
	v_cmp_gt_i64_e32 vcc, s[12:13], v[4:5]
	v_mov_b32_e32 v66, 0
	s_and_saveexec_b64 s[22:23], vcc
	s_cbranch_execz .LBB205_7
; %bb.6:                                ;   in Loop: Header=BB205_3 Depth=1
	v_lshlrev_b64 v[4:5], 2, v[4:5]
	v_mov_b32_e32 v2, s11
	v_add_co_u32_e32 v4, vcc, s10, v4
	v_addc_co_u32_e32 v5, vcc, v2, v5, vcc
	global_load_dword v66, v[4:5], off
.LBB205_7:                              ;   in Loop: Header=BB205_3 Depth=1
	s_or_b64 exec, exec, s[22:23]
.LBB205_8:                              ;   in Loop: Header=BB205_3 Depth=1
	s_or_b64 exec, exec, s[8:9]
	s_mov_b32 s21, s20
	v_add_co_u32_e32 v4, vcc, 0xffffff81, v64
	s_mov_b32 s22, s20
	s_mov_b32 s23, s20
	s_mov_b32 s24, s20
	s_mov_b32 s25, s20
	s_mov_b32 s26, s20
	s_mov_b32 s27, s20
	v_pk_mov_b32 v[10:11], s[20:21], s[20:21] op_sel:[0,1]
	v_addc_co_u32_e32 v5, vcc, -1, v65, vcc
	v_pk_mov_b32 v[16:17], s[26:27], s[26:27] op_sel:[0,1]
	v_cmp_gt_i64_e32 vcc, s[12:13], v[4:5]
	v_pk_mov_b32 v[12:13], s[22:23], s[22:23] op_sel:[0,1]
	v_pk_mov_b32 v[14:15], s[24:25], s[24:25] op_sel:[0,1]
	;; [unrolled: 1-line block ×3, first 2 shown]
	s_and_b64 s[40:41], s[2:3], vcc
	v_pk_mov_b32 v[22:23], v[14:15], v[14:15] op_sel:[0,1]
	v_pk_mov_b32 v[20:21], v[12:13], v[12:13] op_sel:[0,1]
	;; [unrolled: 1-line block ×3, first 2 shown]
	s_and_saveexec_b64 s[8:9], s[40:41]
	s_cbranch_execz .LBB205_10
; %bb.9:                                ;   in Loop: Header=BB205_3 Depth=1
	v_add_co_u32_e32 v4, vcc, v58, v28
	v_addc_co_u32_e32 v5, vcc, v55, v29, vcc
	global_load_ushort v2, v[4:5], off
	v_add_co_u32_e32 v4, vcc, v60, v28
	v_addc_co_u32_e32 v5, vcc, v57, v29, vcc
	global_load_ushort v10, v[4:5], off
	v_mov_b32_e32 v8, v3
	v_mov_b32_e32 v9, v3
	;; [unrolled: 1-line block ×13, first 2 shown]
	s_waitcnt vmcnt(1)
	v_lshlrev_b32_e32 v2, 16, v2
	v_pk_mov_b32 v[24:25], v[8:9], v[8:9] op_sel:[0,1]
	v_pk_mov_b32 v[22:23], v[6:7], v[6:7] op_sel:[0,1]
	v_pk_mov_b32 v[20:21], v[4:5], v[4:5] op_sel:[0,1]
	v_pk_mov_b32 v[18:19], v[2:3], v[2:3] op_sel:[0,1]
	s_waitcnt vmcnt(0)
	v_lshlrev_b32_e32 v10, 16, v10
.LBB205_10:                             ;   in Loop: Header=BB205_3 Depth=1
	s_or_b64 exec, exec, s[8:9]
	v_add_co_u32_e32 v4, vcc, 0xffffff82, v64
	v_addc_co_u32_e32 v5, vcc, -1, v65, vcc
	v_cmp_gt_i64_e32 vcc, s[12:13], v[4:5]
	s_and_b64 s[22:23], s[2:3], vcc
	s_and_saveexec_b64 s[8:9], s[22:23]
	s_cbranch_execz .LBB205_12
; %bb.11:                               ;   in Loop: Header=BB205_3 Depth=1
	v_add_co_u32_e32 v4, vcc, v54, v28
	v_addc_co_u32_e32 v5, vcc, v51, v29, vcc
	global_load_ushort v2, v[4:5], off
	v_add_co_u32_e32 v4, vcc, v56, v28
	v_addc_co_u32_e32 v5, vcc, v53, v29, vcc
	global_load_ushort v4, v[4:5], off
	s_waitcnt vmcnt(1)
	v_lshlrev_b32_e32 v19, 16, v2
	s_waitcnt vmcnt(0)
	v_lshlrev_b32_e32 v11, 16, v4
.LBB205_12:                             ;   in Loop: Header=BB205_3 Depth=1
	s_or_b64 exec, exec, s[8:9]
	v_add_co_u32_e32 v4, vcc, 0xffffff83, v64
	v_addc_co_u32_e32 v5, vcc, -1, v65, vcc
	v_cmp_gt_i64_e32 vcc, s[12:13], v[4:5]
	s_and_b64 s[22:23], s[2:3], vcc
	s_and_saveexec_b64 s[8:9], s[22:23]
	s_cbranch_execz .LBB205_14
; %bb.13:                               ;   in Loop: Header=BB205_3 Depth=1
	v_add_co_u32_e32 v4, vcc, v50, v28
	v_addc_co_u32_e32 v5, vcc, v47, v29, vcc
	global_load_ushort v2, v[4:5], off
	v_add_co_u32_e32 v4, vcc, v52, v28
	v_addc_co_u32_e32 v5, vcc, v49, v29, vcc
	global_load_ushort v4, v[4:5], off
	s_waitcnt vmcnt(1)
	v_lshlrev_b32_e32 v20, 16, v2
	s_waitcnt vmcnt(0)
	v_lshlrev_b32_e32 v12, 16, v4
.LBB205_14:                             ;   in Loop: Header=BB205_3 Depth=1
	;; [unrolled: 19-line block ×7, first 2 shown]
	s_or_b64 exec, exec, s[8:9]
	s_waitcnt vmcnt(0)
	ds_bpermute_b32 v4, v62, v66 offset:4
	ds_bpermute_b32 v5, v62, v66 offset:8
	ds_bpermute_b32 v2, v62, v66
	v_mul_f32_e32 v8, v10, v18
	v_pk_mul_f32 v[10:11], v[10:11], v[18:19]
	v_pk_mul_f32 v[12:13], v[12:13], v[20:21]
	v_mov_b32_e32 v10, v11
	v_mov_b32_e32 v11, v12
	s_waitcnt lgkmcnt(1)
	v_pk_mul_f32 v[4:5], v[10:11], v[4:5]
	ds_bpermute_b32 v10, v62, v66 offset:12
	ds_bpermute_b32 v11, v62, v66 offset:16
	s_waitcnt lgkmcnt(2)
	v_fma_f32 v2, v8, v2, v63
	v_pk_mul_f32 v[8:9], v[14:15], v[22:23]
	v_add_f32_e32 v2, v2, v4
	v_add_f32_e32 v2, v2, v5
	v_mov_b32_e32 v4, v13
	v_mov_b32_e32 v5, v8
	s_waitcnt lgkmcnt(0)
	v_pk_mul_f32 v[4:5], v[4:5], v[10:11]
	ds_bpermute_b32 v10, v62, v66 offset:20
	ds_bpermute_b32 v11, v62, v66 offset:24
	v_pk_mul_f32 v[6:7], v[16:17], v[24:25]
	v_add_f32_e32 v2, v2, v4
	ds_bpermute_b32 v4, v62, v66 offset:28
	v_mov_b32_e32 v8, v9
	v_mov_b32_e32 v9, v6
	v_add_f32_e32 v2, v2, v5
	s_waitcnt lgkmcnt(1)
	v_pk_mul_f32 v[6:7], v[8:9], v[10:11]
	v_add_f32_e32 v2, v2, v6
	v_add_f32_e32 v2, v2, v7
	s_branch .LBB205_40
.LBB205_25:                             ;   in Loop: Header=BB205_3 Depth=1
                                        ; implicit-def: $vgpr2
                                        ; implicit-def: $vgpr10_vgpr11_vgpr12_vgpr13_vgpr14_vgpr15_vgpr16_vgpr17
                                        ; implicit-def: $vgpr18_vgpr19_vgpr20_vgpr21_vgpr22_vgpr23_vgpr24_vgpr25
                                        ; implicit-def: $vgpr4
	s_cbranch_execz .LBB205_40
; %bb.26:                               ;   in Loop: Header=BB205_3 Depth=1
	s_load_dword s8, s[30:31], 0x0
	v_mov_b32_e32 v66, 0
	s_waitcnt lgkmcnt(0)
	s_cmp_lt_u32 s6, s8
	s_cselect_b32 s8, 12, 18
	s_add_u32 s8, s30, s8
	s_addc_u32 s9, s31, 0
	global_load_ushort v2, v3, s[8:9]
	s_waitcnt vmcnt(0)
	v_mad_u32_u24 v2, v61, v2, v59
	v_and_b32_e32 v2, 63, v2
	v_cmp_gt_u32_e32 vcc, 8, v2
	s_and_saveexec_b64 s[8:9], vcc
	s_cbranch_execz .LBB205_30
; %bb.27:                               ;   in Loop: Header=BB205_3 Depth=1
	v_add_co_u32_e32 v2, vcc, v64, v2
	v_addc_co_u32_e32 v5, vcc, 0, v65, vcc
	v_add_co_u32_e32 v4, vcc, 0xffffff81, v2
	v_addc_co_u32_e32 v5, vcc, -1, v5, vcc
	v_cmp_gt_i64_e32 vcc, s[12:13], v[4:5]
	v_mov_b32_e32 v66, 0
	s_and_saveexec_b64 s[22:23], vcc
	s_cbranch_execz .LBB205_29
; %bb.28:                               ;   in Loop: Header=BB205_3 Depth=1
	v_lshlrev_b64 v[4:5], 2, v[4:5]
	v_mov_b32_e32 v2, s11
	v_add_co_u32_e32 v4, vcc, s10, v4
	v_addc_co_u32_e32 v5, vcc, v2, v5, vcc
	global_load_dword v66, v[4:5], off
.LBB205_29:                             ;   in Loop: Header=BB205_3 Depth=1
	s_or_b64 exec, exec, s[22:23]
.LBB205_30:                             ;   in Loop: Header=BB205_3 Depth=1
	s_or_b64 exec, exec, s[8:9]
	s_mov_b32 s21, s20
	s_mov_b32 s22, s20
	;; [unrolled: 1-line block ×7, first 2 shown]
	v_pk_mov_b32 v[10:11], s[20:21], s[20:21] op_sel:[0,1]
	v_pk_mov_b32 v[16:17], s[26:27], s[26:27] op_sel:[0,1]
	;; [unrolled: 1-line block ×8, first 2 shown]
	s_and_saveexec_b64 s[8:9], s[2:3]
	s_cbranch_execnz .LBB205_42
; %bb.31:                               ;   in Loop: Header=BB205_3 Depth=1
	s_or_b64 exec, exec, s[8:9]
	s_and_saveexec_b64 s[8:9], s[2:3]
	s_cbranch_execnz .LBB205_43
.LBB205_32:                             ;   in Loop: Header=BB205_3 Depth=1
	s_or_b64 exec, exec, s[8:9]
	s_and_saveexec_b64 s[8:9], s[2:3]
	s_cbranch_execnz .LBB205_44
.LBB205_33:                             ;   in Loop: Header=BB205_3 Depth=1
	s_or_b64 exec, exec, s[8:9]
	s_and_saveexec_b64 s[8:9], s[2:3]
	s_cbranch_execnz .LBB205_45
.LBB205_34:                             ;   in Loop: Header=BB205_3 Depth=1
	s_or_b64 exec, exec, s[8:9]
	s_and_saveexec_b64 s[8:9], s[2:3]
	s_cbranch_execnz .LBB205_46
.LBB205_35:                             ;   in Loop: Header=BB205_3 Depth=1
	s_or_b64 exec, exec, s[8:9]
	s_and_saveexec_b64 s[8:9], s[2:3]
	s_cbranch_execnz .LBB205_47
.LBB205_36:                             ;   in Loop: Header=BB205_3 Depth=1
	s_or_b64 exec, exec, s[8:9]
	s_and_saveexec_b64 s[8:9], s[2:3]
	s_cbranch_execnz .LBB205_48
.LBB205_37:                             ;   in Loop: Header=BB205_3 Depth=1
	s_or_b64 exec, exec, s[8:9]
	s_and_saveexec_b64 s[8:9], s[2:3]
	s_cbranch_execz .LBB205_39
.LBB205_38:                             ;   in Loop: Header=BB205_3 Depth=1
	v_add_co_u32_e32 v4, vcc, v30, v28
	v_addc_co_u32_e32 v5, vcc, v1, v29, vcc
	global_load_ushort v2, v[4:5], off
	v_add_co_u32_e32 v4, vcc, v32, v28
	v_addc_co_u32_e32 v5, vcc, v27, v29, vcc
	global_load_ushort v4, v[4:5], off
	s_waitcnt vmcnt(1)
	v_lshlrev_b32_e32 v25, 16, v2
	s_waitcnt vmcnt(0)
	v_lshlrev_b32_e32 v17, 16, v4
.LBB205_39:                             ;   in Loop: Header=BB205_3 Depth=1
	s_or_b64 exec, exec, s[8:9]
	s_waitcnt vmcnt(0)
	ds_bpermute_b32 v4, v62, v66 offset:4
	ds_bpermute_b32 v5, v62, v66 offset:8
	ds_bpermute_b32 v2, v62, v66
	v_mul_f32_e32 v8, v10, v18
	v_pk_mul_f32 v[10:11], v[10:11], v[18:19]
	v_pk_mul_f32 v[12:13], v[12:13], v[20:21]
	v_mov_b32_e32 v10, v11
	v_mov_b32_e32 v11, v12
	s_waitcnt lgkmcnt(1)
	v_pk_mul_f32 v[4:5], v[10:11], v[4:5]
	ds_bpermute_b32 v10, v62, v66 offset:12
	ds_bpermute_b32 v11, v62, v66 offset:16
	s_waitcnt lgkmcnt(2)
	v_fmac_f32_e32 v63, v8, v2
	v_pk_mul_f32 v[8:9], v[14:15], v[22:23]
	v_add_f32_e32 v2, v63, v4
	v_add_f32_e32 v2, v2, v5
	v_mov_b32_e32 v4, v13
	v_mov_b32_e32 v5, v8
	s_waitcnt lgkmcnt(0)
	v_pk_mul_f32 v[4:5], v[4:5], v[10:11]
	ds_bpermute_b32 v10, v62, v66 offset:20
	ds_bpermute_b32 v11, v62, v66 offset:24
	v_pk_mul_f32 v[6:7], v[16:17], v[24:25]
	v_add_f32_e32 v2, v2, v4
	v_mov_b32_e32 v8, v9
	v_mov_b32_e32 v9, v6
	v_add_f32_e32 v2, v2, v5
	s_waitcnt lgkmcnt(0)
	v_pk_mul_f32 v[6:7], v[8:9], v[10:11]
	v_add_f32_e32 v2, v2, v6
	ds_bpermute_b32 v4, v62, v66 offset:28
	v_add_f32_e32 v2, v2, v7
.LBB205_40:                             ;   in Loop: Header=BB205_3 Depth=1
	v_mul_f32_e32 v5, v25, v17
	s_waitcnt lgkmcnt(0)
	v_fmac_f32_e32 v2, v5, v4
	v_mov_b32_e32 v4, s35
	v_add_co_u32_e32 v30, vcc, s34, v30
	v_addc_co_u32_e32 v1, vcc, v1, v4, vcc
	v_add_co_u32_e32 v32, vcc, s34, v32
	v_addc_co_u32_e32 v27, vcc, v27, v4, vcc
	;; [unrolled: 2-line block ×15, first 2 shown]
	s_add_u32 s38, s38, s7
	v_add_co_u32_e32 v60, vcc, s34, v60
	s_addc_u32 s39, s39, 0
	v_addc_co_u32_e32 v57, vcc, v57, v4, vcc
	v_pk_mov_b32 v[4:5], s[12:13], s[12:13] op_sel:[0,1]
	s_add_u32 s36, s36, s7
	v_cmp_lt_i64_e32 vcc, s[38:39], v[4:5]
	s_addc_u32 s37, s37, 0
	s_cbranch_vccz .LBB205_50
; %bb.41:                               ;   in Loop: Header=BB205_3 Depth=1
	v_mov_b32_e32 v63, v2
	s_branch .LBB205_3
.LBB205_42:                             ;   in Loop: Header=BB205_3 Depth=1
	v_add_co_u32_e32 v4, vcc, v58, v28
	v_addc_co_u32_e32 v5, vcc, v55, v29, vcc
	global_load_ushort v2, v[4:5], off
	v_add_co_u32_e32 v4, vcc, v60, v28
	v_addc_co_u32_e32 v5, vcc, v57, v29, vcc
	global_load_ushort v10, v[4:5], off
	v_mov_b32_e32 v8, v3
	v_mov_b32_e32 v9, v3
	;; [unrolled: 1-line block ×13, first 2 shown]
	s_waitcnt vmcnt(1)
	v_lshlrev_b32_e32 v2, 16, v2
	v_pk_mov_b32 v[24:25], v[8:9], v[8:9] op_sel:[0,1]
	v_pk_mov_b32 v[22:23], v[6:7], v[6:7] op_sel:[0,1]
	;; [unrolled: 1-line block ×4, first 2 shown]
	s_waitcnt vmcnt(0)
	v_lshlrev_b32_e32 v10, 16, v10
	s_or_b64 exec, exec, s[8:9]
	s_and_saveexec_b64 s[8:9], s[2:3]
	s_cbranch_execz .LBB205_32
.LBB205_43:                             ;   in Loop: Header=BB205_3 Depth=1
	v_add_co_u32_e32 v4, vcc, v54, v28
	v_addc_co_u32_e32 v5, vcc, v51, v29, vcc
	global_load_ushort v2, v[4:5], off
	v_add_co_u32_e32 v4, vcc, v56, v28
	v_addc_co_u32_e32 v5, vcc, v53, v29, vcc
	global_load_ushort v4, v[4:5], off
	s_waitcnt vmcnt(1)
	v_lshlrev_b32_e32 v19, 16, v2
	s_waitcnt vmcnt(0)
	v_lshlrev_b32_e32 v11, 16, v4
	s_or_b64 exec, exec, s[8:9]
	s_and_saveexec_b64 s[8:9], s[2:3]
	s_cbranch_execz .LBB205_33
.LBB205_44:                             ;   in Loop: Header=BB205_3 Depth=1
	v_add_co_u32_e32 v4, vcc, v50, v28
	v_addc_co_u32_e32 v5, vcc, v47, v29, vcc
	global_load_ushort v2, v[4:5], off
	v_add_co_u32_e32 v4, vcc, v52, v28
	v_addc_co_u32_e32 v5, vcc, v49, v29, vcc
	global_load_ushort v4, v[4:5], off
	s_waitcnt vmcnt(1)
	v_lshlrev_b32_e32 v20, 16, v2
	s_waitcnt vmcnt(0)
	v_lshlrev_b32_e32 v12, 16, v4
	s_or_b64 exec, exec, s[8:9]
	s_and_saveexec_b64 s[8:9], s[2:3]
	s_cbranch_execz .LBB205_34
.LBB205_45:                             ;   in Loop: Header=BB205_3 Depth=1
	v_add_co_u32_e32 v4, vcc, v46, v28
	v_addc_co_u32_e32 v5, vcc, v43, v29, vcc
	global_load_ushort v2, v[4:5], off
	v_add_co_u32_e32 v4, vcc, v48, v28
	v_addc_co_u32_e32 v5, vcc, v45, v29, vcc
	global_load_ushort v4, v[4:5], off
	s_waitcnt vmcnt(1)
	v_lshlrev_b32_e32 v21, 16, v2
	s_waitcnt vmcnt(0)
	v_lshlrev_b32_e32 v13, 16, v4
	s_or_b64 exec, exec, s[8:9]
	s_and_saveexec_b64 s[8:9], s[2:3]
	s_cbranch_execz .LBB205_35
.LBB205_46:                             ;   in Loop: Header=BB205_3 Depth=1
	v_add_co_u32_e32 v4, vcc, v42, v28
	v_addc_co_u32_e32 v5, vcc, v39, v29, vcc
	global_load_ushort v2, v[4:5], off
	v_add_co_u32_e32 v4, vcc, v44, v28
	v_addc_co_u32_e32 v5, vcc, v41, v29, vcc
	global_load_ushort v4, v[4:5], off
	s_waitcnt vmcnt(1)
	v_lshlrev_b32_e32 v22, 16, v2
	s_waitcnt vmcnt(0)
	v_lshlrev_b32_e32 v14, 16, v4
	s_or_b64 exec, exec, s[8:9]
	s_and_saveexec_b64 s[8:9], s[2:3]
	s_cbranch_execz .LBB205_36
.LBB205_47:                             ;   in Loop: Header=BB205_3 Depth=1
	v_add_co_u32_e32 v4, vcc, v38, v28
	v_addc_co_u32_e32 v5, vcc, v35, v29, vcc
	global_load_ushort v2, v[4:5], off
	v_add_co_u32_e32 v4, vcc, v40, v28
	v_addc_co_u32_e32 v5, vcc, v37, v29, vcc
	global_load_ushort v4, v[4:5], off
	s_waitcnt vmcnt(1)
	v_lshlrev_b32_e32 v23, 16, v2
	s_waitcnt vmcnt(0)
	v_lshlrev_b32_e32 v15, 16, v4
	s_or_b64 exec, exec, s[8:9]
	s_and_saveexec_b64 s[8:9], s[2:3]
	s_cbranch_execz .LBB205_37
.LBB205_48:                             ;   in Loop: Header=BB205_3 Depth=1
	v_add_co_u32_e32 v4, vcc, v34, v28
	v_addc_co_u32_e32 v5, vcc, v31, v29, vcc
	global_load_ushort v2, v[4:5], off
	v_add_co_u32_e32 v4, vcc, v36, v28
	v_addc_co_u32_e32 v5, vcc, v33, v29, vcc
	global_load_ushort v4, v[4:5], off
	s_waitcnt vmcnt(1)
	v_lshlrev_b32_e32 v24, 16, v2
	s_waitcnt vmcnt(0)
	v_lshlrev_b32_e32 v16, 16, v4
	s_or_b64 exec, exec, s[8:9]
	s_and_saveexec_b64 s[8:9], s[2:3]
	s_cbranch_execnz .LBB205_38
	s_branch .LBB205_39
.LBB205_49:
                                        ; implicit-def: $vgpr2
	s_branch .LBB205_51
.LBB205_50:
	s_cbranch_execnz .LBB205_83
.LBB205_51:
	s_and_b64 vcc, exec, s[0:1]
	v_mov_b32_e32 v2, 0
	s_cbranch_vccnz .LBB205_83
; %bb.52:
	s_load_dword s0, s[4:5], 0x44
	s_add_u32 s2, s4, 64
	s_addc_u32 s3, s5, 0
	v_bfe_u32 v85, v0, 10, 10
	v_lshlrev_b32_e32 v1, 4, v85
	s_waitcnt lgkmcnt(0)
	s_lshl_b32 s7, s0, 7
	s_add_u32 s8, s28, 0x7f
	s_addc_u32 s9, 0, 0
	s_lshl_b64 s[0:1], s[28:29], 1
	v_mov_b32_e32 v2, s1
	v_add_co_u32_e32 v1, vcc, s0, v1
	v_addc_co_u32_e32 v4, vcc, 0, v2, vcc
	v_add_co_u32_e32 v6, vcc, 2, v1
	v_addc_co_u32_e32 v5, vcc, 0, v4, vcc
	v_add_co_u32_e32 v9, vcc, 4, v1
	v_mul_lo_u32 v7, s14, v5
	v_addc_co_u32_e32 v5, vcc, 0, v4, vcc
	v_add_co_u32_e32 v12, vcc, 6, v1
	v_mul_lo_u32 v10, s14, v5
	v_addc_co_u32_e32 v5, vcc, 0, v4, vcc
	v_add_co_u32_e32 v15, vcc, 8, v1
	v_mul_lo_u32 v13, s14, v5
	v_addc_co_u32_e32 v5, vcc, 0, v4, vcc
	v_add_co_u32_e32 v18, vcc, 10, v1
	v_mul_lo_u32 v16, s14, v5
	v_addc_co_u32_e32 v5, vcc, 0, v4, vcc
	v_add_co_u32_e32 v21, vcc, 12, v1
	v_mul_lo_u32 v19, s14, v5
	v_addc_co_u32_e32 v5, vcc, 0, v4, vcc
	v_add_co_u32_e32 v24, vcc, 14, v1
	v_lshlrev_b32_e32 v26, 3, v85
	v_addc_co_u32_e32 v1, vcc, 0, v4, vcc
	v_mul_lo_u32 v25, s14, v1
	v_mov_b32_e32 v1, s29
	v_add_co_u32_e32 v43, vcc, s28, v26
	v_pk_mov_b32 v[2:3], s[16:17], s[16:17] op_sel:[0,1]
	v_addc_co_u32_e32 v59, vcc, 0, v1, vcc
	v_mad_u64_u32 v[28:29], s[0:1], s14, v6, v[2:3]
	v_mad_u64_u32 v[30:31], s[0:1], s14, v9, v[2:3]
	;; [unrolled: 1-line block ×7, first 2 shown]
	v_mul_lo_u32 v60, s15, v43
	v_mul_lo_u32 v61, s14, v59
	v_mad_u64_u32 v[2:3], s[0:1], s14, v43, 0
	v_add3_u32 v3, v3, v61, v60
	v_lshlrev_b64 v[2:3], 1, v[2:3]
	v_mul_lo_u32 v22, s14, v5
	v_mov_b32_e32 v81, s17
	v_add_co_u32_e32 v42, vcc, s16, v2
	v_pk_mov_b32 v[4:5], s[18:19], s[18:19] op_sel:[0,1]
	v_mul_lo_u32 v17, s15, v15
	v_addc_co_u32_e32 v1, vcc, v81, v3, vcc
	v_mad_u64_u32 v[50:51], s[0:1], s14, v15, v[4:5]
	v_add3_u32 v35, v17, v35, v16
	v_mul_lo_u32 v27, s15, v24
	v_add3_u32 v51, v17, v51, v16
	v_mad_u64_u32 v[56:57], s[0:1], s14, v24, v[4:5]
	v_mov_b32_e32 v16, s19
	v_add_co_u32_e32 v58, vcc, s18, v2
	v_add3_u32 v41, v27, v41, v25
	v_add3_u32 v57, v27, v57, v25
	v_addc_co_u32_e32 v27, vcc, v16, v3, vcc
	v_add_co_u32_e32 v2, vcc, 7, v43
	v_addc_co_u32_e32 v3, vcc, 0, v59, vcc
	v_mad_u64_u32 v[44:45], s[0:1], s14, v6, v[4:5]
	v_mad_u64_u32 v[46:47], s[0:1], s14, v9, v[4:5]
	;; [unrolled: 1-line block ×5, first 2 shown]
	v_mul_lo_u32 v4, s15, v2
	v_mul_lo_u32 v5, s14, v3
	v_mad_u64_u32 v[2:3], s[0:1], s14, v2, 0
	v_add3_u32 v3, v3, v5, v4
	v_add_co_u32_e32 v4, vcc, 6, v43
	v_mul_lo_u32 v8, s15, v6
	v_addc_co_u32_e32 v5, vcc, 0, v59, vcc
	v_add3_u32 v29, v8, v29, v7
	v_add3_u32 v45, v8, v45, v7
	v_mul_lo_u32 v6, s15, v4
	v_mul_lo_u32 v7, s14, v5
	v_mad_u64_u32 v[4:5], s[0:1], s14, v4, 0
	v_add3_u32 v5, v5, v7, v6
	v_add_co_u32_e32 v6, vcc, 5, v43
	v_addc_co_u32_e32 v7, vcc, 0, v59, vcc
	v_mul_lo_u32 v11, s15, v9
	v_mul_lo_u32 v8, s15, v6
	;; [unrolled: 1-line block ×3, first 2 shown]
	v_mad_u64_u32 v[6:7], s[0:1], s14, v6, 0
	v_add3_u32 v7, v7, v9, v8
	v_add_co_u32_e32 v8, vcc, 4, v43
	v_addc_co_u32_e32 v9, vcc, 0, v59, vcc
	v_add3_u32 v31, v11, v31, v10
	v_add3_u32 v47, v11, v47, v10
	v_mul_lo_u32 v10, s15, v8
	v_mul_lo_u32 v11, s14, v9
	v_mad_u64_u32 v[8:9], s[0:1], s14, v8, 0
	v_add3_u32 v9, v9, v11, v10
	v_add_co_u32_e32 v10, vcc, 3, v43
	v_mul_lo_u32 v14, s15, v12
	v_addc_co_u32_e32 v11, vcc, 0, v59, vcc
	v_add3_u32 v33, v14, v33, v13
	v_add3_u32 v49, v14, v49, v13
	v_mul_lo_u32 v12, s15, v10
	v_mul_lo_u32 v13, s14, v11
	v_mad_u64_u32 v[10:11], s[0:1], s14, v10, 0
	v_add3_u32 v11, v11, v13, v12
	v_add_co_u32_e32 v12, vcc, 2, v43
	v_addc_co_u32_e32 v13, vcc, 0, v59, vcc
	v_mul_lo_u32 v14, s15, v12
	v_mul_lo_u32 v15, s14, v13
	v_mad_u64_u32 v[12:13], s[0:1], s14, v12, 0
	v_add3_u32 v13, v13, v15, v14
	v_pk_mov_b32 v[14:15], s[14:15], s[14:15] op_sel:[0,1]
	v_lshlrev_b64 v[2:3], 1, v[2:3]
	v_mad_u64_u32 v[14:15], s[0:1], s14, v43, v[14:15]
	v_add3_u32 v15, v60, v15, v61
	v_add_co_u32_e32 v60, vcc, s16, v2
	v_addc_co_u32_e32 v43, vcc, v81, v3, vcc
	v_add_co_u32_e32 v62, vcc, s18, v2
	v_addc_co_u32_e32 v59, vcc, v16, v3, vcc
	v_lshlrev_b64 v[2:3], 1, v[4:5]
	v_add_co_u32_e32 v64, vcc, s16, v2
	v_addc_co_u32_e32 v61, vcc, v81, v3, vcc
	v_add_co_u32_e32 v66, vcc, s18, v2
	v_addc_co_u32_e32 v63, vcc, v16, v3, vcc
	v_lshlrev_b64 v[2:3], 1, v[6:7]
	;; [unrolled: 5-line block ×6, first 2 shown]
	v_add_co_u32_e32 v84, vcc, s16, v2
	v_addc_co_u32_e32 v81, vcc, v81, v3, vcc
	v_mbcnt_lo_u32_b32 v4, -1, 0
	v_add_co_u32_e32 v86, vcc, s18, v2
	v_and_b32_e32 v87, 0x3ff, v0
	s_mul_i32 s0, s15, s7
	s_mul_hi_u32 s1, s14, s7
	v_mbcnt_hi_u32_b32 v4, -1, v4
	v_mul_lo_u32 v20, s15, v18
	v_mul_lo_u32 v23, s15, v21
	v_addc_co_u32_e32 v83, vcc, v16, v3, vcc
	v_add_u32_e32 v2, s33, v87
	v_mov_b32_e32 v3, 0
	s_add_i32 s1, s1, s0
	s_mul_i32 s0, s14, s7
	v_lshlrev_b32_e32 v4, 2, v4
	v_add3_u32 v37, v20, v37, v19
	v_add3_u32 v39, v23, v39, v22
	;; [unrolled: 1-line block ×4, first 2 shown]
	s_mov_b32 s16, 0
	s_lshl_b64 s[24:25], s[0:1], 1
	v_and_b32_e32 v90, 0x100, v4
	v_mov_b32_e32 v91, 0
	v_lshlrev_b64 v[88:89], 1, v[2:3]
.LBB205_53:                             ; =>This Inner Loop Header: Depth=1
	v_pk_mov_b32 v[4:5], s[12:13], s[12:13] op_sel:[0,1]
	v_cmp_ge_i64_e32 vcc, s[8:9], v[4:5]
	v_mov_b32_e32 v2, s9
	v_add_co_u32_e64 v92, s[0:1], s8, v26
	v_addc_co_u32_e64 v93, s[0:1], 0, v2, s[0:1]
	s_cbranch_vccz .LBB205_75
; %bb.54:                               ;   in Loop: Header=BB205_53 Depth=1
	s_load_dword s0, s[2:3], 0xc
	v_mov_b32_e32 v94, 0
	s_waitcnt lgkmcnt(0)
	s_and_b32 s0, s0, 0xffff
	v_mad_u32_u24 v2, v85, s0, v87
	v_and_b32_e32 v2, 63, v2
	v_cmp_gt_u32_e32 vcc, 8, v2
	s_and_saveexec_b64 s[0:1], vcc
	s_cbranch_execz .LBB205_58
; %bb.55:                               ;   in Loop: Header=BB205_53 Depth=1
	v_add_co_u32_e32 v2, vcc, v92, v2
	v_addc_co_u32_e32 v5, vcc, 0, v93, vcc
	v_add_co_u32_e32 v4, vcc, 0xffffff81, v2
	v_addc_co_u32_e32 v5, vcc, -1, v5, vcc
	v_cmp_gt_i64_e32 vcc, s[12:13], v[4:5]
	v_mov_b32_e32 v94, 0
	s_and_saveexec_b64 s[18:19], vcc
	s_cbranch_execz .LBB205_57
; %bb.56:                               ;   in Loop: Header=BB205_53 Depth=1
	v_lshlrev_b64 v[4:5], 2, v[4:5]
	v_mov_b32_e32 v2, s11
	v_add_co_u32_e32 v4, vcc, s10, v4
	v_addc_co_u32_e32 v5, vcc, v2, v5, vcc
	global_load_dword v94, v[4:5], off
.LBB205_57:                             ;   in Loop: Header=BB205_53 Depth=1
	s_or_b64 exec, exec, s[18:19]
.LBB205_58:                             ;   in Loop: Header=BB205_53 Depth=1
	s_or_b64 exec, exec, s[0:1]
	s_mov_b32 s17, s16
	s_mov_b32 s18, s16
	;; [unrolled: 1-line block ×7, first 2 shown]
	v_pk_mov_b32 v[10:11], s[16:17], s[16:17] op_sel:[0,1]
	v_add_co_u32_e32 v4, vcc, 0xffffff81, v92
	v_pk_mov_b32 v[16:17], s[22:23], s[22:23] op_sel:[0,1]
	v_addc_co_u32_e32 v5, vcc, -1, v93, vcc
	v_pk_mov_b32 v[12:13], s[18:19], s[18:19] op_sel:[0,1]
	v_pk_mov_b32 v[14:15], s[20:21], s[20:21] op_sel:[0,1]
	;; [unrolled: 1-line block ×3, first 2 shown]
	v_cmp_gt_i64_e32 vcc, s[12:13], v[4:5]
	v_pk_mov_b32 v[22:23], v[14:15], v[14:15] op_sel:[0,1]
	v_pk_mov_b32 v[20:21], v[12:13], v[12:13] op_sel:[0,1]
	;; [unrolled: 1-line block ×3, first 2 shown]
	s_and_saveexec_b64 s[0:1], vcc
	s_cbranch_execz .LBB205_60
; %bb.59:                               ;   in Loop: Header=BB205_53 Depth=1
	v_add_co_u32_e32 v4, vcc, v42, v88
	v_addc_co_u32_e32 v5, vcc, v1, v89, vcc
	global_load_ushort v2, v[4:5], off
	v_add_co_u32_e32 v4, vcc, v58, v88
	v_addc_co_u32_e32 v5, vcc, v27, v89, vcc
	global_load_ushort v10, v[4:5], off
	v_mov_b32_e32 v8, v3
	v_mov_b32_e32 v9, v3
	;; [unrolled: 1-line block ×13, first 2 shown]
	s_waitcnt vmcnt(1)
	v_lshlrev_b32_e32 v2, 16, v2
	v_pk_mov_b32 v[24:25], v[8:9], v[8:9] op_sel:[0,1]
	v_pk_mov_b32 v[22:23], v[6:7], v[6:7] op_sel:[0,1]
	;; [unrolled: 1-line block ×4, first 2 shown]
	s_waitcnt vmcnt(0)
	v_lshlrev_b32_e32 v10, 16, v10
.LBB205_60:                             ;   in Loop: Header=BB205_53 Depth=1
	s_or_b64 exec, exec, s[0:1]
	v_add_co_u32_e32 v4, vcc, 0xffffff82, v92
	v_addc_co_u32_e32 v5, vcc, -1, v93, vcc
	v_cmp_gt_i64_e32 vcc, s[12:13], v[4:5]
	s_and_saveexec_b64 s[0:1], vcc
	s_cbranch_execz .LBB205_62
; %bb.61:                               ;   in Loop: Header=BB205_53 Depth=1
	v_add_co_u32_e32 v4, vcc, v84, v88
	v_addc_co_u32_e32 v5, vcc, v81, v89, vcc
	global_load_ushort v2, v[4:5], off
	v_add_co_u32_e32 v4, vcc, v86, v88
	v_addc_co_u32_e32 v5, vcc, v83, v89, vcc
	global_load_ushort v4, v[4:5], off
	s_waitcnt vmcnt(1)
	v_lshlrev_b32_e32 v19, 16, v2
	s_waitcnt vmcnt(0)
	v_lshlrev_b32_e32 v11, 16, v4
.LBB205_62:                             ;   in Loop: Header=BB205_53 Depth=1
	s_or_b64 exec, exec, s[0:1]
	v_add_co_u32_e32 v4, vcc, 0xffffff83, v92
	v_addc_co_u32_e32 v5, vcc, -1, v93, vcc
	v_cmp_gt_i64_e32 vcc, s[12:13], v[4:5]
	s_and_saveexec_b64 s[0:1], vcc
	s_cbranch_execz .LBB205_64
; %bb.63:                               ;   in Loop: Header=BB205_53 Depth=1
	v_add_co_u32_e32 v4, vcc, v80, v88
	v_addc_co_u32_e32 v5, vcc, v77, v89, vcc
	global_load_ushort v2, v[4:5], off
	v_add_co_u32_e32 v4, vcc, v82, v88
	v_addc_co_u32_e32 v5, vcc, v79, v89, vcc
	global_load_ushort v4, v[4:5], off
	s_waitcnt vmcnt(1)
	v_lshlrev_b32_e32 v20, 16, v2
	s_waitcnt vmcnt(0)
	v_lshlrev_b32_e32 v12, 16, v4
.LBB205_64:                             ;   in Loop: Header=BB205_53 Depth=1
	;; [unrolled: 18-line block ×7, first 2 shown]
	s_or_b64 exec, exec, s[0:1]
	s_waitcnt vmcnt(0)
	ds_bpermute_b32 v4, v90, v94
	ds_bpermute_b32 v5, v90, v94 offset:4
	v_pk_mul_f32 v[8:9], v[14:15], v[22:23]
	ds_bpermute_b32 v14, v90, v94 offset:8
	ds_bpermute_b32 v15, v90, v94 offset:12
	v_pk_mul_f32 v[10:11], v[10:11], v[18:19]
	s_waitcnt lgkmcnt(2)
	v_pk_mul_f32 v[4:5], v[10:11], v[4:5]
	ds_bpermute_b32 v10, v90, v94 offset:16
	ds_bpermute_b32 v11, v90, v94 offset:20
	v_pk_mul_f32 v[12:13], v[12:13], v[20:21]
	v_add_f32_e32 v2, v91, v4
	v_add_f32_e32 v2, v2, v5
	s_waitcnt lgkmcnt(2)
	v_pk_mul_f32 v[4:5], v[12:13], v[14:15]
	ds_bpermute_b32 v12, v90, v94 offset:24
	ds_bpermute_b32 v13, v90, v94 offset:28
	v_add_f32_e32 v2, v2, v4
	v_add_f32_e32 v2, v2, v5
	s_waitcnt lgkmcnt(2)
	v_pk_mul_f32 v[4:5], v[8:9], v[10:11]
	v_pk_mul_f32 v[6:7], v[16:17], v[24:25]
	v_add_f32_e32 v2, v2, v4
	v_add_f32_e32 v2, v2, v5
	s_waitcnt lgkmcnt(0)
	v_pk_mul_f32 v[4:5], v[6:7], v[12:13]
	v_add_f32_e32 v2, v2, v4
	v_add_f32_e32 v2, v2, v5
	s_branch .LBB205_81
.LBB205_75:                             ;   in Loop: Header=BB205_53 Depth=1
                                        ; implicit-def: $vgpr2
	s_cbranch_execz .LBB205_81
; %bb.76:                               ;   in Loop: Header=BB205_53 Depth=1
	s_load_dword s0, s[2:3], 0x0
	s_waitcnt lgkmcnt(0)
	s_cmp_lt_u32 s6, s0
	s_cselect_b32 s0, 12, 18
	s_add_u32 s0, s2, s0
	s_addc_u32 s1, s3, 0
	global_load_ushort v2, v3, s[0:1]
	s_waitcnt vmcnt(0)
	v_mad_u32_u24 v2, v85, v2, v87
	v_and_b32_e32 v4, 63, v2
	v_cmp_gt_u32_e32 vcc, 8, v4
	v_mov_b32_e32 v2, 0
	s_and_saveexec_b64 s[0:1], vcc
	s_cbranch_execz .LBB205_80
; %bb.77:                               ;   in Loop: Header=BB205_53 Depth=1
	v_add_co_u32_e32 v2, vcc, v92, v4
	v_addc_co_u32_e32 v5, vcc, 0, v93, vcc
	v_add_co_u32_e32 v4, vcc, 0xffffff81, v2
	v_addc_co_u32_e32 v5, vcc, -1, v5, vcc
	v_cmp_gt_i64_e32 vcc, s[12:13], v[4:5]
	v_mov_b32_e32 v2, 0
	s_and_saveexec_b64 s[18:19], vcc
	s_cbranch_execz .LBB205_79
; %bb.78:                               ;   in Loop: Header=BB205_53 Depth=1
	v_lshlrev_b64 v[4:5], 2, v[4:5]
	v_mov_b32_e32 v2, s11
	v_add_co_u32_e32 v4, vcc, s10, v4
	v_addc_co_u32_e32 v5, vcc, v2, v5, vcc
	global_load_dword v2, v[4:5], off
.LBB205_79:                             ;   in Loop: Header=BB205_53 Depth=1
	s_or_b64 exec, exec, s[18:19]
.LBB205_80:                             ;   in Loop: Header=BB205_53 Depth=1
	s_or_b64 exec, exec, s[0:1]
	v_add_co_u32_e32 v4, vcc, v42, v88
	v_addc_co_u32_e32 v5, vcc, v1, v89, vcc
	v_add_co_u32_e32 v6, vcc, v58, v88
	v_addc_co_u32_e32 v7, vcc, v27, v89, vcc
	v_add_co_u32_e32 v8, vcc, v28, v88
	v_addc_co_u32_e32 v9, vcc, v29, v89, vcc
	v_add_co_u32_e32 v10, vcc, v44, v88
	v_addc_co_u32_e32 v11, vcc, v45, v89, vcc
	v_add_co_u32_e32 v12, vcc, v30, v88
	v_addc_co_u32_e32 v13, vcc, v31, v89, vcc
	v_add_co_u32_e32 v14, vcc, v46, v88
	global_load_ushort v92, v[4:5], off
	global_load_ushort v93, v[8:9], off
	;; [unrolled: 1-line block ×4, first 2 shown]
	v_addc_co_u32_e32 v15, vcc, v47, v89, vcc
	v_add_co_u32_e32 v16, vcc, v32, v88
	v_addc_co_u32_e32 v17, vcc, v33, v89, vcc
	v_add_co_u32_e32 v18, vcc, v48, v88
	;; [unrolled: 2-line block ×3, first 2 shown]
	v_addc_co_u32_e32 v21, vcc, v35, v89, vcc
	global_load_ushort v96, v[16:17], off
	global_load_ushort v97, v[12:13], off
	;; [unrolled: 1-line block ×4, first 2 shown]
	v_add_co_u32_e32 v22, vcc, v50, v88
	v_addc_co_u32_e32 v23, vcc, v51, v89, vcc
	v_add_co_u32_e32 v24, vcc, v36, v88
	v_addc_co_u32_e32 v25, vcc, v37, v89, vcc
	;; [unrolled: 2-line block ×3, first 2 shown]
	v_add_co_u32_e32 v6, vcc, v38, v88
	global_load_ushort v12, v[20:21], off
	global_load_ushort v13, v[24:25], off
	;; [unrolled: 1-line block ×4, first 2 shown]
	v_addc_co_u32_e32 v7, vcc, v39, v89, vcc
	v_add_co_u32_e32 v8, vcc, v54, v88
	v_addc_co_u32_e32 v9, vcc, v55, v89, vcc
	v_add_co_u32_e32 v4, vcc, v40, v88
	;; [unrolled: 2-line block ×3, first 2 shown]
	v_addc_co_u32_e32 v11, vcc, v57, v89, vcc
	global_load_ushort v16, v[4:5], off
	global_load_ushort v17, v[6:7], off
	;; [unrolled: 1-line block ×4, first 2 shown]
	s_waitcnt vmcnt(16)
	ds_bpermute_b32 v4, v90, v2
	ds_bpermute_b32 v5, v90, v2 offset:4
	s_waitcnt vmcnt(15)
	v_lshlrev_b32_e32 v6, 16, v92
	s_waitcnt vmcnt(14)
	v_lshlrev_b32_e32 v7, 16, v93
	s_waitcnt vmcnt(13)
	v_lshlrev_b32_e32 v8, 16, v94
	s_waitcnt vmcnt(12)
	v_lshlrev_b32_e32 v9, 16, v95
	v_pk_mul_f32 v[6:7], v[6:7], v[8:9]
	s_waitcnt lgkmcnt(0)
	v_pk_mul_f32 v[4:5], v[6:7], v[4:5]
	v_add_f32_e32 v4, v91, v4
	v_add_f32_e32 v10, v4, v5
	ds_bpermute_b32 v4, v90, v2 offset:8
	ds_bpermute_b32 v5, v90, v2 offset:12
	s_waitcnt vmcnt(11)
	v_lshlrev_b32_e32 v7, 16, v96
	s_waitcnt vmcnt(10)
	v_lshlrev_b32_e32 v6, 16, v97
	s_waitcnt vmcnt(9)
	v_lshlrev_b32_e32 v9, 16, v98
	s_waitcnt vmcnt(8)
	v_lshlrev_b32_e32 v8, 16, v99
	v_pk_mul_f32 v[6:7], v[6:7], v[8:9]
	s_waitcnt lgkmcnt(0)
	v_pk_mul_f32 v[4:5], v[6:7], v[4:5]
	v_add_f32_e32 v4, v10, v4
	v_add_f32_e32 v10, v4, v5
	ds_bpermute_b32 v4, v90, v2 offset:16
	;; [unrolled: 15-line block ×3, first 2 shown]
	ds_bpermute_b32 v5, v90, v2 offset:28
	s_waitcnt vmcnt(3)
	v_lshlrev_b32_e32 v7, 16, v16
	s_waitcnt vmcnt(2)
	v_lshlrev_b32_e32 v6, 16, v17
	;; [unrolled: 2-line block ×4, first 2 shown]
	v_pk_mul_f32 v[6:7], v[6:7], v[8:9]
	s_waitcnt lgkmcnt(0)
	v_pk_mul_f32 v[4:5], v[6:7], v[4:5]
	v_add_f32_e32 v2, v10, v4
	v_add_f32_e32 v2, v2, v5
.LBB205_81:                             ;   in Loop: Header=BB205_53 Depth=1
	s_add_u32 s28, s28, s7
	s_addc_u32 s29, s29, 0
	v_pk_mov_b32 v[4:5], s[12:13], s[12:13] op_sel:[0,1]
	v_cmp_ge_i64_e32 vcc, s[28:29], v[4:5]
	v_mov_b32_e32 v4, s25
	v_add_co_u32_e64 v28, s[0:1], s24, v28
	v_addc_co_u32_e64 v29, s[0:1], v29, v4, s[0:1]
	v_add_co_u32_e64 v30, s[0:1], s24, v30
	v_addc_co_u32_e64 v31, s[0:1], v31, v4, s[0:1]
	;; [unrolled: 2-line block ×29, first 2 shown]
	v_add_co_u32_e64 v86, s[0:1], s24, v86
	s_add_u32 s8, s8, s7
	v_addc_co_u32_e64 v83, s[0:1], v83, v4, s[0:1]
	s_addc_u32 s9, s9, 0
	s_cbranch_vccnz .LBB205_83
; %bb.82:                               ;   in Loop: Header=BB205_53 Depth=1
	v_mov_b32_e32 v91, v2
	s_branch .LBB205_53
.LBB205_83:
	v_and_b32_e32 v3, 0x3ff, v0
	v_bfe_u32 v0, v0, 10, 10
	v_mad_u32_u24 v4, v0, 33, v3
	v_lshl_add_u32 v5, v4, 2, 0
	ds_write_b32 v5, v2
	v_sub_u32_e32 v2, v4, v0
	s_movk_i32 s0, 0x800
	s_mov_b32 s7, 0
	v_mov_b32_e32 v1, 0
	v_cmp_gt_u32_e32 vcc, s0, v2
	ds_write_b32 v5, v1 offset:2112
	s_waitcnt lgkmcnt(0)
	s_barrier
	s_and_saveexec_b64 s[0:1], vcc
	s_cbranch_execz .LBB205_90
; %bb.84:
	v_mbcnt_lo_u32_b32 v4, -1, 0
	v_mbcnt_hi_u32_b32 v7, -1, v4
	v_and_b32_e32 v4, 64, v7
	v_add_u32_e32 v8, 64, v4
	v_cmp_ne_u32_e64 s[0:1], 0, v3
	v_xor_b32_e32 v3, 8, v7
	v_cmp_lt_i32_e64 s[2:3], v3, v8
	v_cndmask_b32_e64 v3, v7, v3, s[2:3]
	v_lshlrev_b32_e32 v4, 2, v3
	v_xor_b32_e32 v3, 4, v7
	v_cmp_lt_i32_e64 s[2:3], v3, v8
	s_load_dwordx2 s[12:13], s[4:5], 0x30
	v_cndmask_b32_e64 v3, v7, v3, s[2:3]
	v_lshlrev_b32_e32 v5, 2, v3
	v_xor_b32_e32 v3, 2, v7
	v_cmp_lt_i32_e64 s[2:3], v3, v8
	v_cndmask_b32_e64 v3, v7, v3, s[2:3]
	s_lshl_b64 s[4:5], s[6:7], 5
	v_lshlrev_b32_e32 v6, 2, v3
	v_xor_b32_e32 v3, 1, v7
	s_waitcnt lgkmcnt(0)
	s_cmp_eq_u64 s[12:13], 0
	v_cmp_lt_i32_e64 s[2:3], v3, v8
	v_lshrrev_b32_e32 v0, 6, v2
	v_and_b32_e32 v2, 63, v2
	s_cselect_b64 s[10:11], -1, 0
	v_cndmask_b32_e64 v3, v7, v3, s[2:3]
	s_lshl_b64 s[2:3], s[6:7], 6
	v_cmp_gt_u32_e32 vcc, 16, v2
	v_mul_u32_u24_e32 v2, 0x84, v2
	v_lshlrev_b32_e32 v7, 2, v3
	v_lshlrev_b32_e32 v3, 2, v0
	s_add_u32 s2, s12, s2
	v_add3_u32 v8, v2, v3, 0
	v_lshlrev_b32_e32 v2, 1, v0
	s_addc_u32 s3, s13, s3
	v_mov_b32_e32 v3, s3
	v_add_co_u32_e64 v2, s[2:3], s2, v2
	s_mov_b64 s[8:9], 0
	v_addc_co_u32_e64 v3, s[2:3], 0, v3, s[2:3]
	v_mov_b32_e32 v9, s5
	s_movk_i32 s5, 0x7fff
	v_mov_b32_e32 v10, 0x7fc0
                                        ; implicit-def: $vgpr11
	s_branch .LBB205_86
.LBB205_85:                             ;   in Loop: Header=BB205_86 Depth=1
	s_or_b64 exec, exec, s[6:7]
	v_add_co_u32_e64 v0, s[2:3], 8, v0
	v_addc_co_u32_e64 v1, s[2:3], 0, v1, s[2:3]
	v_add_u32_e32 v12, -8, v0
	v_cmp_lt_u32_e64 s[2:3], 23, v12
	s_or_b64 s[8:9], s[2:3], s[8:9]
	v_add_co_u32_e64 v2, s[2:3], 16, v2
	v_add_u32_e32 v8, 32, v8
	v_addc_co_u32_e64 v3, s[2:3], 0, v3, s[2:3]
	s_andn2_b64 exec, exec, s[8:9]
	s_cbranch_execz .LBB205_90
.LBB205_86:                             ; =>This Inner Loop Header: Depth=1
	s_and_saveexec_b64 s[2:3], vcc
	s_cbranch_execz .LBB205_88
; %bb.87:                               ;   in Loop: Header=BB205_86 Depth=1
	ds_read_b32 v11, v8
.LBB205_88:                             ;   in Loop: Header=BB205_86 Depth=1
	s_or_b64 exec, exec, s[2:3]
	s_waitcnt lgkmcnt(0)
	ds_bpermute_b32 v12, v4, v11
	s_waitcnt lgkmcnt(0)
	v_add_f32_e32 v11, v11, v12
	ds_bpermute_b32 v12, v5, v11
	s_waitcnt lgkmcnt(0)
	v_add_f32_e32 v11, v11, v12
	;; [unrolled: 3-line block ×3, first 2 shown]
	ds_bpermute_b32 v14, v7, v11
	v_add_co_u32_e64 v12, s[2:3], s4, v0
	v_addc_co_u32_e64 v13, s[2:3], v9, v1, s[2:3]
	v_cmp_le_i64_e64 s[2:3], s[14:15], v[12:13]
	s_or_b64 s[2:3], s[0:1], s[2:3]
	s_or_b64 s[2:3], s[10:11], s[2:3]
	s_waitcnt lgkmcnt(0)
	v_add_f32_e32 v11, v11, v14
	s_xor_b64 s[2:3], s[2:3], -1
	s_and_saveexec_b64 s[6:7], s[2:3]
	s_cbranch_execz .LBB205_85
; %bb.89:                               ;   in Loop: Header=BB205_86 Depth=1
	v_bfe_u32 v12, v11, 16, 1
	v_add3_u32 v12, v11, v12, s5
	v_lshrrev_b32_e32 v12, 16, v12
	v_cmp_o_f32_e64 s[2:3], v11, v11
	v_cndmask_b32_e64 v12, v10, v12, s[2:3]
	global_store_short v[2:3], v12, off
	s_branch .LBB205_85
.LBB205_90:
	s_endpgm
	.section	.rodata,"a",@progbits
	.p2align	6, 0x0
	.amdhsa_kernel _ZN2at6native12_GLOBAL__N_135GammaBetaBackwardCUDAKernelTemplateIN3c108BFloat16EfLj32ELj16ELj128ELb0ELb0ELb1EEEvllPKT_S7_PKT0_SA_PS5_SB_
		.amdhsa_group_segment_fixed_size 0
		.amdhsa_private_segment_fixed_size 0
		.amdhsa_kernarg_size 320
		.amdhsa_user_sgpr_count 6
		.amdhsa_user_sgpr_private_segment_buffer 1
		.amdhsa_user_sgpr_dispatch_ptr 0
		.amdhsa_user_sgpr_queue_ptr 0
		.amdhsa_user_sgpr_kernarg_segment_ptr 1
		.amdhsa_user_sgpr_dispatch_id 0
		.amdhsa_user_sgpr_flat_scratch_init 0
		.amdhsa_user_sgpr_kernarg_preload_length 0
		.amdhsa_user_sgpr_kernarg_preload_offset 0
		.amdhsa_user_sgpr_private_segment_size 0
		.amdhsa_uses_dynamic_stack 0
		.amdhsa_system_sgpr_private_segment_wavefront_offset 0
		.amdhsa_system_sgpr_workgroup_id_x 1
		.amdhsa_system_sgpr_workgroup_id_y 1
		.amdhsa_system_sgpr_workgroup_id_z 0
		.amdhsa_system_sgpr_workgroup_info 0
		.amdhsa_system_vgpr_workitem_id 1
		.amdhsa_next_free_vgpr 100
		.amdhsa_next_free_sgpr 42
		.amdhsa_accum_offset 100
		.amdhsa_reserve_vcc 1
		.amdhsa_reserve_flat_scratch 0
		.amdhsa_float_round_mode_32 0
		.amdhsa_float_round_mode_16_64 0
		.amdhsa_float_denorm_mode_32 3
		.amdhsa_float_denorm_mode_16_64 3
		.amdhsa_dx10_clamp 1
		.amdhsa_ieee_mode 1
		.amdhsa_fp16_overflow 0
		.amdhsa_tg_split 0
		.amdhsa_exception_fp_ieee_invalid_op 0
		.amdhsa_exception_fp_denorm_src 0
		.amdhsa_exception_fp_ieee_div_zero 0
		.amdhsa_exception_fp_ieee_overflow 0
		.amdhsa_exception_fp_ieee_underflow 0
		.amdhsa_exception_fp_ieee_inexact 0
		.amdhsa_exception_int_div_zero 0
	.end_amdhsa_kernel
	.section	.text._ZN2at6native12_GLOBAL__N_135GammaBetaBackwardCUDAKernelTemplateIN3c108BFloat16EfLj32ELj16ELj128ELb0ELb0ELb1EEEvllPKT_S7_PKT0_SA_PS5_SB_,"axG",@progbits,_ZN2at6native12_GLOBAL__N_135GammaBetaBackwardCUDAKernelTemplateIN3c108BFloat16EfLj32ELj16ELj128ELb0ELb0ELb1EEEvllPKT_S7_PKT0_SA_PS5_SB_,comdat
.Lfunc_end205:
	.size	_ZN2at6native12_GLOBAL__N_135GammaBetaBackwardCUDAKernelTemplateIN3c108BFloat16EfLj32ELj16ELj128ELb0ELb0ELb1EEEvllPKT_S7_PKT0_SA_PS5_SB_, .Lfunc_end205-_ZN2at6native12_GLOBAL__N_135GammaBetaBackwardCUDAKernelTemplateIN3c108BFloat16EfLj32ELj16ELj128ELb0ELb0ELb1EEEvllPKT_S7_PKT0_SA_PS5_SB_
                                        ; -- End function
	.section	.AMDGPU.csdata,"",@progbits
; Kernel info:
; codeLenInByte = 7204
; NumSgprs: 46
; NumVgprs: 100
; NumAgprs: 0
; TotalNumVgprs: 100
; ScratchSize: 0
; MemoryBound: 0
; FloatMode: 240
; IeeeMode: 1
; LDSByteSize: 0 bytes/workgroup (compile time only)
; SGPRBlocks: 5
; VGPRBlocks: 12
; NumSGPRsForWavesPerEU: 46
; NumVGPRsForWavesPerEU: 100
; AccumOffset: 100
; Occupancy: 4
; WaveLimiterHint : 0
; COMPUTE_PGM_RSRC2:SCRATCH_EN: 0
; COMPUTE_PGM_RSRC2:USER_SGPR: 6
; COMPUTE_PGM_RSRC2:TRAP_HANDLER: 0
; COMPUTE_PGM_RSRC2:TGID_X_EN: 1
; COMPUTE_PGM_RSRC2:TGID_Y_EN: 1
; COMPUTE_PGM_RSRC2:TGID_Z_EN: 0
; COMPUTE_PGM_RSRC2:TIDIG_COMP_CNT: 1
; COMPUTE_PGM_RSRC3_GFX90A:ACCUM_OFFSET: 24
; COMPUTE_PGM_RSRC3_GFX90A:TG_SPLIT: 0
	.section	.text._ZN2at6native12_GLOBAL__N_135GammaBetaBackwardCUDAKernelTemplateIN3c108BFloat16EfLj32ELj32ELj256ELb0ELb1ELb1EEEvllPKT_S7_PKT0_SA_PS5_SB_,"axG",@progbits,_ZN2at6native12_GLOBAL__N_135GammaBetaBackwardCUDAKernelTemplateIN3c108BFloat16EfLj32ELj32ELj256ELb0ELb1ELb1EEEvllPKT_S7_PKT0_SA_PS5_SB_,comdat
	.globl	_ZN2at6native12_GLOBAL__N_135GammaBetaBackwardCUDAKernelTemplateIN3c108BFloat16EfLj32ELj32ELj256ELb0ELb1ELb1EEEvllPKT_S7_PKT0_SA_PS5_SB_ ; -- Begin function _ZN2at6native12_GLOBAL__N_135GammaBetaBackwardCUDAKernelTemplateIN3c108BFloat16EfLj32ELj32ELj256ELb0ELb1ELb1EEEvllPKT_S7_PKT0_SA_PS5_SB_
	.p2align	8
	.type	_ZN2at6native12_GLOBAL__N_135GammaBetaBackwardCUDAKernelTemplateIN3c108BFloat16EfLj32ELj32ELj256ELb0ELb1ELb1EEEvllPKT_S7_PKT0_SA_PS5_SB_,@function
_ZN2at6native12_GLOBAL__N_135GammaBetaBackwardCUDAKernelTemplateIN3c108BFloat16EfLj32ELj32ELj256ELb0ELb1ELb1EEEvllPKT_S7_PKT0_SA_PS5_SB_: ; @_ZN2at6native12_GLOBAL__N_135GammaBetaBackwardCUDAKernelTemplateIN3c108BFloat16EfLj32ELj32ELj256ELb0ELb1ELb1EEEvllPKT_S7_PKT0_SA_PS5_SB_
; %bb.0:
	s_load_dwordx4 s[8:11], s[4:5], 0x0
	s_lshl_b32 s16, s7, 8
	s_mov_b32 s17, 0
	v_bfe_u32 v11, v0, 10, 10
	s_waitcnt lgkmcnt(0)
	v_pk_mov_b32 v[2:3], s[8:9], s[8:9] op_sel:[0,1]
	v_cmp_lt_i64_e32 vcc, s[16:17], v[2:3]
	s_cbranch_vccnz .LBB206_2
; %bb.1:
	s_mov_b64 s[0:1], 0
	v_bfe_u32 v2, v0, 10, 10
	s_branch .LBB206_3
.LBB206_2:
	s_mov_b64 s[0:1], -1
                                        ; implicit-def: $vgpr2
.LBB206_3:
	s_load_dwordx2 s[2:3], s[4:5], 0x30
	v_and_b32_e32 v6, 0x3ff, v0
	s_andn2_b64 vcc, exec, s[0:1]
	v_mov_b32_e32 v1, s17
	v_mbcnt_lo_u32_b32 v10, -1, 0
	s_cbranch_vccnz .LBB206_11
; %bb.4:
	s_load_dword s0, s[4:5], 0x4c
	s_load_dword s7, s[4:5], 0x44
	s_load_dwordx4 s[12:15], s[4:5], 0x10
	s_load_dwordx2 s[18:19], s[4:5], 0x28
	v_mbcnt_hi_u32_b32 v4, -1, v10
	v_lshlrev_b32_e32 v2, 3, v11
	s_waitcnt lgkmcnt(0)
	s_and_b32 s0, s0, 0xffff
	v_lshlrev_b32_e32 v4, 2, v4
	v_mad_u32_u24 v0, v11, s0, v6
	v_and_b32_e32 v12, 0x100, v4
	v_mov_b32_e32 v4, s17
	v_add_co_u32_e32 v7, vcc, s16, v2
	v_and_b32_e32 v3, 63, v0
	v_addc_co_u32_e32 v8, vcc, 0, v4, vcc
	v_add_co_u32_e32 v2, vcc, v7, v3
	v_cmp_gt_u32_e64 s[0:1], 8, v3
	v_addc_co_u32_e32 v3, vcc, 0, v8, vcc
	v_lshlrev_b64 v[4:5], 2, v[2:3]
	v_mov_b32_e32 v9, s19
	v_add_co_u32_e32 v4, vcc, s18, v4
	s_lshl_b32 s4, s7, 8
	v_addc_co_u32_e32 v5, vcc, v9, v5, vcc
	v_mul_lo_u32 v20, s11, v7
	v_mul_lo_u32 v21, s10, v8
	v_mad_u64_u32 v[8:9], s[20:21], s10, v7, 0
	v_mov_b32_e32 v1, 0
	v_lshl_add_u32 v0, s6, 5, v6
	v_add3_u32 v9, v9, v21, v20
	s_mul_i32 s7, s11, s4
	s_mul_hi_u32 s20, s10, s4
	s_mov_b32 s5, 0
	v_lshlrev_b64 v[8:9], 1, v[8:9]
	v_lshlrev_b64 v[20:21], 1, v[0:1]
	s_add_i32 s21, s20, s7
	s_mul_i32 s20, s10, s4
	s_lshl_b64 s[18:19], s[4:5], 2
	v_add_co_u32_e32 v0, vcc, v8, v20
	s_lshl_b64 s[20:21], s[20:21], 1
	s_lshl_b64 s[10:11], s[10:11], 1
	v_or_b32_e32 v13, 4, v12
	v_or_b32_e32 v14, 8, v12
	;; [unrolled: 1-line block ×7, first 2 shown]
	v_addc_co_u32_e32 v7, vcc, v9, v21, vcc
	v_mov_b32_e32 v20, s13
	v_mov_b32_e32 v21, s15
	;; [unrolled: 1-line block ×6, first 2 shown]
	v_pk_mov_b32 v[8:9], s[8:9], s[8:9] op_sel:[0,1]
	s_branch .LBB206_7
.LBB206_5:                              ;   in Loop: Header=BB206_7 Depth=1
	s_or_b64 exec, exec, s[24:25]
.LBB206_6:                              ;   in Loop: Header=BB206_7 Depth=1
	s_or_b64 exec, exec, s[22:23]
	v_add_co_u32_e32 v28, vcc, s12, v0
	v_addc_co_u32_e32 v29, vcc, v20, v7, vcc
	v_add_co_u32_e32 v30, vcc, s14, v0
	v_addc_co_u32_e32 v31, vcc, v21, v7, vcc
	;; [unrolled: 2-line block ×5, first 2 shown]
	v_add_co_u32_e32 v38, vcc, s10, v34
	global_load_ushort v27, v[32:33], off
	global_load_ushort v50, v[28:29], off
	;; [unrolled: 1-line block ×4, first 2 shown]
	v_addc_co_u32_e32 v39, vcc, v35, v22, vcc
	v_add_co_u32_e32 v40, vcc, s10, v36
	v_addc_co_u32_e32 v41, vcc, v37, v22, vcc
	v_add_co_u32_e32 v42, vcc, s10, v38
	;; [unrolled: 2-line block ×3, first 2 shown]
	v_addc_co_u32_e32 v45, vcc, v41, v22, vcc
	global_load_ushort v53, v[36:37], off
	global_load_ushort v54, v[40:41], off
	;; [unrolled: 1-line block ×4, first 2 shown]
	v_add_co_u32_e32 v46, vcc, s10, v42
	v_addc_co_u32_e32 v47, vcc, v43, v22, vcc
	v_add_co_u32_e32 v48, vcc, s10, v44
	v_addc_co_u32_e32 v49, vcc, v45, v22, vcc
	;; [unrolled: 2-line block ×3, first 2 shown]
	v_add_co_u32_e32 v30, vcc, s10, v48
	global_load_ushort v36, v[48:49], off
	global_load_ushort v37, v[44:45], off
	;; [unrolled: 1-line block ×4, first 2 shown]
	v_addc_co_u32_e32 v31, vcc, v49, v22, vcc
	v_add_co_u32_e32 v32, vcc, s10, v28
	v_addc_co_u32_e32 v33, vcc, v29, v22, vcc
	v_add_co_u32_e32 v28, vcc, s10, v30
	;; [unrolled: 2-line block ×3, first 2 shown]
	v_addc_co_u32_e32 v35, vcc, v33, v22, vcc
	global_load_ushort v40, v[30:31], off
	global_load_ushort v41, v[28:29], off
	;; [unrolled: 1-line block ×4, first 2 shown]
	s_waitcnt vmcnt(16)
	ds_bpermute_b32 v28, v12, v26
	ds_bpermute_b32 v29, v13, v26
	v_add_co_u32_e32 v4, vcc, s18, v4
	v_addc_co_u32_e32 v5, vcc, v5, v23, vcc
	v_add_co_u32_e32 v2, vcc, s4, v2
	v_addc_co_u32_e32 v3, vcc, v3, v24, vcc
	s_add_u32 s16, s16, s4
	v_add_co_u32_e32 v0, vcc, s20, v0
	s_addc_u32 s17, s17, 0
	v_addc_co_u32_e32 v7, vcc, v7, v25, vcc
	v_cmp_lt_i64_e32 vcc, s[16:17], v[8:9]
	s_and_b64 vcc, exec, vcc
	s_waitcnt vmcnt(15)
	v_lshlrev_b32_e32 v31, 16, v27
	s_waitcnt vmcnt(14)
	v_lshlrev_b32_e32 v30, 16, v50
	s_waitcnt vmcnt(13)
	v_lshlrev_b32_e32 v33, 16, v51
	s_waitcnt vmcnt(12)
	v_lshlrev_b32_e32 v32, 16, v52
	v_pk_mul_f32 v[30:31], v[30:31], v[32:33]
	s_waitcnt lgkmcnt(0)
	v_pk_mul_f32 v[28:29], v[30:31], v[28:29]
	v_add_f32_e32 v1, v1, v28
	v_add_f32_e32 v1, v1, v29
	ds_bpermute_b32 v28, v14, v26
	ds_bpermute_b32 v29, v15, v26
	s_waitcnt vmcnt(11)
	v_lshlrev_b32_e32 v30, 16, v53
	s_waitcnt vmcnt(10)
	v_lshlrev_b32_e32 v31, 16, v54
	s_waitcnt vmcnt(9)
	v_lshlrev_b32_e32 v32, 16, v55
	s_waitcnt vmcnt(8)
	v_lshlrev_b32_e32 v33, 16, v56
	v_pk_mul_f32 v[30:31], v[30:31], v[32:33]
	s_waitcnt lgkmcnt(0)
	v_pk_mul_f32 v[28:29], v[30:31], v[28:29]
	v_add_f32_e32 v1, v1, v28
	v_add_f32_e32 v1, v1, v29
	ds_bpermute_b32 v28, v16, v26
	ds_bpermute_b32 v29, v17, v26
	;; [unrolled: 15-line block ×3, first 2 shown]
	s_waitcnt vmcnt(3)
	v_lshlrev_b32_e32 v26, 16, v40
	s_waitcnt vmcnt(2)
	v_lshlrev_b32_e32 v27, 16, v41
	;; [unrolled: 2-line block ×4, first 2 shown]
	v_pk_mul_f32 v[26:27], v[26:27], v[30:31]
	s_waitcnt lgkmcnt(0)
	v_pk_mul_f32 v[26:27], v[26:27], v[28:29]
	v_add_f32_e32 v1, v1, v26
	v_add_f32_e32 v1, v1, v27
	s_cbranch_vccz .LBB206_10
.LBB206_7:                              ; =>This Inner Loop Header: Depth=1
	v_mov_b32_e32 v26, 0
	s_and_saveexec_b64 s[22:23], s[0:1]
	s_cbranch_execz .LBB206_6
; %bb.8:                                ;   in Loop: Header=BB206_7 Depth=1
	v_cmp_gt_i64_e32 vcc, s[8:9], v[2:3]
	v_mov_b32_e32 v26, 0
	s_and_saveexec_b64 s[24:25], vcc
	s_cbranch_execz .LBB206_5
; %bb.9:                                ;   in Loop: Header=BB206_7 Depth=1
	global_load_dword v26, v[4:5], off
	s_branch .LBB206_5
.LBB206_10:
	v_mov_b32_e32 v2, v11
.LBB206_11:
	v_mad_u32_u24 v0, v2, 33, v6
	v_lshl_add_u32 v3, v0, 2, 0
	v_sub_u32_e32 v0, v0, v2
	s_movk_i32 s0, 0x800
	s_mov_b32 s7, 0
	ds_write_b32 v3, v1
	v_mov_b32_e32 v1, 0
	v_cmp_gt_u32_e32 vcc, s0, v0
	ds_write_b32 v3, v1 offset:4224
	s_waitcnt lgkmcnt(0)
	s_barrier
	s_and_saveexec_b64 s[0:1], vcc
	s_cbranch_execz .LBB206_18
; %bb.12:
	v_mbcnt_hi_u32_b32 v7, -1, v10
	v_and_b32_e32 v2, 64, v7
	s_cmp_lg_u64 s[2:3], 0
	v_add_u32_e32 v8, 64, v2
	v_cmp_eq_u32_e64 s[0:1], 0, v6
	s_cselect_b64 s[8:9], -1, 0
	v_xor_b32_e32 v2, 16, v7
	s_and_b64 s[8:9], s[0:1], s[8:9]
	v_cmp_lt_i32_e64 s[0:1], v2, v8
	v_xor_b32_e32 v3, 8, v7
	v_cndmask_b32_e64 v2, v7, v2, s[0:1]
	v_cmp_lt_i32_e64 s[0:1], v3, v8
	v_xor_b32_e32 v4, 4, v7
	v_cndmask_b32_e64 v3, v7, v3, s[0:1]
	;; [unrolled: 3-line block ×4, first 2 shown]
	v_cmp_lt_i32_e64 s[0:1], v6, v8
	v_lshrrev_b32_e32 v1, 6, v0
	v_and_b32_e32 v0, 63, v0
	v_cndmask_b32_e64 v6, v7, v6, s[0:1]
	s_lshl_b64 s[0:1], s[6:7], 6
	v_cmp_gt_u32_e32 vcc, 32, v0
	v_mul_u32_u24_e32 v0, 0x84, v0
	v_lshlrev_b32_e32 v7, 2, v1
	s_add_u32 s0, s2, s0
	v_add3_u32 v7, v0, v7, 0
	v_lshlrev_b32_e32 v0, 1, v1
	s_addc_u32 s1, s3, s1
	v_add_u32_e32 v8, -16, v1
	v_mov_b32_e32 v1, s1
	v_add_co_u32_e64 v0, s[0:1], s0, v0
	s_mov_b64 s[4:5], 0
	v_lshlrev_b32_e32 v2, 2, v2
	v_lshlrev_b32_e32 v3, 2, v3
	;; [unrolled: 1-line block ×5, first 2 shown]
	v_addc_co_u32_e64 v1, s[0:1], 0, v1, s[0:1]
	s_movk_i32 s6, 0x7fff
	v_mov_b32_e32 v9, 0x7fc0
                                        ; implicit-def: $vgpr10
	s_branch .LBB206_14
.LBB206_13:                             ;   in Loop: Header=BB206_14 Depth=1
	s_or_b64 exec, exec, s[2:3]
	v_add_co_u32_e64 v8, s[0:1], 16, v8
	s_xor_b64 s[0:1], s[0:1], -1
	s_and_b64 s[0:1], exec, s[0:1]
	s_or_b64 s[4:5], s[0:1], s[4:5]
	v_add_co_u32_e64 v0, s[0:1], 32, v0
	v_add_u32_e32 v7, 64, v7
	v_addc_co_u32_e64 v1, s[0:1], 0, v1, s[0:1]
	s_andn2_b64 exec, exec, s[4:5]
	s_cbranch_execz .LBB206_18
.LBB206_14:                             ; =>This Inner Loop Header: Depth=1
	s_and_saveexec_b64 s[0:1], vcc
	s_cbranch_execz .LBB206_16
; %bb.15:                               ;   in Loop: Header=BB206_14 Depth=1
	ds_read_b32 v10, v7
.LBB206_16:                             ;   in Loop: Header=BB206_14 Depth=1
	s_or_b64 exec, exec, s[0:1]
	s_waitcnt lgkmcnt(0)
	ds_bpermute_b32 v11, v2, v10
	s_waitcnt lgkmcnt(0)
	v_add_f32_e32 v10, v10, v11
	ds_bpermute_b32 v11, v3, v10
	s_waitcnt lgkmcnt(0)
	v_add_f32_e32 v10, v10, v11
	;; [unrolled: 3-line block ×5, first 2 shown]
	s_and_saveexec_b64 s[2:3], s[8:9]
	s_cbranch_execz .LBB206_13
; %bb.17:                               ;   in Loop: Header=BB206_14 Depth=1
	v_bfe_u32 v11, v10, 16, 1
	v_add3_u32 v11, v10, v11, s6
	v_lshrrev_b32_e32 v11, 16, v11
	v_cmp_o_f32_e64 s[0:1], v10, v10
	v_cndmask_b32_e64 v11, v9, v11, s[0:1]
	global_store_short v[0:1], v11, off
	s_branch .LBB206_13
.LBB206_18:
	s_endpgm
	.section	.rodata,"a",@progbits
	.p2align	6, 0x0
	.amdhsa_kernel _ZN2at6native12_GLOBAL__N_135GammaBetaBackwardCUDAKernelTemplateIN3c108BFloat16EfLj32ELj32ELj256ELb0ELb1ELb1EEEvllPKT_S7_PKT0_SA_PS5_SB_
		.amdhsa_group_segment_fixed_size 0
		.amdhsa_private_segment_fixed_size 0
		.amdhsa_kernarg_size 320
		.amdhsa_user_sgpr_count 6
		.amdhsa_user_sgpr_private_segment_buffer 1
		.amdhsa_user_sgpr_dispatch_ptr 0
		.amdhsa_user_sgpr_queue_ptr 0
		.amdhsa_user_sgpr_kernarg_segment_ptr 1
		.amdhsa_user_sgpr_dispatch_id 0
		.amdhsa_user_sgpr_flat_scratch_init 0
		.amdhsa_user_sgpr_kernarg_preload_length 0
		.amdhsa_user_sgpr_kernarg_preload_offset 0
		.amdhsa_user_sgpr_private_segment_size 0
		.amdhsa_uses_dynamic_stack 0
		.amdhsa_system_sgpr_private_segment_wavefront_offset 0
		.amdhsa_system_sgpr_workgroup_id_x 1
		.amdhsa_system_sgpr_workgroup_id_y 1
		.amdhsa_system_sgpr_workgroup_id_z 0
		.amdhsa_system_sgpr_workgroup_info 0
		.amdhsa_system_vgpr_workitem_id 1
		.amdhsa_next_free_vgpr 57
		.amdhsa_next_free_sgpr 26
		.amdhsa_accum_offset 60
		.amdhsa_reserve_vcc 1
		.amdhsa_reserve_flat_scratch 0
		.amdhsa_float_round_mode_32 0
		.amdhsa_float_round_mode_16_64 0
		.amdhsa_float_denorm_mode_32 3
		.amdhsa_float_denorm_mode_16_64 3
		.amdhsa_dx10_clamp 1
		.amdhsa_ieee_mode 1
		.amdhsa_fp16_overflow 0
		.amdhsa_tg_split 0
		.amdhsa_exception_fp_ieee_invalid_op 0
		.amdhsa_exception_fp_denorm_src 0
		.amdhsa_exception_fp_ieee_div_zero 0
		.amdhsa_exception_fp_ieee_overflow 0
		.amdhsa_exception_fp_ieee_underflow 0
		.amdhsa_exception_fp_ieee_inexact 0
		.amdhsa_exception_int_div_zero 0
	.end_amdhsa_kernel
	.section	.text._ZN2at6native12_GLOBAL__N_135GammaBetaBackwardCUDAKernelTemplateIN3c108BFloat16EfLj32ELj32ELj256ELb0ELb1ELb1EEEvllPKT_S7_PKT0_SA_PS5_SB_,"axG",@progbits,_ZN2at6native12_GLOBAL__N_135GammaBetaBackwardCUDAKernelTemplateIN3c108BFloat16EfLj32ELj32ELj256ELb0ELb1ELb1EEEvllPKT_S7_PKT0_SA_PS5_SB_,comdat
.Lfunc_end206:
	.size	_ZN2at6native12_GLOBAL__N_135GammaBetaBackwardCUDAKernelTemplateIN3c108BFloat16EfLj32ELj32ELj256ELb0ELb1ELb1EEEvllPKT_S7_PKT0_SA_PS5_SB_, .Lfunc_end206-_ZN2at6native12_GLOBAL__N_135GammaBetaBackwardCUDAKernelTemplateIN3c108BFloat16EfLj32ELj32ELj256ELb0ELb1ELb1EEEvllPKT_S7_PKT0_SA_PS5_SB_
                                        ; -- End function
	.section	.AMDGPU.csdata,"",@progbits
; Kernel info:
; codeLenInByte = 1588
; NumSgprs: 30
; NumVgprs: 57
; NumAgprs: 0
; TotalNumVgprs: 57
; ScratchSize: 0
; MemoryBound: 0
; FloatMode: 240
; IeeeMode: 1
; LDSByteSize: 0 bytes/workgroup (compile time only)
; SGPRBlocks: 3
; VGPRBlocks: 7
; NumSGPRsForWavesPerEU: 30
; NumVGPRsForWavesPerEU: 57
; AccumOffset: 60
; Occupancy: 8
; WaveLimiterHint : 0
; COMPUTE_PGM_RSRC2:SCRATCH_EN: 0
; COMPUTE_PGM_RSRC2:USER_SGPR: 6
; COMPUTE_PGM_RSRC2:TRAP_HANDLER: 0
; COMPUTE_PGM_RSRC2:TGID_X_EN: 1
; COMPUTE_PGM_RSRC2:TGID_Y_EN: 1
; COMPUTE_PGM_RSRC2:TGID_Z_EN: 0
; COMPUTE_PGM_RSRC2:TIDIG_COMP_CNT: 1
; COMPUTE_PGM_RSRC3_GFX90A:ACCUM_OFFSET: 14
; COMPUTE_PGM_RSRC3_GFX90A:TG_SPLIT: 0
	.section	.text._ZN2at6native12_GLOBAL__N_135GammaBetaBackwardCUDAKernelTemplateIN3c108BFloat16EfLj32ELj32ELj256ELb0ELb0ELb1EEEvllPKT_S7_PKT0_SA_PS5_SB_,"axG",@progbits,_ZN2at6native12_GLOBAL__N_135GammaBetaBackwardCUDAKernelTemplateIN3c108BFloat16EfLj32ELj32ELj256ELb0ELb0ELb1EEEvllPKT_S7_PKT0_SA_PS5_SB_,comdat
	.globl	_ZN2at6native12_GLOBAL__N_135GammaBetaBackwardCUDAKernelTemplateIN3c108BFloat16EfLj32ELj32ELj256ELb0ELb0ELb1EEEvllPKT_S7_PKT0_SA_PS5_SB_ ; -- Begin function _ZN2at6native12_GLOBAL__N_135GammaBetaBackwardCUDAKernelTemplateIN3c108BFloat16EfLj32ELj32ELj256ELb0ELb0ELb1EEEvllPKT_S7_PKT0_SA_PS5_SB_
	.p2align	8
	.type	_ZN2at6native12_GLOBAL__N_135GammaBetaBackwardCUDAKernelTemplateIN3c108BFloat16EfLj32ELj32ELj256ELb0ELb0ELb1EEEvllPKT_S7_PKT0_SA_PS5_SB_,@function
_ZN2at6native12_GLOBAL__N_135GammaBetaBackwardCUDAKernelTemplateIN3c108BFloat16EfLj32ELj32ELj256ELb0ELb0ELb1EEEvllPKT_S7_PKT0_SA_PS5_SB_: ; @_ZN2at6native12_GLOBAL__N_135GammaBetaBackwardCUDAKernelTemplateIN3c108BFloat16EfLj32ELj32ELj256ELb0ELb0ELb1EEEvllPKT_S7_PKT0_SA_PS5_SB_
; %bb.0:
	s_load_dwordx8 s[12:19], s[4:5], 0x0
	s_load_dwordx2 s[10:11], s[4:5], 0x28
	s_lshl_b32 s33, s6, 5
	s_or_b32 s28, s33, 31
	s_mov_b32 s29, 0
	s_waitcnt lgkmcnt(0)
	v_pk_mov_b32 v[2:3], s[14:15], s[14:15] op_sel:[0,1]
	v_cmp_ge_i64_e32 vcc, s[28:29], v[2:3]
	s_lshl_b32 s28, s7, 8
	v_pk_mov_b32 v[2:3], s[12:13], s[12:13] op_sel:[0,1]
	v_cmp_lt_i64_e64 s[0:1], s[28:29], v[2:3]
	v_cndmask_b32_e64 v1, 0, 1, s[0:1]
	v_cmp_ne_u32_e64 s[0:1], 1, v1
	s_cbranch_vccz .LBB207_49
; %bb.1:
	s_and_b64 vcc, exec, s[0:1]
	v_mov_b32_e32 v2, 0
	s_cbranch_vccnz .LBB207_50
; %bb.2:
	v_and_b32_e32 v59, 0x3ff, v0
	v_bfe_u32 v61, v0, 10, 10
	v_add_u32_e32 v2, s33, v59
	v_mov_b32_e32 v3, 0
	v_lshlrev_b32_e32 v26, 3, v61
	v_cmp_gt_i64_e64 s[2:3], s[14:15], v[2:3]
	v_lshlrev_b64 v[28:29], 1, v[2:3]
	v_mov_b32_e32 v1, s29
	v_add_co_u32_e32 v2, vcc, s28, v26
	v_addc_co_u32_e32 v6, vcc, 0, v1, vcc
	v_add_co_u32_e32 v1, vcc, 7, v2
	v_addc_co_u32_e32 v4, vcc, 0, v6, vcc
	v_mul_lo_u32 v7, s15, v1
	v_mul_lo_u32 v8, s14, v4
	v_mad_u64_u32 v[4:5], s[8:9], s14, v1, 0
	s_load_dword s7, s[4:5], 0x44
	v_add3_u32 v5, v5, v8, v7
	v_lshlrev_b64 v[4:5], 1, v[4:5]
	v_mov_b32_e32 v7, s17
	v_add_co_u32_e32 v30, vcc, s16, v4
	v_addc_co_u32_e32 v1, vcc, v7, v5, vcc
	s_add_u32 s30, s4, 64
	v_mov_b32_e32 v8, s19
	v_add_co_u32_e32 v32, vcc, s18, v4
	s_addc_u32 s31, s5, 0
	s_waitcnt lgkmcnt(0)
	s_lshl_b32 s7, s7, 8
	v_addc_co_u32_e32 v27, vcc, v8, v5, vcc
	s_mul_i32 s8, s15, s7
	s_mul_hi_u32 s9, s14, s7
	v_add_co_u32_e32 v4, vcc, 6, v2
	s_add_i32 s9, s9, s8
	s_mul_i32 s8, s14, s7
	v_addc_co_u32_e32 v5, vcc, 0, v6, vcc
	s_lshl_b64 s[34:35], s[8:9], 1
	v_mul_lo_u32 v9, s15, v4
	v_mul_lo_u32 v10, s14, v5
	v_mad_u64_u32 v[4:5], s[8:9], s14, v4, 0
	v_add3_u32 v5, v5, v10, v9
	v_lshlrev_b64 v[4:5], 1, v[4:5]
	v_add_co_u32_e32 v34, vcc, s16, v4
	v_addc_co_u32_e32 v31, vcc, v7, v5, vcc
	v_add_co_u32_e32 v36, vcc, s18, v4
	v_addc_co_u32_e32 v33, vcc, v8, v5, vcc
	v_add_co_u32_e32 v4, vcc, 5, v2
	v_addc_co_u32_e32 v5, vcc, 0, v6, vcc
	v_mul_lo_u32 v9, s15, v4
	v_mul_lo_u32 v10, s14, v5
	v_mad_u64_u32 v[4:5], s[8:9], s14, v4, 0
	v_add3_u32 v5, v5, v10, v9
	v_lshlrev_b64 v[4:5], 1, v[4:5]
	v_add_co_u32_e32 v38, vcc, s16, v4
	v_addc_co_u32_e32 v35, vcc, v7, v5, vcc
	v_add_co_u32_e32 v40, vcc, s18, v4
	v_addc_co_u32_e32 v37, vcc, v8, v5, vcc
	v_add_co_u32_e32 v4, vcc, 4, v2
	v_addc_co_u32_e32 v5, vcc, 0, v6, vcc
	;; [unrolled: 11-line block ×4, first 2 shown]
	v_mul_lo_u32 v9, s15, v4
	v_mul_lo_u32 v10, s14, v5
	v_mad_u64_u32 v[4:5], s[8:9], s14, v4, 0
	v_add3_u32 v5, v5, v10, v9
	v_lshlrev_b64 v[4:5], 1, v[4:5]
	v_add_co_u32_e32 v50, vcc, s16, v4
	v_addc_co_u32_e32 v47, vcc, v7, v5, vcc
	v_add_co_u32_e32 v52, vcc, s18, v4
	v_addc_co_u32_e32 v49, vcc, v8, v5, vcc
	v_pk_mov_b32 v[4:5], s[14:15], s[14:15] op_sel:[0,1]
	v_mad_u64_u32 v[4:5], s[8:9], s14, v2, v[4:5]
	v_mul_lo_u32 v6, s14, v6
	v_mul_lo_u32 v9, s15, v2
	v_add3_u32 v5, v9, v5, v6
	v_lshlrev_b64 v[4:5], 1, v[4:5]
	v_add_co_u32_e32 v54, vcc, s16, v4
	v_addc_co_u32_e32 v51, vcc, v7, v5, vcc
	v_add_co_u32_e32 v56, vcc, s18, v4
	v_addc_co_u32_e32 v53, vcc, v8, v5, vcc
	v_mad_u64_u32 v[4:5], s[8:9], s14, v2, 0
	v_add3_u32 v5, v5, v6, v9
	v_lshlrev_b64 v[4:5], 1, v[4:5]
	v_add_co_u32_e32 v58, vcc, s16, v4
	v_mbcnt_lo_u32_b32 v2, -1, 0
	v_addc_co_u32_e32 v55, vcc, v7, v5, vcc
	v_mbcnt_hi_u32_b32 v2, -1, v2
	s_add_u32 s36, s28, 0xff
	v_add_co_u32_e32 v60, vcc, s18, v4
	v_lshlrev_b32_e32 v2, 2, v2
	s_mov_b32 s20, 0
	s_addc_u32 s37, 0, 0
	v_addc_co_u32_e32 v57, vcc, v8, v5, vcc
	v_and_b32_e32 v62, 0x100, v2
	s_mov_b64 s[38:39], s[28:29]
	v_mov_b32_e32 v63, 0
.LBB207_3:                              ; =>This Inner Loop Header: Depth=1
	v_pk_mov_b32 v[4:5], s[12:13], s[12:13] op_sel:[0,1]
	v_cmp_ge_i64_e32 vcc, s[36:37], v[4:5]
	v_mov_b32_e32 v2, s37
	v_add_co_u32_e64 v64, s[8:9], s36, v26
	v_addc_co_u32_e64 v65, s[8:9], 0, v2, s[8:9]
	s_cbranch_vccz .LBB207_25
; %bb.4:                                ;   in Loop: Header=BB207_3 Depth=1
	s_load_dword s8, s[30:31], 0xc
	v_mov_b32_e32 v66, 0
	s_waitcnt lgkmcnt(0)
	s_and_b32 s8, s8, 0xffff
	v_mad_u32_u24 v2, v61, s8, v59
	v_and_b32_e32 v2, 63, v2
	v_cmp_gt_u32_e32 vcc, 8, v2
	s_and_saveexec_b64 s[8:9], vcc
	s_cbranch_execz .LBB207_8
; %bb.5:                                ;   in Loop: Header=BB207_3 Depth=1
	v_add_co_u32_e32 v2, vcc, v64, v2
	v_addc_co_u32_e32 v5, vcc, 0, v65, vcc
	v_add_co_u32_e32 v4, vcc, 0xffffff01, v2
	v_addc_co_u32_e32 v5, vcc, -1, v5, vcc
	v_cmp_gt_i64_e32 vcc, s[12:13], v[4:5]
	v_mov_b32_e32 v66, 0
	s_and_saveexec_b64 s[22:23], vcc
	s_cbranch_execz .LBB207_7
; %bb.6:                                ;   in Loop: Header=BB207_3 Depth=1
	v_lshlrev_b64 v[4:5], 2, v[4:5]
	v_mov_b32_e32 v2, s11
	v_add_co_u32_e32 v4, vcc, s10, v4
	v_addc_co_u32_e32 v5, vcc, v2, v5, vcc
	global_load_dword v66, v[4:5], off
.LBB207_7:                              ;   in Loop: Header=BB207_3 Depth=1
	s_or_b64 exec, exec, s[22:23]
.LBB207_8:                              ;   in Loop: Header=BB207_3 Depth=1
	s_or_b64 exec, exec, s[8:9]
	s_mov_b32 s21, s20
	v_add_co_u32_e32 v4, vcc, 0xffffff01, v64
	s_mov_b32 s22, s20
	s_mov_b32 s23, s20
	;; [unrolled: 1-line block ×6, first 2 shown]
	v_pk_mov_b32 v[10:11], s[20:21], s[20:21] op_sel:[0,1]
	v_addc_co_u32_e32 v5, vcc, -1, v65, vcc
	v_pk_mov_b32 v[16:17], s[26:27], s[26:27] op_sel:[0,1]
	v_cmp_gt_i64_e32 vcc, s[12:13], v[4:5]
	v_pk_mov_b32 v[12:13], s[22:23], s[22:23] op_sel:[0,1]
	v_pk_mov_b32 v[14:15], s[24:25], s[24:25] op_sel:[0,1]
	;; [unrolled: 1-line block ×3, first 2 shown]
	s_and_b64 s[40:41], s[2:3], vcc
	v_pk_mov_b32 v[22:23], v[14:15], v[14:15] op_sel:[0,1]
	v_pk_mov_b32 v[20:21], v[12:13], v[12:13] op_sel:[0,1]
	;; [unrolled: 1-line block ×3, first 2 shown]
	s_and_saveexec_b64 s[8:9], s[40:41]
	s_cbranch_execz .LBB207_10
; %bb.9:                                ;   in Loop: Header=BB207_3 Depth=1
	v_add_co_u32_e32 v4, vcc, v58, v28
	v_addc_co_u32_e32 v5, vcc, v55, v29, vcc
	global_load_ushort v2, v[4:5], off
	v_add_co_u32_e32 v4, vcc, v60, v28
	v_addc_co_u32_e32 v5, vcc, v57, v29, vcc
	global_load_ushort v10, v[4:5], off
	v_mov_b32_e32 v8, v3
	v_mov_b32_e32 v9, v3
	;; [unrolled: 1-line block ×13, first 2 shown]
	s_waitcnt vmcnt(1)
	v_lshlrev_b32_e32 v2, 16, v2
	v_pk_mov_b32 v[24:25], v[8:9], v[8:9] op_sel:[0,1]
	v_pk_mov_b32 v[22:23], v[6:7], v[6:7] op_sel:[0,1]
	;; [unrolled: 1-line block ×4, first 2 shown]
	s_waitcnt vmcnt(0)
	v_lshlrev_b32_e32 v10, 16, v10
.LBB207_10:                             ;   in Loop: Header=BB207_3 Depth=1
	s_or_b64 exec, exec, s[8:9]
	v_add_co_u32_e32 v4, vcc, 0xffffff02, v64
	v_addc_co_u32_e32 v5, vcc, -1, v65, vcc
	v_cmp_gt_i64_e32 vcc, s[12:13], v[4:5]
	s_and_b64 s[22:23], s[2:3], vcc
	s_and_saveexec_b64 s[8:9], s[22:23]
	s_cbranch_execz .LBB207_12
; %bb.11:                               ;   in Loop: Header=BB207_3 Depth=1
	v_add_co_u32_e32 v4, vcc, v54, v28
	v_addc_co_u32_e32 v5, vcc, v51, v29, vcc
	global_load_ushort v2, v[4:5], off
	v_add_co_u32_e32 v4, vcc, v56, v28
	v_addc_co_u32_e32 v5, vcc, v53, v29, vcc
	global_load_ushort v4, v[4:5], off
	s_waitcnt vmcnt(1)
	v_lshlrev_b32_e32 v19, 16, v2
	s_waitcnt vmcnt(0)
	v_lshlrev_b32_e32 v11, 16, v4
.LBB207_12:                             ;   in Loop: Header=BB207_3 Depth=1
	s_or_b64 exec, exec, s[8:9]
	v_add_co_u32_e32 v4, vcc, 0xffffff03, v64
	v_addc_co_u32_e32 v5, vcc, -1, v65, vcc
	v_cmp_gt_i64_e32 vcc, s[12:13], v[4:5]
	s_and_b64 s[22:23], s[2:3], vcc
	s_and_saveexec_b64 s[8:9], s[22:23]
	s_cbranch_execz .LBB207_14
; %bb.13:                               ;   in Loop: Header=BB207_3 Depth=1
	v_add_co_u32_e32 v4, vcc, v50, v28
	v_addc_co_u32_e32 v5, vcc, v47, v29, vcc
	global_load_ushort v2, v[4:5], off
	v_add_co_u32_e32 v4, vcc, v52, v28
	v_addc_co_u32_e32 v5, vcc, v49, v29, vcc
	global_load_ushort v4, v[4:5], off
	s_waitcnt vmcnt(1)
	v_lshlrev_b32_e32 v20, 16, v2
	s_waitcnt vmcnt(0)
	v_lshlrev_b32_e32 v12, 16, v4
.LBB207_14:                             ;   in Loop: Header=BB207_3 Depth=1
	;; [unrolled: 19-line block ×7, first 2 shown]
	s_or_b64 exec, exec, s[8:9]
	s_waitcnt vmcnt(0)
	ds_bpermute_b32 v4, v62, v66 offset:4
	ds_bpermute_b32 v5, v62, v66 offset:8
	ds_bpermute_b32 v2, v62, v66
	v_mul_f32_e32 v8, v10, v18
	v_pk_mul_f32 v[10:11], v[10:11], v[18:19]
	v_pk_mul_f32 v[12:13], v[12:13], v[20:21]
	v_mov_b32_e32 v10, v11
	v_mov_b32_e32 v11, v12
	s_waitcnt lgkmcnt(1)
	v_pk_mul_f32 v[4:5], v[10:11], v[4:5]
	ds_bpermute_b32 v10, v62, v66 offset:12
	ds_bpermute_b32 v11, v62, v66 offset:16
	s_waitcnt lgkmcnt(2)
	v_fma_f32 v2, v8, v2, v63
	v_pk_mul_f32 v[8:9], v[14:15], v[22:23]
	v_add_f32_e32 v2, v2, v4
	v_add_f32_e32 v2, v2, v5
	v_mov_b32_e32 v4, v13
	v_mov_b32_e32 v5, v8
	s_waitcnt lgkmcnt(0)
	v_pk_mul_f32 v[4:5], v[4:5], v[10:11]
	ds_bpermute_b32 v10, v62, v66 offset:20
	ds_bpermute_b32 v11, v62, v66 offset:24
	v_pk_mul_f32 v[6:7], v[16:17], v[24:25]
	v_add_f32_e32 v2, v2, v4
	ds_bpermute_b32 v4, v62, v66 offset:28
	v_mov_b32_e32 v8, v9
	v_mov_b32_e32 v9, v6
	v_add_f32_e32 v2, v2, v5
	s_waitcnt lgkmcnt(1)
	v_pk_mul_f32 v[6:7], v[8:9], v[10:11]
	v_add_f32_e32 v2, v2, v6
	v_add_f32_e32 v2, v2, v7
	s_branch .LBB207_40
.LBB207_25:                             ;   in Loop: Header=BB207_3 Depth=1
                                        ; implicit-def: $vgpr2
                                        ; implicit-def: $vgpr10_vgpr11_vgpr12_vgpr13_vgpr14_vgpr15_vgpr16_vgpr17
                                        ; implicit-def: $vgpr18_vgpr19_vgpr20_vgpr21_vgpr22_vgpr23_vgpr24_vgpr25
                                        ; implicit-def: $vgpr4
	s_cbranch_execz .LBB207_40
; %bb.26:                               ;   in Loop: Header=BB207_3 Depth=1
	s_load_dword s8, s[30:31], 0x0
	v_mov_b32_e32 v66, 0
	s_waitcnt lgkmcnt(0)
	s_cmp_lt_u32 s6, s8
	s_cselect_b32 s8, 12, 18
	s_add_u32 s8, s30, s8
	s_addc_u32 s9, s31, 0
	global_load_ushort v2, v3, s[8:9]
	s_waitcnt vmcnt(0)
	v_mad_u32_u24 v2, v61, v2, v59
	v_and_b32_e32 v2, 63, v2
	v_cmp_gt_u32_e32 vcc, 8, v2
	s_and_saveexec_b64 s[8:9], vcc
	s_cbranch_execz .LBB207_30
; %bb.27:                               ;   in Loop: Header=BB207_3 Depth=1
	v_add_co_u32_e32 v2, vcc, v64, v2
	v_addc_co_u32_e32 v5, vcc, 0, v65, vcc
	v_add_co_u32_e32 v4, vcc, 0xffffff01, v2
	v_addc_co_u32_e32 v5, vcc, -1, v5, vcc
	v_cmp_gt_i64_e32 vcc, s[12:13], v[4:5]
	v_mov_b32_e32 v66, 0
	s_and_saveexec_b64 s[22:23], vcc
	s_cbranch_execz .LBB207_29
; %bb.28:                               ;   in Loop: Header=BB207_3 Depth=1
	v_lshlrev_b64 v[4:5], 2, v[4:5]
	v_mov_b32_e32 v2, s11
	v_add_co_u32_e32 v4, vcc, s10, v4
	v_addc_co_u32_e32 v5, vcc, v2, v5, vcc
	global_load_dword v66, v[4:5], off
.LBB207_29:                             ;   in Loop: Header=BB207_3 Depth=1
	s_or_b64 exec, exec, s[22:23]
.LBB207_30:                             ;   in Loop: Header=BB207_3 Depth=1
	s_or_b64 exec, exec, s[8:9]
	s_mov_b32 s21, s20
	s_mov_b32 s22, s20
	;; [unrolled: 1-line block ×7, first 2 shown]
	v_pk_mov_b32 v[10:11], s[20:21], s[20:21] op_sel:[0,1]
	v_pk_mov_b32 v[16:17], s[26:27], s[26:27] op_sel:[0,1]
	;; [unrolled: 1-line block ×8, first 2 shown]
	s_and_saveexec_b64 s[8:9], s[2:3]
	s_cbranch_execnz .LBB207_42
; %bb.31:                               ;   in Loop: Header=BB207_3 Depth=1
	s_or_b64 exec, exec, s[8:9]
	s_and_saveexec_b64 s[8:9], s[2:3]
	s_cbranch_execnz .LBB207_43
.LBB207_32:                             ;   in Loop: Header=BB207_3 Depth=1
	s_or_b64 exec, exec, s[8:9]
	s_and_saveexec_b64 s[8:9], s[2:3]
	s_cbranch_execnz .LBB207_44
.LBB207_33:                             ;   in Loop: Header=BB207_3 Depth=1
	s_or_b64 exec, exec, s[8:9]
	s_and_saveexec_b64 s[8:9], s[2:3]
	s_cbranch_execnz .LBB207_45
.LBB207_34:                             ;   in Loop: Header=BB207_3 Depth=1
	s_or_b64 exec, exec, s[8:9]
	s_and_saveexec_b64 s[8:9], s[2:3]
	s_cbranch_execnz .LBB207_46
.LBB207_35:                             ;   in Loop: Header=BB207_3 Depth=1
	s_or_b64 exec, exec, s[8:9]
	s_and_saveexec_b64 s[8:9], s[2:3]
	s_cbranch_execnz .LBB207_47
.LBB207_36:                             ;   in Loop: Header=BB207_3 Depth=1
	s_or_b64 exec, exec, s[8:9]
	s_and_saveexec_b64 s[8:9], s[2:3]
	s_cbranch_execnz .LBB207_48
.LBB207_37:                             ;   in Loop: Header=BB207_3 Depth=1
	s_or_b64 exec, exec, s[8:9]
	s_and_saveexec_b64 s[8:9], s[2:3]
	s_cbranch_execz .LBB207_39
.LBB207_38:                             ;   in Loop: Header=BB207_3 Depth=1
	v_add_co_u32_e32 v4, vcc, v30, v28
	v_addc_co_u32_e32 v5, vcc, v1, v29, vcc
	global_load_ushort v2, v[4:5], off
	v_add_co_u32_e32 v4, vcc, v32, v28
	v_addc_co_u32_e32 v5, vcc, v27, v29, vcc
	global_load_ushort v4, v[4:5], off
	s_waitcnt vmcnt(1)
	v_lshlrev_b32_e32 v25, 16, v2
	s_waitcnt vmcnt(0)
	v_lshlrev_b32_e32 v17, 16, v4
.LBB207_39:                             ;   in Loop: Header=BB207_3 Depth=1
	s_or_b64 exec, exec, s[8:9]
	s_waitcnt vmcnt(0)
	ds_bpermute_b32 v4, v62, v66 offset:4
	ds_bpermute_b32 v5, v62, v66 offset:8
	ds_bpermute_b32 v2, v62, v66
	v_mul_f32_e32 v8, v10, v18
	v_pk_mul_f32 v[10:11], v[10:11], v[18:19]
	v_pk_mul_f32 v[12:13], v[12:13], v[20:21]
	v_mov_b32_e32 v10, v11
	v_mov_b32_e32 v11, v12
	s_waitcnt lgkmcnt(1)
	v_pk_mul_f32 v[4:5], v[10:11], v[4:5]
	ds_bpermute_b32 v10, v62, v66 offset:12
	ds_bpermute_b32 v11, v62, v66 offset:16
	s_waitcnt lgkmcnt(2)
	v_fmac_f32_e32 v63, v8, v2
	v_pk_mul_f32 v[8:9], v[14:15], v[22:23]
	v_add_f32_e32 v2, v63, v4
	v_add_f32_e32 v2, v2, v5
	v_mov_b32_e32 v4, v13
	v_mov_b32_e32 v5, v8
	s_waitcnt lgkmcnt(0)
	v_pk_mul_f32 v[4:5], v[4:5], v[10:11]
	ds_bpermute_b32 v10, v62, v66 offset:20
	ds_bpermute_b32 v11, v62, v66 offset:24
	v_pk_mul_f32 v[6:7], v[16:17], v[24:25]
	v_add_f32_e32 v2, v2, v4
	v_mov_b32_e32 v8, v9
	v_mov_b32_e32 v9, v6
	v_add_f32_e32 v2, v2, v5
	s_waitcnt lgkmcnt(0)
	v_pk_mul_f32 v[6:7], v[8:9], v[10:11]
	v_add_f32_e32 v2, v2, v6
	ds_bpermute_b32 v4, v62, v66 offset:28
	v_add_f32_e32 v2, v2, v7
.LBB207_40:                             ;   in Loop: Header=BB207_3 Depth=1
	v_mul_f32_e32 v5, v25, v17
	s_waitcnt lgkmcnt(0)
	v_fmac_f32_e32 v2, v5, v4
	v_mov_b32_e32 v4, s35
	v_add_co_u32_e32 v30, vcc, s34, v30
	v_addc_co_u32_e32 v1, vcc, v1, v4, vcc
	v_add_co_u32_e32 v32, vcc, s34, v32
	v_addc_co_u32_e32 v27, vcc, v27, v4, vcc
	;; [unrolled: 2-line block ×15, first 2 shown]
	s_add_u32 s38, s38, s7
	v_add_co_u32_e32 v60, vcc, s34, v60
	s_addc_u32 s39, s39, 0
	v_addc_co_u32_e32 v57, vcc, v57, v4, vcc
	v_pk_mov_b32 v[4:5], s[12:13], s[12:13] op_sel:[0,1]
	s_add_u32 s36, s36, s7
	v_cmp_lt_i64_e32 vcc, s[38:39], v[4:5]
	s_addc_u32 s37, s37, 0
	s_cbranch_vccz .LBB207_50
; %bb.41:                               ;   in Loop: Header=BB207_3 Depth=1
	v_mov_b32_e32 v63, v2
	s_branch .LBB207_3
.LBB207_42:                             ;   in Loop: Header=BB207_3 Depth=1
	v_add_co_u32_e32 v4, vcc, v58, v28
	v_addc_co_u32_e32 v5, vcc, v55, v29, vcc
	global_load_ushort v2, v[4:5], off
	v_add_co_u32_e32 v4, vcc, v60, v28
	v_addc_co_u32_e32 v5, vcc, v57, v29, vcc
	global_load_ushort v10, v[4:5], off
	v_mov_b32_e32 v8, v3
	v_mov_b32_e32 v9, v3
	;; [unrolled: 1-line block ×13, first 2 shown]
	s_waitcnt vmcnt(1)
	v_lshlrev_b32_e32 v2, 16, v2
	v_pk_mov_b32 v[24:25], v[8:9], v[8:9] op_sel:[0,1]
	v_pk_mov_b32 v[22:23], v[6:7], v[6:7] op_sel:[0,1]
	;; [unrolled: 1-line block ×4, first 2 shown]
	s_waitcnt vmcnt(0)
	v_lshlrev_b32_e32 v10, 16, v10
	s_or_b64 exec, exec, s[8:9]
	s_and_saveexec_b64 s[8:9], s[2:3]
	s_cbranch_execz .LBB207_32
.LBB207_43:                             ;   in Loop: Header=BB207_3 Depth=1
	v_add_co_u32_e32 v4, vcc, v54, v28
	v_addc_co_u32_e32 v5, vcc, v51, v29, vcc
	global_load_ushort v2, v[4:5], off
	v_add_co_u32_e32 v4, vcc, v56, v28
	v_addc_co_u32_e32 v5, vcc, v53, v29, vcc
	global_load_ushort v4, v[4:5], off
	s_waitcnt vmcnt(1)
	v_lshlrev_b32_e32 v19, 16, v2
	s_waitcnt vmcnt(0)
	v_lshlrev_b32_e32 v11, 16, v4
	s_or_b64 exec, exec, s[8:9]
	s_and_saveexec_b64 s[8:9], s[2:3]
	s_cbranch_execz .LBB207_33
.LBB207_44:                             ;   in Loop: Header=BB207_3 Depth=1
	v_add_co_u32_e32 v4, vcc, v50, v28
	v_addc_co_u32_e32 v5, vcc, v47, v29, vcc
	global_load_ushort v2, v[4:5], off
	v_add_co_u32_e32 v4, vcc, v52, v28
	v_addc_co_u32_e32 v5, vcc, v49, v29, vcc
	global_load_ushort v4, v[4:5], off
	s_waitcnt vmcnt(1)
	v_lshlrev_b32_e32 v20, 16, v2
	s_waitcnt vmcnt(0)
	v_lshlrev_b32_e32 v12, 16, v4
	s_or_b64 exec, exec, s[8:9]
	s_and_saveexec_b64 s[8:9], s[2:3]
	s_cbranch_execz .LBB207_34
.LBB207_45:                             ;   in Loop: Header=BB207_3 Depth=1
	v_add_co_u32_e32 v4, vcc, v46, v28
	v_addc_co_u32_e32 v5, vcc, v43, v29, vcc
	global_load_ushort v2, v[4:5], off
	v_add_co_u32_e32 v4, vcc, v48, v28
	v_addc_co_u32_e32 v5, vcc, v45, v29, vcc
	global_load_ushort v4, v[4:5], off
	s_waitcnt vmcnt(1)
	v_lshlrev_b32_e32 v21, 16, v2
	s_waitcnt vmcnt(0)
	v_lshlrev_b32_e32 v13, 16, v4
	s_or_b64 exec, exec, s[8:9]
	s_and_saveexec_b64 s[8:9], s[2:3]
	s_cbranch_execz .LBB207_35
.LBB207_46:                             ;   in Loop: Header=BB207_3 Depth=1
	v_add_co_u32_e32 v4, vcc, v42, v28
	v_addc_co_u32_e32 v5, vcc, v39, v29, vcc
	global_load_ushort v2, v[4:5], off
	v_add_co_u32_e32 v4, vcc, v44, v28
	v_addc_co_u32_e32 v5, vcc, v41, v29, vcc
	global_load_ushort v4, v[4:5], off
	s_waitcnt vmcnt(1)
	v_lshlrev_b32_e32 v22, 16, v2
	s_waitcnt vmcnt(0)
	v_lshlrev_b32_e32 v14, 16, v4
	s_or_b64 exec, exec, s[8:9]
	s_and_saveexec_b64 s[8:9], s[2:3]
	s_cbranch_execz .LBB207_36
.LBB207_47:                             ;   in Loop: Header=BB207_3 Depth=1
	v_add_co_u32_e32 v4, vcc, v38, v28
	v_addc_co_u32_e32 v5, vcc, v35, v29, vcc
	global_load_ushort v2, v[4:5], off
	v_add_co_u32_e32 v4, vcc, v40, v28
	v_addc_co_u32_e32 v5, vcc, v37, v29, vcc
	global_load_ushort v4, v[4:5], off
	s_waitcnt vmcnt(1)
	v_lshlrev_b32_e32 v23, 16, v2
	s_waitcnt vmcnt(0)
	v_lshlrev_b32_e32 v15, 16, v4
	s_or_b64 exec, exec, s[8:9]
	s_and_saveexec_b64 s[8:9], s[2:3]
	s_cbranch_execz .LBB207_37
.LBB207_48:                             ;   in Loop: Header=BB207_3 Depth=1
	v_add_co_u32_e32 v4, vcc, v34, v28
	v_addc_co_u32_e32 v5, vcc, v31, v29, vcc
	global_load_ushort v2, v[4:5], off
	v_add_co_u32_e32 v4, vcc, v36, v28
	v_addc_co_u32_e32 v5, vcc, v33, v29, vcc
	global_load_ushort v4, v[4:5], off
	s_waitcnt vmcnt(1)
	v_lshlrev_b32_e32 v24, 16, v2
	s_waitcnt vmcnt(0)
	v_lshlrev_b32_e32 v16, 16, v4
	s_or_b64 exec, exec, s[8:9]
	s_and_saveexec_b64 s[8:9], s[2:3]
	s_cbranch_execnz .LBB207_38
	s_branch .LBB207_39
.LBB207_49:
                                        ; implicit-def: $vgpr2
	s_branch .LBB207_51
.LBB207_50:
	s_cbranch_execnz .LBB207_83
.LBB207_51:
	s_and_b64 vcc, exec, s[0:1]
	v_mov_b32_e32 v2, 0
	s_cbranch_vccnz .LBB207_83
; %bb.52:
	s_load_dword s0, s[4:5], 0x44
	s_add_u32 s2, s4, 64
	s_addc_u32 s3, s5, 0
	v_bfe_u32 v85, v0, 10, 10
	v_lshlrev_b32_e32 v1, 4, v85
	s_waitcnt lgkmcnt(0)
	s_lshl_b32 s7, s0, 8
	s_add_u32 s8, s28, 0xff
	s_addc_u32 s9, 0, 0
	s_lshl_b64 s[0:1], s[28:29], 1
	v_mov_b32_e32 v2, s1
	v_add_co_u32_e32 v1, vcc, s0, v1
	v_addc_co_u32_e32 v4, vcc, 0, v2, vcc
	v_add_co_u32_e32 v6, vcc, 2, v1
	v_addc_co_u32_e32 v5, vcc, 0, v4, vcc
	v_add_co_u32_e32 v9, vcc, 4, v1
	v_mul_lo_u32 v7, s14, v5
	v_addc_co_u32_e32 v5, vcc, 0, v4, vcc
	v_add_co_u32_e32 v12, vcc, 6, v1
	v_mul_lo_u32 v10, s14, v5
	;; [unrolled: 3-line block ×5, first 2 shown]
	v_addc_co_u32_e32 v5, vcc, 0, v4, vcc
	v_add_co_u32_e32 v24, vcc, 14, v1
	v_lshlrev_b32_e32 v26, 3, v85
	v_addc_co_u32_e32 v1, vcc, 0, v4, vcc
	v_mul_lo_u32 v25, s14, v1
	v_mov_b32_e32 v1, s29
	v_add_co_u32_e32 v43, vcc, s28, v26
	v_pk_mov_b32 v[2:3], s[16:17], s[16:17] op_sel:[0,1]
	v_addc_co_u32_e32 v59, vcc, 0, v1, vcc
	v_mad_u64_u32 v[28:29], s[0:1], s14, v6, v[2:3]
	v_mad_u64_u32 v[30:31], s[0:1], s14, v9, v[2:3]
	;; [unrolled: 1-line block ×7, first 2 shown]
	v_mul_lo_u32 v60, s15, v43
	v_mul_lo_u32 v61, s14, v59
	v_mad_u64_u32 v[2:3], s[0:1], s14, v43, 0
	v_add3_u32 v3, v3, v61, v60
	v_lshlrev_b64 v[2:3], 1, v[2:3]
	v_mul_lo_u32 v22, s14, v5
	v_mov_b32_e32 v81, s17
	v_add_co_u32_e32 v42, vcc, s16, v2
	v_pk_mov_b32 v[4:5], s[18:19], s[18:19] op_sel:[0,1]
	v_mul_lo_u32 v17, s15, v15
	v_addc_co_u32_e32 v1, vcc, v81, v3, vcc
	v_mad_u64_u32 v[50:51], s[0:1], s14, v15, v[4:5]
	v_add3_u32 v35, v17, v35, v16
	v_mul_lo_u32 v27, s15, v24
	v_add3_u32 v51, v17, v51, v16
	v_mad_u64_u32 v[56:57], s[0:1], s14, v24, v[4:5]
	v_mov_b32_e32 v16, s19
	v_add_co_u32_e32 v58, vcc, s18, v2
	v_add3_u32 v41, v27, v41, v25
	v_add3_u32 v57, v27, v57, v25
	v_addc_co_u32_e32 v27, vcc, v16, v3, vcc
	v_add_co_u32_e32 v2, vcc, 7, v43
	v_addc_co_u32_e32 v3, vcc, 0, v59, vcc
	v_mad_u64_u32 v[44:45], s[0:1], s14, v6, v[4:5]
	v_mad_u64_u32 v[46:47], s[0:1], s14, v9, v[4:5]
	;; [unrolled: 1-line block ×5, first 2 shown]
	v_mul_lo_u32 v4, s15, v2
	v_mul_lo_u32 v5, s14, v3
	v_mad_u64_u32 v[2:3], s[0:1], s14, v2, 0
	v_add3_u32 v3, v3, v5, v4
	v_add_co_u32_e32 v4, vcc, 6, v43
	v_mul_lo_u32 v8, s15, v6
	v_addc_co_u32_e32 v5, vcc, 0, v59, vcc
	v_add3_u32 v29, v8, v29, v7
	v_add3_u32 v45, v8, v45, v7
	v_mul_lo_u32 v6, s15, v4
	v_mul_lo_u32 v7, s14, v5
	v_mad_u64_u32 v[4:5], s[0:1], s14, v4, 0
	v_add3_u32 v5, v5, v7, v6
	v_add_co_u32_e32 v6, vcc, 5, v43
	v_addc_co_u32_e32 v7, vcc, 0, v59, vcc
	v_mul_lo_u32 v11, s15, v9
	v_mul_lo_u32 v8, s15, v6
	;; [unrolled: 1-line block ×3, first 2 shown]
	v_mad_u64_u32 v[6:7], s[0:1], s14, v6, 0
	v_add3_u32 v7, v7, v9, v8
	v_add_co_u32_e32 v8, vcc, 4, v43
	v_addc_co_u32_e32 v9, vcc, 0, v59, vcc
	v_add3_u32 v31, v11, v31, v10
	v_add3_u32 v47, v11, v47, v10
	v_mul_lo_u32 v10, s15, v8
	v_mul_lo_u32 v11, s14, v9
	v_mad_u64_u32 v[8:9], s[0:1], s14, v8, 0
	v_add3_u32 v9, v9, v11, v10
	v_add_co_u32_e32 v10, vcc, 3, v43
	v_mul_lo_u32 v14, s15, v12
	v_addc_co_u32_e32 v11, vcc, 0, v59, vcc
	v_add3_u32 v33, v14, v33, v13
	v_add3_u32 v49, v14, v49, v13
	v_mul_lo_u32 v12, s15, v10
	v_mul_lo_u32 v13, s14, v11
	v_mad_u64_u32 v[10:11], s[0:1], s14, v10, 0
	v_add3_u32 v11, v11, v13, v12
	v_add_co_u32_e32 v12, vcc, 2, v43
	v_addc_co_u32_e32 v13, vcc, 0, v59, vcc
	v_mul_lo_u32 v14, s15, v12
	v_mul_lo_u32 v15, s14, v13
	v_mad_u64_u32 v[12:13], s[0:1], s14, v12, 0
	v_add3_u32 v13, v13, v15, v14
	v_pk_mov_b32 v[14:15], s[14:15], s[14:15] op_sel:[0,1]
	v_lshlrev_b64 v[2:3], 1, v[2:3]
	v_mad_u64_u32 v[14:15], s[0:1], s14, v43, v[14:15]
	v_add3_u32 v15, v60, v15, v61
	v_add_co_u32_e32 v60, vcc, s16, v2
	v_addc_co_u32_e32 v43, vcc, v81, v3, vcc
	v_add_co_u32_e32 v62, vcc, s18, v2
	v_addc_co_u32_e32 v59, vcc, v16, v3, vcc
	v_lshlrev_b64 v[2:3], 1, v[4:5]
	v_add_co_u32_e32 v64, vcc, s16, v2
	v_addc_co_u32_e32 v61, vcc, v81, v3, vcc
	v_add_co_u32_e32 v66, vcc, s18, v2
	v_addc_co_u32_e32 v63, vcc, v16, v3, vcc
	v_lshlrev_b64 v[2:3], 1, v[6:7]
	;; [unrolled: 5-line block ×6, first 2 shown]
	v_add_co_u32_e32 v84, vcc, s16, v2
	v_addc_co_u32_e32 v81, vcc, v81, v3, vcc
	v_mbcnt_lo_u32_b32 v4, -1, 0
	v_add_co_u32_e32 v86, vcc, s18, v2
	v_and_b32_e32 v87, 0x3ff, v0
	s_mul_i32 s0, s15, s7
	s_mul_hi_u32 s1, s14, s7
	v_mbcnt_hi_u32_b32 v4, -1, v4
	v_mul_lo_u32 v20, s15, v18
	v_mul_lo_u32 v23, s15, v21
	v_addc_co_u32_e32 v83, vcc, v16, v3, vcc
	v_add_u32_e32 v2, s33, v87
	v_mov_b32_e32 v3, 0
	s_add_i32 s1, s1, s0
	s_mul_i32 s0, s14, s7
	v_lshlrev_b32_e32 v4, 2, v4
	v_add3_u32 v37, v20, v37, v19
	v_add3_u32 v39, v23, v39, v22
	;; [unrolled: 1-line block ×4, first 2 shown]
	s_mov_b32 s16, 0
	s_lshl_b64 s[24:25], s[0:1], 1
	v_and_b32_e32 v90, 0x100, v4
	v_mov_b32_e32 v91, 0
	v_lshlrev_b64 v[88:89], 1, v[2:3]
.LBB207_53:                             ; =>This Inner Loop Header: Depth=1
	v_pk_mov_b32 v[4:5], s[12:13], s[12:13] op_sel:[0,1]
	v_cmp_ge_i64_e32 vcc, s[8:9], v[4:5]
	v_mov_b32_e32 v2, s9
	v_add_co_u32_e64 v92, s[0:1], s8, v26
	v_addc_co_u32_e64 v93, s[0:1], 0, v2, s[0:1]
	s_cbranch_vccz .LBB207_75
; %bb.54:                               ;   in Loop: Header=BB207_53 Depth=1
	s_load_dword s0, s[2:3], 0xc
	v_mov_b32_e32 v94, 0
	s_waitcnt lgkmcnt(0)
	s_and_b32 s0, s0, 0xffff
	v_mad_u32_u24 v2, v85, s0, v87
	v_and_b32_e32 v2, 63, v2
	v_cmp_gt_u32_e32 vcc, 8, v2
	s_and_saveexec_b64 s[0:1], vcc
	s_cbranch_execz .LBB207_58
; %bb.55:                               ;   in Loop: Header=BB207_53 Depth=1
	v_add_co_u32_e32 v2, vcc, v92, v2
	v_addc_co_u32_e32 v5, vcc, 0, v93, vcc
	v_add_co_u32_e32 v4, vcc, 0xffffff01, v2
	v_addc_co_u32_e32 v5, vcc, -1, v5, vcc
	v_cmp_gt_i64_e32 vcc, s[12:13], v[4:5]
	v_mov_b32_e32 v94, 0
	s_and_saveexec_b64 s[18:19], vcc
	s_cbranch_execz .LBB207_57
; %bb.56:                               ;   in Loop: Header=BB207_53 Depth=1
	v_lshlrev_b64 v[4:5], 2, v[4:5]
	v_mov_b32_e32 v2, s11
	v_add_co_u32_e32 v4, vcc, s10, v4
	v_addc_co_u32_e32 v5, vcc, v2, v5, vcc
	global_load_dword v94, v[4:5], off
.LBB207_57:                             ;   in Loop: Header=BB207_53 Depth=1
	s_or_b64 exec, exec, s[18:19]
.LBB207_58:                             ;   in Loop: Header=BB207_53 Depth=1
	s_or_b64 exec, exec, s[0:1]
	s_mov_b32 s17, s16
	s_mov_b32 s18, s16
	;; [unrolled: 1-line block ×7, first 2 shown]
	v_pk_mov_b32 v[10:11], s[16:17], s[16:17] op_sel:[0,1]
	v_add_co_u32_e32 v4, vcc, 0xffffff01, v92
	v_pk_mov_b32 v[16:17], s[22:23], s[22:23] op_sel:[0,1]
	v_addc_co_u32_e32 v5, vcc, -1, v93, vcc
	v_pk_mov_b32 v[12:13], s[18:19], s[18:19] op_sel:[0,1]
	v_pk_mov_b32 v[14:15], s[20:21], s[20:21] op_sel:[0,1]
	;; [unrolled: 1-line block ×3, first 2 shown]
	v_cmp_gt_i64_e32 vcc, s[12:13], v[4:5]
	v_pk_mov_b32 v[22:23], v[14:15], v[14:15] op_sel:[0,1]
	v_pk_mov_b32 v[20:21], v[12:13], v[12:13] op_sel:[0,1]
	;; [unrolled: 1-line block ×3, first 2 shown]
	s_and_saveexec_b64 s[0:1], vcc
	s_cbranch_execz .LBB207_60
; %bb.59:                               ;   in Loop: Header=BB207_53 Depth=1
	v_add_co_u32_e32 v4, vcc, v42, v88
	v_addc_co_u32_e32 v5, vcc, v1, v89, vcc
	global_load_ushort v2, v[4:5], off
	v_add_co_u32_e32 v4, vcc, v58, v88
	v_addc_co_u32_e32 v5, vcc, v27, v89, vcc
	global_load_ushort v10, v[4:5], off
	v_mov_b32_e32 v8, v3
	v_mov_b32_e32 v9, v3
	;; [unrolled: 1-line block ×13, first 2 shown]
	s_waitcnt vmcnt(1)
	v_lshlrev_b32_e32 v2, 16, v2
	v_pk_mov_b32 v[24:25], v[8:9], v[8:9] op_sel:[0,1]
	v_pk_mov_b32 v[22:23], v[6:7], v[6:7] op_sel:[0,1]
	;; [unrolled: 1-line block ×4, first 2 shown]
	s_waitcnt vmcnt(0)
	v_lshlrev_b32_e32 v10, 16, v10
.LBB207_60:                             ;   in Loop: Header=BB207_53 Depth=1
	s_or_b64 exec, exec, s[0:1]
	v_add_co_u32_e32 v4, vcc, 0xffffff02, v92
	v_addc_co_u32_e32 v5, vcc, -1, v93, vcc
	v_cmp_gt_i64_e32 vcc, s[12:13], v[4:5]
	s_and_saveexec_b64 s[0:1], vcc
	s_cbranch_execz .LBB207_62
; %bb.61:                               ;   in Loop: Header=BB207_53 Depth=1
	v_add_co_u32_e32 v4, vcc, v84, v88
	v_addc_co_u32_e32 v5, vcc, v81, v89, vcc
	global_load_ushort v2, v[4:5], off
	v_add_co_u32_e32 v4, vcc, v86, v88
	v_addc_co_u32_e32 v5, vcc, v83, v89, vcc
	global_load_ushort v4, v[4:5], off
	s_waitcnt vmcnt(1)
	v_lshlrev_b32_e32 v19, 16, v2
	s_waitcnt vmcnt(0)
	v_lshlrev_b32_e32 v11, 16, v4
.LBB207_62:                             ;   in Loop: Header=BB207_53 Depth=1
	s_or_b64 exec, exec, s[0:1]
	v_add_co_u32_e32 v4, vcc, 0xffffff03, v92
	v_addc_co_u32_e32 v5, vcc, -1, v93, vcc
	v_cmp_gt_i64_e32 vcc, s[12:13], v[4:5]
	s_and_saveexec_b64 s[0:1], vcc
	s_cbranch_execz .LBB207_64
; %bb.63:                               ;   in Loop: Header=BB207_53 Depth=1
	v_add_co_u32_e32 v4, vcc, v80, v88
	v_addc_co_u32_e32 v5, vcc, v77, v89, vcc
	global_load_ushort v2, v[4:5], off
	v_add_co_u32_e32 v4, vcc, v82, v88
	v_addc_co_u32_e32 v5, vcc, v79, v89, vcc
	global_load_ushort v4, v[4:5], off
	s_waitcnt vmcnt(1)
	v_lshlrev_b32_e32 v20, 16, v2
	s_waitcnt vmcnt(0)
	v_lshlrev_b32_e32 v12, 16, v4
.LBB207_64:                             ;   in Loop: Header=BB207_53 Depth=1
	;; [unrolled: 18-line block ×7, first 2 shown]
	s_or_b64 exec, exec, s[0:1]
	s_waitcnt vmcnt(0)
	ds_bpermute_b32 v4, v90, v94
	ds_bpermute_b32 v5, v90, v94 offset:4
	v_pk_mul_f32 v[8:9], v[14:15], v[22:23]
	ds_bpermute_b32 v14, v90, v94 offset:8
	ds_bpermute_b32 v15, v90, v94 offset:12
	v_pk_mul_f32 v[10:11], v[10:11], v[18:19]
	s_waitcnt lgkmcnt(2)
	v_pk_mul_f32 v[4:5], v[10:11], v[4:5]
	ds_bpermute_b32 v10, v90, v94 offset:16
	ds_bpermute_b32 v11, v90, v94 offset:20
	v_pk_mul_f32 v[12:13], v[12:13], v[20:21]
	v_add_f32_e32 v2, v91, v4
	v_add_f32_e32 v2, v2, v5
	s_waitcnt lgkmcnt(2)
	v_pk_mul_f32 v[4:5], v[12:13], v[14:15]
	ds_bpermute_b32 v12, v90, v94 offset:24
	ds_bpermute_b32 v13, v90, v94 offset:28
	v_add_f32_e32 v2, v2, v4
	v_add_f32_e32 v2, v2, v5
	s_waitcnt lgkmcnt(2)
	v_pk_mul_f32 v[4:5], v[8:9], v[10:11]
	v_pk_mul_f32 v[6:7], v[16:17], v[24:25]
	v_add_f32_e32 v2, v2, v4
	v_add_f32_e32 v2, v2, v5
	s_waitcnt lgkmcnt(0)
	v_pk_mul_f32 v[4:5], v[6:7], v[12:13]
	v_add_f32_e32 v2, v2, v4
	v_add_f32_e32 v2, v2, v5
	s_branch .LBB207_81
.LBB207_75:                             ;   in Loop: Header=BB207_53 Depth=1
                                        ; implicit-def: $vgpr2
	s_cbranch_execz .LBB207_81
; %bb.76:                               ;   in Loop: Header=BB207_53 Depth=1
	s_load_dword s0, s[2:3], 0x0
	s_waitcnt lgkmcnt(0)
	s_cmp_lt_u32 s6, s0
	s_cselect_b32 s0, 12, 18
	s_add_u32 s0, s2, s0
	s_addc_u32 s1, s3, 0
	global_load_ushort v2, v3, s[0:1]
	s_waitcnt vmcnt(0)
	v_mad_u32_u24 v2, v85, v2, v87
	v_and_b32_e32 v4, 63, v2
	v_cmp_gt_u32_e32 vcc, 8, v4
	v_mov_b32_e32 v2, 0
	s_and_saveexec_b64 s[0:1], vcc
	s_cbranch_execz .LBB207_80
; %bb.77:                               ;   in Loop: Header=BB207_53 Depth=1
	v_add_co_u32_e32 v2, vcc, v92, v4
	v_addc_co_u32_e32 v5, vcc, 0, v93, vcc
	v_add_co_u32_e32 v4, vcc, 0xffffff01, v2
	v_addc_co_u32_e32 v5, vcc, -1, v5, vcc
	v_cmp_gt_i64_e32 vcc, s[12:13], v[4:5]
	v_mov_b32_e32 v2, 0
	s_and_saveexec_b64 s[18:19], vcc
	s_cbranch_execz .LBB207_79
; %bb.78:                               ;   in Loop: Header=BB207_53 Depth=1
	v_lshlrev_b64 v[4:5], 2, v[4:5]
	v_mov_b32_e32 v2, s11
	v_add_co_u32_e32 v4, vcc, s10, v4
	v_addc_co_u32_e32 v5, vcc, v2, v5, vcc
	global_load_dword v2, v[4:5], off
.LBB207_79:                             ;   in Loop: Header=BB207_53 Depth=1
	s_or_b64 exec, exec, s[18:19]
.LBB207_80:                             ;   in Loop: Header=BB207_53 Depth=1
	s_or_b64 exec, exec, s[0:1]
	v_add_co_u32_e32 v4, vcc, v42, v88
	v_addc_co_u32_e32 v5, vcc, v1, v89, vcc
	v_add_co_u32_e32 v6, vcc, v58, v88
	v_addc_co_u32_e32 v7, vcc, v27, v89, vcc
	;; [unrolled: 2-line block ×6, first 2 shown]
	global_load_ushort v92, v[4:5], off
	global_load_ushort v93, v[8:9], off
	;; [unrolled: 1-line block ×4, first 2 shown]
	v_add_co_u32_e32 v16, vcc, v32, v88
	v_addc_co_u32_e32 v17, vcc, v33, v89, vcc
	v_add_co_u32_e32 v18, vcc, v48, v88
	v_addc_co_u32_e32 v19, vcc, v49, v89, vcc
	;; [unrolled: 2-line block ×3, first 2 shown]
	v_add_co_u32_e32 v22, vcc, v50, v88
	global_load_ushort v16, v[16:17], off
	s_nop 0
	global_load_ushort v12, v[12:13], off
	s_nop 0
	;; [unrolled: 2-line block ×3, first 2 shown]
	global_load_ushort v14, v[14:15], off
	v_addc_co_u32_e32 v23, vcc, v51, v89, vcc
	v_add_co_u32_e32 v24, vcc, v36, v88
	v_addc_co_u32_e32 v25, vcc, v37, v89, vcc
	v_add_co_u32_e32 v4, vcc, v52, v88
	;; [unrolled: 2-line block ×3, first 2 shown]
	v_addc_co_u32_e32 v7, vcc, v39, v89, vcc
	global_load_ushort v15, v[20:21], off
	global_load_ushort v17, v[24:25], off
	;; [unrolled: 1-line block ×4, first 2 shown]
	v_add_co_u32_e32 v8, vcc, v54, v88
	v_addc_co_u32_e32 v9, vcc, v55, v89, vcc
	v_add_co_u32_e32 v4, vcc, v40, v88
	v_addc_co_u32_e32 v5, vcc, v41, v89, vcc
	;; [unrolled: 2-line block ×3, first 2 shown]
	global_load_ushort v20, v[4:5], off
	global_load_ushort v21, v[6:7], off
	s_nop 0
	global_load_ushort v10, v[10:11], off
	s_nop 0
	global_load_ushort v11, v[8:9], off
	s_waitcnt vmcnt(16)
	ds_bpermute_b32 v4, v90, v2
	ds_bpermute_b32 v5, v90, v2 offset:4
	s_waitcnt vmcnt(15)
	v_lshlrev_b32_e32 v6, 16, v92
	s_waitcnt vmcnt(14)
	v_lshlrev_b32_e32 v7, 16, v93
	s_waitcnt vmcnt(13)
	v_lshlrev_b32_e32 v8, 16, v94
	s_waitcnt vmcnt(12)
	v_lshlrev_b32_e32 v9, 16, v95
	v_pk_mul_f32 v[6:7], v[6:7], v[8:9]
	s_waitcnt lgkmcnt(0)
	v_pk_mul_f32 v[4:5], v[6:7], v[4:5]
	v_add_f32_e32 v4, v91, v4
	v_add_f32_e32 v22, v4, v5
	ds_bpermute_b32 v4, v90, v2 offset:8
	ds_bpermute_b32 v5, v90, v2 offset:12
	s_waitcnt vmcnt(11)
	v_lshlrev_b32_e32 v7, 16, v16
	s_waitcnt vmcnt(10)
	v_lshlrev_b32_e32 v6, 16, v12
	s_waitcnt vmcnt(9)
	v_lshlrev_b32_e32 v9, 16, v13
	s_waitcnt vmcnt(8)
	v_lshlrev_b32_e32 v8, 16, v14
	v_pk_mul_f32 v[6:7], v[6:7], v[8:9]
	s_waitcnt lgkmcnt(0)
	v_pk_mul_f32 v[4:5], v[6:7], v[4:5]
	v_add_f32_e32 v4, v22, v4
	v_add_f32_e32 v12, v4, v5
	ds_bpermute_b32 v4, v90, v2 offset:16
	;; [unrolled: 15-line block ×3, first 2 shown]
	ds_bpermute_b32 v5, v90, v2 offset:28
	s_waitcnt vmcnt(3)
	v_lshlrev_b32_e32 v7, 16, v20
	s_waitcnt vmcnt(2)
	v_lshlrev_b32_e32 v6, 16, v21
	;; [unrolled: 2-line block ×4, first 2 shown]
	v_pk_mul_f32 v[6:7], v[6:7], v[8:9]
	s_waitcnt lgkmcnt(0)
	v_pk_mul_f32 v[4:5], v[6:7], v[4:5]
	v_add_f32_e32 v2, v12, v4
	v_add_f32_e32 v2, v2, v5
.LBB207_81:                             ;   in Loop: Header=BB207_53 Depth=1
	s_add_u32 s28, s28, s7
	s_addc_u32 s29, s29, 0
	v_pk_mov_b32 v[4:5], s[12:13], s[12:13] op_sel:[0,1]
	v_cmp_ge_i64_e32 vcc, s[28:29], v[4:5]
	v_mov_b32_e32 v4, s25
	v_add_co_u32_e64 v28, s[0:1], s24, v28
	v_addc_co_u32_e64 v29, s[0:1], v29, v4, s[0:1]
	v_add_co_u32_e64 v30, s[0:1], s24, v30
	v_addc_co_u32_e64 v31, s[0:1], v31, v4, s[0:1]
	;; [unrolled: 2-line block ×29, first 2 shown]
	v_add_co_u32_e64 v86, s[0:1], s24, v86
	s_add_u32 s8, s8, s7
	v_addc_co_u32_e64 v83, s[0:1], v83, v4, s[0:1]
	s_addc_u32 s9, s9, 0
	s_cbranch_vccnz .LBB207_83
; %bb.82:                               ;   in Loop: Header=BB207_53 Depth=1
	v_mov_b32_e32 v91, v2
	s_branch .LBB207_53
.LBB207_83:
	v_and_b32_e32 v3, 0x3ff, v0
	v_bfe_u32 v0, v0, 10, 10
	v_mad_u32_u24 v4, v0, 33, v3
	v_lshl_add_u32 v5, v4, 2, 0
	ds_write_b32 v5, v2
	v_sub_u32_e32 v2, v4, v0
	s_movk_i32 s0, 0x800
	s_mov_b32 s7, 0
	v_mov_b32_e32 v1, 0
	v_cmp_gt_u32_e32 vcc, s0, v2
	ds_write_b32 v5, v1 offset:4224
	s_waitcnt lgkmcnt(0)
	s_barrier
	s_and_saveexec_b64 s[0:1], vcc
	s_cbranch_execz .LBB207_90
; %bb.84:
	v_mbcnt_lo_u32_b32 v4, -1, 0
	v_mbcnt_hi_u32_b32 v8, -1, v4
	v_and_b32_e32 v4, 64, v8
	v_add_u32_e32 v9, 64, v4
	v_cmp_ne_u32_e64 s[0:1], 0, v3
	v_xor_b32_e32 v3, 16, v8
	v_cmp_lt_i32_e64 s[2:3], v3, v9
	v_cndmask_b32_e64 v3, v8, v3, s[2:3]
	v_lshlrev_b32_e32 v4, 2, v3
	v_xor_b32_e32 v3, 8, v8
	v_cmp_lt_i32_e64 s[2:3], v3, v9
	v_cndmask_b32_e64 v3, v8, v3, s[2:3]
	v_lshlrev_b32_e32 v5, 2, v3
	v_xor_b32_e32 v3, 4, v8
	v_cmp_lt_i32_e64 s[2:3], v3, v9
	s_load_dwordx2 s[12:13], s[4:5], 0x30
	v_cndmask_b32_e64 v3, v8, v3, s[2:3]
	v_lshlrev_b32_e32 v6, 2, v3
	v_xor_b32_e32 v3, 2, v8
	v_cmp_lt_i32_e64 s[2:3], v3, v9
	v_cndmask_b32_e64 v3, v8, v3, s[2:3]
	s_lshl_b64 s[4:5], s[6:7], 5
	v_lshlrev_b32_e32 v7, 2, v3
	v_xor_b32_e32 v3, 1, v8
	s_waitcnt lgkmcnt(0)
	s_cmp_eq_u64 s[12:13], 0
	v_cmp_lt_i32_e64 s[2:3], v3, v9
	v_lshrrev_b32_e32 v0, 6, v2
	v_and_b32_e32 v2, 63, v2
	s_cselect_b64 s[10:11], -1, 0
	v_cndmask_b32_e64 v3, v8, v3, s[2:3]
	s_lshl_b64 s[2:3], s[6:7], 6
	v_cmp_gt_u32_e32 vcc, 32, v2
	v_mul_u32_u24_e32 v2, 0x84, v2
	v_lshlrev_b32_e32 v8, 2, v3
	v_lshlrev_b32_e32 v3, 2, v0
	s_add_u32 s2, s12, s2
	v_add3_u32 v9, v2, v3, 0
	v_lshlrev_b32_e32 v2, 1, v0
	s_addc_u32 s3, s13, s3
	v_mov_b32_e32 v3, s3
	v_add_co_u32_e64 v2, s[2:3], s2, v2
	s_mov_b64 s[8:9], 0
	v_addc_co_u32_e64 v3, s[2:3], 0, v3, s[2:3]
	v_mov_b32_e32 v10, s5
	s_movk_i32 s5, 0x7fff
	v_mov_b32_e32 v11, 0x7fc0
                                        ; implicit-def: $vgpr12
	s_branch .LBB207_86
.LBB207_85:                             ;   in Loop: Header=BB207_86 Depth=1
	s_or_b64 exec, exec, s[6:7]
	v_add_co_u32_e64 v0, s[2:3], 16, v0
	v_addc_co_u32_e64 v1, s[2:3], 0, v1, s[2:3]
	v_add_u32_e32 v13, -16, v0
	v_cmp_lt_u32_e64 s[2:3], 15, v13
	s_or_b64 s[8:9], s[2:3], s[8:9]
	v_add_co_u32_e64 v2, s[2:3], 32, v2
	v_add_u32_e32 v9, 64, v9
	v_addc_co_u32_e64 v3, s[2:3], 0, v3, s[2:3]
	s_andn2_b64 exec, exec, s[8:9]
	s_cbranch_execz .LBB207_90
.LBB207_86:                             ; =>This Inner Loop Header: Depth=1
	s_and_saveexec_b64 s[2:3], vcc
	s_cbranch_execz .LBB207_88
; %bb.87:                               ;   in Loop: Header=BB207_86 Depth=1
	ds_read_b32 v12, v9
.LBB207_88:                             ;   in Loop: Header=BB207_86 Depth=1
	s_or_b64 exec, exec, s[2:3]
	s_waitcnt lgkmcnt(0)
	ds_bpermute_b32 v13, v4, v12
	s_waitcnt lgkmcnt(0)
	v_add_f32_e32 v12, v12, v13
	ds_bpermute_b32 v13, v5, v12
	s_waitcnt lgkmcnt(0)
	v_add_f32_e32 v12, v12, v13
	;; [unrolled: 3-line block ×4, first 2 shown]
	ds_bpermute_b32 v15, v8, v14
	v_add_co_u32_e64 v12, s[2:3], s4, v0
	v_addc_co_u32_e64 v13, s[2:3], v10, v1, s[2:3]
	v_cmp_le_i64_e64 s[2:3], s[14:15], v[12:13]
	s_or_b64 s[2:3], s[0:1], s[2:3]
	s_or_b64 s[2:3], s[10:11], s[2:3]
	s_waitcnt lgkmcnt(0)
	v_add_f32_e32 v12, v14, v15
	s_xor_b64 s[2:3], s[2:3], -1
	s_and_saveexec_b64 s[6:7], s[2:3]
	s_cbranch_execz .LBB207_85
; %bb.89:                               ;   in Loop: Header=BB207_86 Depth=1
	v_bfe_u32 v13, v12, 16, 1
	v_add3_u32 v13, v12, v13, s5
	v_lshrrev_b32_e32 v13, 16, v13
	v_cmp_o_f32_e64 s[2:3], v12, v12
	v_cndmask_b32_e64 v13, v11, v13, s[2:3]
	global_store_short v[2:3], v13, off
	s_branch .LBB207_85
.LBB207_90:
	s_endpgm
	.section	.rodata,"a",@progbits
	.p2align	6, 0x0
	.amdhsa_kernel _ZN2at6native12_GLOBAL__N_135GammaBetaBackwardCUDAKernelTemplateIN3c108BFloat16EfLj32ELj32ELj256ELb0ELb0ELb1EEEvllPKT_S7_PKT0_SA_PS5_SB_
		.amdhsa_group_segment_fixed_size 0
		.amdhsa_private_segment_fixed_size 0
		.amdhsa_kernarg_size 320
		.amdhsa_user_sgpr_count 6
		.amdhsa_user_sgpr_private_segment_buffer 1
		.amdhsa_user_sgpr_dispatch_ptr 0
		.amdhsa_user_sgpr_queue_ptr 0
		.amdhsa_user_sgpr_kernarg_segment_ptr 1
		.amdhsa_user_sgpr_dispatch_id 0
		.amdhsa_user_sgpr_flat_scratch_init 0
		.amdhsa_user_sgpr_kernarg_preload_length 0
		.amdhsa_user_sgpr_kernarg_preload_offset 0
		.amdhsa_user_sgpr_private_segment_size 0
		.amdhsa_uses_dynamic_stack 0
		.amdhsa_system_sgpr_private_segment_wavefront_offset 0
		.amdhsa_system_sgpr_workgroup_id_x 1
		.amdhsa_system_sgpr_workgroup_id_y 1
		.amdhsa_system_sgpr_workgroup_id_z 0
		.amdhsa_system_sgpr_workgroup_info 0
		.amdhsa_system_vgpr_workitem_id 1
		.amdhsa_next_free_vgpr 96
		.amdhsa_next_free_sgpr 42
		.amdhsa_accum_offset 96
		.amdhsa_reserve_vcc 1
		.amdhsa_reserve_flat_scratch 0
		.amdhsa_float_round_mode_32 0
		.amdhsa_float_round_mode_16_64 0
		.amdhsa_float_denorm_mode_32 3
		.amdhsa_float_denorm_mode_16_64 3
		.amdhsa_dx10_clamp 1
		.amdhsa_ieee_mode 1
		.amdhsa_fp16_overflow 0
		.amdhsa_tg_split 0
		.amdhsa_exception_fp_ieee_invalid_op 0
		.amdhsa_exception_fp_denorm_src 0
		.amdhsa_exception_fp_ieee_div_zero 0
		.amdhsa_exception_fp_ieee_overflow 0
		.amdhsa_exception_fp_ieee_underflow 0
		.amdhsa_exception_fp_ieee_inexact 0
		.amdhsa_exception_int_div_zero 0
	.end_amdhsa_kernel
	.section	.text._ZN2at6native12_GLOBAL__N_135GammaBetaBackwardCUDAKernelTemplateIN3c108BFloat16EfLj32ELj32ELj256ELb0ELb0ELb1EEEvllPKT_S7_PKT0_SA_PS5_SB_,"axG",@progbits,_ZN2at6native12_GLOBAL__N_135GammaBetaBackwardCUDAKernelTemplateIN3c108BFloat16EfLj32ELj32ELj256ELb0ELb0ELb1EEEvllPKT_S7_PKT0_SA_PS5_SB_,comdat
.Lfunc_end207:
	.size	_ZN2at6native12_GLOBAL__N_135GammaBetaBackwardCUDAKernelTemplateIN3c108BFloat16EfLj32ELj32ELj256ELb0ELb0ELb1EEEvllPKT_S7_PKT0_SA_PS5_SB_, .Lfunc_end207-_ZN2at6native12_GLOBAL__N_135GammaBetaBackwardCUDAKernelTemplateIN3c108BFloat16EfLj32ELj32ELj256ELb0ELb0ELb1EEEvllPKT_S7_PKT0_SA_PS5_SB_
                                        ; -- End function
	.section	.AMDGPU.csdata,"",@progbits
; Kernel info:
; codeLenInByte = 7264
; NumSgprs: 46
; NumVgprs: 96
; NumAgprs: 0
; TotalNumVgprs: 96
; ScratchSize: 0
; MemoryBound: 0
; FloatMode: 240
; IeeeMode: 1
; LDSByteSize: 0 bytes/workgroup (compile time only)
; SGPRBlocks: 5
; VGPRBlocks: 11
; NumSGPRsForWavesPerEU: 46
; NumVGPRsForWavesPerEU: 96
; AccumOffset: 96
; Occupancy: 5
; WaveLimiterHint : 0
; COMPUTE_PGM_RSRC2:SCRATCH_EN: 0
; COMPUTE_PGM_RSRC2:USER_SGPR: 6
; COMPUTE_PGM_RSRC2:TRAP_HANDLER: 0
; COMPUTE_PGM_RSRC2:TGID_X_EN: 1
; COMPUTE_PGM_RSRC2:TGID_Y_EN: 1
; COMPUTE_PGM_RSRC2:TGID_Z_EN: 0
; COMPUTE_PGM_RSRC2:TIDIG_COMP_CNT: 1
; COMPUTE_PGM_RSRC3_GFX90A:ACCUM_OFFSET: 23
; COMPUTE_PGM_RSRC3_GFX90A:TG_SPLIT: 0
	.text
	.p2alignl 6, 3212836864
	.fill 256, 4, 3212836864
	.type	__hip_cuid_13206d1c684f3056,@object ; @__hip_cuid_13206d1c684f3056
	.section	.bss,"aw",@nobits
	.globl	__hip_cuid_13206d1c684f3056
__hip_cuid_13206d1c684f3056:
	.byte	0                               ; 0x0
	.size	__hip_cuid_13206d1c684f3056, 1

	.ident	"AMD clang version 19.0.0git (https://github.com/RadeonOpenCompute/llvm-project roc-6.4.0 25133 c7fe45cf4b819c5991fe208aaa96edf142730f1d)"
	.section	".note.GNU-stack","",@progbits
	.addrsig
	.addrsig_sym __hip_cuid_13206d1c684f3056
	.amdgpu_metadata
---
amdhsa.kernels:
  - .agpr_count:     0
    .args:
      - .offset:         0
        .size:           4
        .value_kind:     by_value
      - .offset:         8
        .size:           8
        .value_kind:     by_value
      - .actual_access:  read_only
        .address_space:  global
        .offset:         16
        .size:           8
        .value_kind:     global_buffer
      - .address_space:  global
        .offset:         24
        .size:           8
        .value_kind:     global_buffer
      - .address_space:  global
        .offset:         32
        .size:           8
        .value_kind:     global_buffer
      - .address_space:  global
        .offset:         40
        .size:           8
        .value_kind:     global_buffer
      - .address_space:  global
        .offset:         48
        .size:           8
        .value_kind:     global_buffer
      - .address_space:  global
        .offset:         56
        .size:           8
        .value_kind:     global_buffer
    .group_segment_fixed_size: 0
    .kernarg_segment_align: 8
    .kernarg_segment_size: 64
    .language:       OpenCL C
    .language_version:
      - 2
      - 0
    .max_flat_workgroup_size: 1024
    .name:           _ZN2at6native12_GLOBAL__N_128vectorized_layer_norm_kernelIddLb0EEEviT0_PKT_S6_S6_PS3_S7_PS4_
    .private_segment_fixed_size: 0
    .sgpr_count:     4
    .sgpr_spill_count: 0
    .symbol:         _ZN2at6native12_GLOBAL__N_128vectorized_layer_norm_kernelIddLb0EEEviT0_PKT_S6_S6_PS3_S7_PS4_.kd
    .uniform_work_group_size: 1
    .uses_dynamic_stack: false
    .vgpr_count:     0
    .vgpr_spill_count: 0
    .wavefront_size: 64
  - .agpr_count:     0
    .args:
      - .offset:         0
        .size:           8
        .value_kind:     by_value
      - .offset:         8
        .size:           8
        .value_kind:     by_value
      - .address_space:  global
        .offset:         16
        .size:           8
        .value_kind:     global_buffer
      - .address_space:  global
        .offset:         24
        .size:           8
        .value_kind:     global_buffer
      - .address_space:  global
        .offset:         32
        .size:           8
        .value_kind:     global_buffer
      - .offset:         40
        .size:           4
        .value_kind:     hidden_block_count_x
      - .offset:         44
        .size:           4
        .value_kind:     hidden_block_count_y
      - .offset:         48
        .size:           4
        .value_kind:     hidden_block_count_z
      - .offset:         52
        .size:           2
        .value_kind:     hidden_group_size_x
      - .offset:         54
        .size:           2
        .value_kind:     hidden_group_size_y
      - .offset:         56
        .size:           2
        .value_kind:     hidden_group_size_z
      - .offset:         58
        .size:           2
        .value_kind:     hidden_remainder_x
      - .offset:         60
        .size:           2
        .value_kind:     hidden_remainder_y
      - .offset:         62
        .size:           2
        .value_kind:     hidden_remainder_z
      - .offset:         80
        .size:           8
        .value_kind:     hidden_global_offset_x
      - .offset:         88
        .size:           8
        .value_kind:     hidden_global_offset_y
      - .offset:         96
        .size:           8
        .value_kind:     hidden_global_offset_z
      - .offset:         104
        .size:           2
        .value_kind:     hidden_grid_dims
    .group_segment_fixed_size: 2048
    .kernarg_segment_align: 8
    .kernarg_segment_size: 296
    .language:       OpenCL C
    .language_version:
      - 2
      - 0
    .max_flat_workgroup_size: 1024
    .name:           _ZN2at6native12_GLOBAL__N_124RowwiseMomentsCUDAKernelIddLb0EEEvlT0_PKT_PS3_S7_
    .private_segment_fixed_size: 0
    .sgpr_count:     26
    .sgpr_spill_count: 0
    .symbol:         _ZN2at6native12_GLOBAL__N_124RowwiseMomentsCUDAKernelIddLb0EEEvlT0_PKT_PS3_S7_.kd
    .uniform_work_group_size: 1
    .uses_dynamic_stack: false
    .vgpr_count:     30
    .vgpr_spill_count: 0
    .wavefront_size: 64
  - .agpr_count:     0
    .args:
      - .offset:         0
        .size:           8
        .value_kind:     by_value
      - .address_space:  global
        .offset:         8
        .size:           8
        .value_kind:     global_buffer
      - .address_space:  global
        .offset:         16
        .size:           8
        .value_kind:     global_buffer
      - .address_space:  global
        .offset:         24
        .size:           8
        .value_kind:     global_buffer
      - .address_space:  global
        .offset:         32
        .size:           8
        .value_kind:     global_buffer
      - .address_space:  global
        .offset:         40
        .size:           8
        .value_kind:     global_buffer
      - .address_space:  global
        .offset:         48
        .size:           8
        .value_kind:     global_buffer
      - .offset:         56
        .size:           4
        .value_kind:     hidden_block_count_x
      - .offset:         60
        .size:           4
        .value_kind:     hidden_block_count_y
      - .offset:         64
        .size:           4
        .value_kind:     hidden_block_count_z
      - .offset:         68
        .size:           2
        .value_kind:     hidden_group_size_x
      - .offset:         70
        .size:           2
        .value_kind:     hidden_group_size_y
      - .offset:         72
        .size:           2
        .value_kind:     hidden_group_size_z
      - .offset:         74
        .size:           2
        .value_kind:     hidden_remainder_x
      - .offset:         76
        .size:           2
        .value_kind:     hidden_remainder_y
      - .offset:         78
        .size:           2
        .value_kind:     hidden_remainder_z
      - .offset:         96
        .size:           8
        .value_kind:     hidden_global_offset_x
      - .offset:         104
        .size:           8
        .value_kind:     hidden_global_offset_y
      - .offset:         112
        .size:           8
        .value_kind:     hidden_global_offset_z
      - .offset:         120
        .size:           2
        .value_kind:     hidden_grid_dims
    .group_segment_fixed_size: 0
    .kernarg_segment_align: 8
    .kernarg_segment_size: 312
    .language:       OpenCL C
    .language_version:
      - 2
      - 0
    .max_flat_workgroup_size: 1024
    .name:           _ZN2at6native12_GLOBAL__N_126LayerNormForwardCUDAKernelIddLb0EEEvlPKT_PKT0_S8_S5_S5_PS3_
    .private_segment_fixed_size: 0
    .sgpr_count:     31
    .sgpr_spill_count: 0
    .symbol:         _ZN2at6native12_GLOBAL__N_126LayerNormForwardCUDAKernelIddLb0EEEvlPKT_PKT0_S8_S5_S5_PS3_.kd
    .uniform_work_group_size: 1
    .uses_dynamic_stack: false
    .vgpr_count:     22
    .vgpr_spill_count: 0
    .wavefront_size: 64
  - .agpr_count:     0
    .args:
      - .offset:         0
        .size:           4
        .value_kind:     by_value
      - .offset:         4
        .size:           4
        .value_kind:     by_value
      - .actual_access:  read_only
        .address_space:  global
        .offset:         8
        .size:           8
        .value_kind:     global_buffer
      - .address_space:  global
        .offset:         16
        .size:           8
        .value_kind:     global_buffer
      - .address_space:  global
        .offset:         24
        .size:           8
        .value_kind:     global_buffer
      - .address_space:  global
        .offset:         32
        .size:           8
        .value_kind:     global_buffer
      - .address_space:  global
        .offset:         40
        .size:           8
        .value_kind:     global_buffer
      - .address_space:  global
        .offset:         48
        .size:           8
        .value_kind:     global_buffer
      - .offset:         56
        .size:           4
        .value_kind:     hidden_block_count_x
      - .offset:         60
        .size:           4
        .value_kind:     hidden_block_count_y
      - .offset:         64
        .size:           4
        .value_kind:     hidden_block_count_z
      - .offset:         68
        .size:           2
        .value_kind:     hidden_group_size_x
      - .offset:         70
        .size:           2
        .value_kind:     hidden_group_size_y
      - .offset:         72
        .size:           2
        .value_kind:     hidden_group_size_z
      - .offset:         74
        .size:           2
        .value_kind:     hidden_remainder_x
      - .offset:         76
        .size:           2
        .value_kind:     hidden_remainder_y
      - .offset:         78
        .size:           2
        .value_kind:     hidden_remainder_z
      - .offset:         96
        .size:           8
        .value_kind:     hidden_global_offset_x
      - .offset:         104
        .size:           8
        .value_kind:     hidden_global_offset_y
      - .offset:         112
        .size:           8
        .value_kind:     hidden_global_offset_z
      - .offset:         120
        .size:           2
        .value_kind:     hidden_grid_dims
      - .offset:         176
        .size:           4
        .value_kind:     hidden_dynamic_lds_size
    .group_segment_fixed_size: 0
    .kernarg_segment_align: 8
    .kernarg_segment_size: 312
    .language:       OpenCL C
    .language_version:
      - 2
      - 0
    .max_flat_workgroup_size: 1024
    .name:           _ZN2at6native12_GLOBAL__N_128vectorized_layer_norm_kernelIffLb0EEEviT0_PKT_S6_S6_PS3_S7_PS4_
    .private_segment_fixed_size: 0
    .sgpr_count:     36
    .sgpr_spill_count: 0
    .symbol:         _ZN2at6native12_GLOBAL__N_128vectorized_layer_norm_kernelIffLb0EEEviT0_PKT_S6_S6_PS3_S7_PS4_.kd
    .uniform_work_group_size: 1
    .uses_dynamic_stack: false
    .vgpr_count:     35
    .vgpr_spill_count: 0
    .wavefront_size: 64
  - .agpr_count:     0
    .args:
      - .offset:         0
        .size:           8
        .value_kind:     by_value
      - .offset:         8
        .size:           4
        .value_kind:     by_value
      - .address_space:  global
        .offset:         16
        .size:           8
        .value_kind:     global_buffer
      - .address_space:  global
        .offset:         24
        .size:           8
        .value_kind:     global_buffer
      - .address_space:  global
        .offset:         32
        .size:           8
        .value_kind:     global_buffer
      - .offset:         40
        .size:           4
        .value_kind:     hidden_block_count_x
      - .offset:         44
        .size:           4
        .value_kind:     hidden_block_count_y
      - .offset:         48
        .size:           4
        .value_kind:     hidden_block_count_z
      - .offset:         52
        .size:           2
        .value_kind:     hidden_group_size_x
      - .offset:         54
        .size:           2
        .value_kind:     hidden_group_size_y
      - .offset:         56
        .size:           2
        .value_kind:     hidden_group_size_z
      - .offset:         58
        .size:           2
        .value_kind:     hidden_remainder_x
      - .offset:         60
        .size:           2
        .value_kind:     hidden_remainder_y
      - .offset:         62
        .size:           2
        .value_kind:     hidden_remainder_z
      - .offset:         80
        .size:           8
        .value_kind:     hidden_global_offset_x
      - .offset:         88
        .size:           8
        .value_kind:     hidden_global_offset_y
      - .offset:         96
        .size:           8
        .value_kind:     hidden_global_offset_z
      - .offset:         104
        .size:           2
        .value_kind:     hidden_grid_dims
    .group_segment_fixed_size: 1536
    .kernarg_segment_align: 8
    .kernarg_segment_size: 296
    .language:       OpenCL C
    .language_version:
      - 2
      - 0
    .max_flat_workgroup_size: 1024
    .name:           _ZN2at6native12_GLOBAL__N_124RowwiseMomentsCUDAKernelIffLb0EEEvlT0_PKT_PS3_S7_
    .private_segment_fixed_size: 0
    .sgpr_count:     25
    .sgpr_spill_count: 0
    .symbol:         _ZN2at6native12_GLOBAL__N_124RowwiseMomentsCUDAKernelIffLb0EEEvlT0_PKT_PS3_S7_.kd
    .uniform_work_group_size: 1
    .uses_dynamic_stack: false
    .vgpr_count:     21
    .vgpr_spill_count: 0
    .wavefront_size: 64
  - .agpr_count:     0
    .args:
      - .offset:         0
        .size:           8
        .value_kind:     by_value
      - .address_space:  global
        .offset:         8
        .size:           8
        .value_kind:     global_buffer
      - .address_space:  global
        .offset:         16
        .size:           8
        .value_kind:     global_buffer
      - .address_space:  global
        .offset:         24
        .size:           8
        .value_kind:     global_buffer
      - .address_space:  global
        .offset:         32
        .size:           8
        .value_kind:     global_buffer
      - .address_space:  global
        .offset:         40
        .size:           8
        .value_kind:     global_buffer
      - .address_space:  global
        .offset:         48
        .size:           8
        .value_kind:     global_buffer
      - .offset:         56
        .size:           4
        .value_kind:     hidden_block_count_x
      - .offset:         60
        .size:           4
        .value_kind:     hidden_block_count_y
      - .offset:         64
        .size:           4
        .value_kind:     hidden_block_count_z
      - .offset:         68
        .size:           2
        .value_kind:     hidden_group_size_x
      - .offset:         70
        .size:           2
        .value_kind:     hidden_group_size_y
      - .offset:         72
        .size:           2
        .value_kind:     hidden_group_size_z
      - .offset:         74
        .size:           2
        .value_kind:     hidden_remainder_x
      - .offset:         76
        .size:           2
        .value_kind:     hidden_remainder_y
      - .offset:         78
        .size:           2
        .value_kind:     hidden_remainder_z
      - .offset:         96
        .size:           8
        .value_kind:     hidden_global_offset_x
      - .offset:         104
        .size:           8
        .value_kind:     hidden_global_offset_y
      - .offset:         112
        .size:           8
        .value_kind:     hidden_global_offset_z
      - .offset:         120
        .size:           2
        .value_kind:     hidden_grid_dims
    .group_segment_fixed_size: 0
    .kernarg_segment_align: 8
    .kernarg_segment_size: 312
    .language:       OpenCL C
    .language_version:
      - 2
      - 0
    .max_flat_workgroup_size: 1024
    .name:           _ZN2at6native12_GLOBAL__N_126LayerNormForwardCUDAKernelIffLb0EEEvlPKT_PKT0_S8_S5_S5_PS3_
    .private_segment_fixed_size: 0
    .sgpr_count:     31
    .sgpr_spill_count: 0
    .symbol:         _ZN2at6native12_GLOBAL__N_126LayerNormForwardCUDAKernelIffLb0EEEvlPKT_PKT0_S8_S5_S5_PS3_.kd
    .uniform_work_group_size: 1
    .uses_dynamic_stack: false
    .vgpr_count:     16
    .vgpr_spill_count: 0
    .wavefront_size: 64
  - .agpr_count:     0
    .args:
      - .offset:         0
        .size:           4
        .value_kind:     by_value
      - .offset:         4
        .size:           4
        .value_kind:     by_value
      - .actual_access:  read_only
        .address_space:  global
        .offset:         8
        .size:           8
        .value_kind:     global_buffer
      - .address_space:  global
        .offset:         16
        .size:           8
        .value_kind:     global_buffer
      - .address_space:  global
        .offset:         24
        .size:           8
        .value_kind:     global_buffer
      - .address_space:  global
        .offset:         32
        .size:           8
        .value_kind:     global_buffer
      - .address_space:  global
        .offset:         40
        .size:           8
        .value_kind:     global_buffer
      - .address_space:  global
        .offset:         48
        .size:           8
        .value_kind:     global_buffer
      - .offset:         56
        .size:           4
        .value_kind:     hidden_block_count_x
      - .offset:         60
        .size:           4
        .value_kind:     hidden_block_count_y
      - .offset:         64
        .size:           4
        .value_kind:     hidden_block_count_z
      - .offset:         68
        .size:           2
        .value_kind:     hidden_group_size_x
      - .offset:         70
        .size:           2
        .value_kind:     hidden_group_size_y
      - .offset:         72
        .size:           2
        .value_kind:     hidden_group_size_z
      - .offset:         74
        .size:           2
        .value_kind:     hidden_remainder_x
      - .offset:         76
        .size:           2
        .value_kind:     hidden_remainder_y
      - .offset:         78
        .size:           2
        .value_kind:     hidden_remainder_z
      - .offset:         96
        .size:           8
        .value_kind:     hidden_global_offset_x
      - .offset:         104
        .size:           8
        .value_kind:     hidden_global_offset_y
      - .offset:         112
        .size:           8
        .value_kind:     hidden_global_offset_z
      - .offset:         120
        .size:           2
        .value_kind:     hidden_grid_dims
      - .offset:         176
        .size:           4
        .value_kind:     hidden_dynamic_lds_size
    .group_segment_fixed_size: 0
    .kernarg_segment_align: 8
    .kernarg_segment_size: 312
    .language:       OpenCL C
    .language_version:
      - 2
      - 0
    .max_flat_workgroup_size: 1024
    .name:           _ZN2at6native12_GLOBAL__N_128vectorized_layer_norm_kernelIN3c104HalfEfLb0EEEviT0_PKT_S8_S8_PS5_S9_PS6_
    .private_segment_fixed_size: 0
    .sgpr_count:     34
    .sgpr_spill_count: 0
    .symbol:         _ZN2at6native12_GLOBAL__N_128vectorized_layer_norm_kernelIN3c104HalfEfLb0EEEviT0_PKT_S8_S8_PS5_S9_PS6_.kd
    .uniform_work_group_size: 1
    .uses_dynamic_stack: false
    .vgpr_count:     33
    .vgpr_spill_count: 0
    .wavefront_size: 64
  - .agpr_count:     0
    .args:
      - .offset:         0
        .size:           8
        .value_kind:     by_value
      - .offset:         8
        .size:           4
        .value_kind:     by_value
      - .address_space:  global
        .offset:         16
        .size:           8
        .value_kind:     global_buffer
      - .address_space:  global
        .offset:         24
        .size:           8
        .value_kind:     global_buffer
      - .address_space:  global
        .offset:         32
        .size:           8
        .value_kind:     global_buffer
      - .offset:         40
        .size:           4
        .value_kind:     hidden_block_count_x
      - .offset:         44
        .size:           4
        .value_kind:     hidden_block_count_y
      - .offset:         48
        .size:           4
        .value_kind:     hidden_block_count_z
      - .offset:         52
        .size:           2
        .value_kind:     hidden_group_size_x
      - .offset:         54
        .size:           2
        .value_kind:     hidden_group_size_y
      - .offset:         56
        .size:           2
        .value_kind:     hidden_group_size_z
      - .offset:         58
        .size:           2
        .value_kind:     hidden_remainder_x
      - .offset:         60
        .size:           2
        .value_kind:     hidden_remainder_y
      - .offset:         62
        .size:           2
        .value_kind:     hidden_remainder_z
      - .offset:         80
        .size:           8
        .value_kind:     hidden_global_offset_x
      - .offset:         88
        .size:           8
        .value_kind:     hidden_global_offset_y
      - .offset:         96
        .size:           8
        .value_kind:     hidden_global_offset_z
      - .offset:         104
        .size:           2
        .value_kind:     hidden_grid_dims
    .group_segment_fixed_size: 1536
    .kernarg_segment_align: 8
    .kernarg_segment_size: 296
    .language:       OpenCL C
    .language_version:
      - 2
      - 0
    .max_flat_workgroup_size: 1024
    .name:           _ZN2at6native12_GLOBAL__N_124RowwiseMomentsCUDAKernelIN3c104HalfEfLb0EEEvlT0_PKT_PS5_S9_
    .private_segment_fixed_size: 0
    .sgpr_count:     25
    .sgpr_spill_count: 0
    .symbol:         _ZN2at6native12_GLOBAL__N_124RowwiseMomentsCUDAKernelIN3c104HalfEfLb0EEEvlT0_PKT_PS5_S9_.kd
    .uniform_work_group_size: 1
    .uses_dynamic_stack: false
    .vgpr_count:     21
    .vgpr_spill_count: 0
    .wavefront_size: 64
  - .agpr_count:     0
    .args:
      - .offset:         0
        .size:           8
        .value_kind:     by_value
      - .address_space:  global
        .offset:         8
        .size:           8
        .value_kind:     global_buffer
      - .address_space:  global
        .offset:         16
        .size:           8
        .value_kind:     global_buffer
      - .address_space:  global
        .offset:         24
        .size:           8
        .value_kind:     global_buffer
      - .address_space:  global
        .offset:         32
        .size:           8
        .value_kind:     global_buffer
      - .address_space:  global
        .offset:         40
        .size:           8
        .value_kind:     global_buffer
      - .address_space:  global
        .offset:         48
        .size:           8
        .value_kind:     global_buffer
      - .offset:         56
        .size:           4
        .value_kind:     hidden_block_count_x
      - .offset:         60
        .size:           4
        .value_kind:     hidden_block_count_y
      - .offset:         64
        .size:           4
        .value_kind:     hidden_block_count_z
      - .offset:         68
        .size:           2
        .value_kind:     hidden_group_size_x
      - .offset:         70
        .size:           2
        .value_kind:     hidden_group_size_y
      - .offset:         72
        .size:           2
        .value_kind:     hidden_group_size_z
      - .offset:         74
        .size:           2
        .value_kind:     hidden_remainder_x
      - .offset:         76
        .size:           2
        .value_kind:     hidden_remainder_y
      - .offset:         78
        .size:           2
        .value_kind:     hidden_remainder_z
      - .offset:         96
        .size:           8
        .value_kind:     hidden_global_offset_x
      - .offset:         104
        .size:           8
        .value_kind:     hidden_global_offset_y
      - .offset:         112
        .size:           8
        .value_kind:     hidden_global_offset_z
      - .offset:         120
        .size:           2
        .value_kind:     hidden_grid_dims
    .group_segment_fixed_size: 0
    .kernarg_segment_align: 8
    .kernarg_segment_size: 312
    .language:       OpenCL C
    .language_version:
      - 2
      - 0
    .max_flat_workgroup_size: 1024
    .name:           _ZN2at6native12_GLOBAL__N_126LayerNormForwardCUDAKernelIN3c104HalfEfLb0EEEvlPKT_PKT0_SA_S7_S7_PS5_
    .private_segment_fixed_size: 0
    .sgpr_count:     32
    .sgpr_spill_count: 0
    .symbol:         _ZN2at6native12_GLOBAL__N_126LayerNormForwardCUDAKernelIN3c104HalfEfLb0EEEvlPKT_PKT0_SA_S7_S7_PS5_.kd
    .uniform_work_group_size: 1
    .uses_dynamic_stack: false
    .vgpr_count:     13
    .vgpr_spill_count: 0
    .wavefront_size: 64
  - .agpr_count:     0
    .args:
      - .offset:         0
        .size:           4
        .value_kind:     by_value
      - .offset:         4
        .size:           4
        .value_kind:     by_value
      - .actual_access:  read_only
        .address_space:  global
        .offset:         8
        .size:           8
        .value_kind:     global_buffer
      - .address_space:  global
        .offset:         16
        .size:           8
        .value_kind:     global_buffer
      - .address_space:  global
        .offset:         24
        .size:           8
        .value_kind:     global_buffer
      - .address_space:  global
        .offset:         32
        .size:           8
        .value_kind:     global_buffer
      - .address_space:  global
        .offset:         40
        .size:           8
        .value_kind:     global_buffer
      - .address_space:  global
        .offset:         48
        .size:           8
        .value_kind:     global_buffer
      - .offset:         56
        .size:           4
        .value_kind:     hidden_block_count_x
      - .offset:         60
        .size:           4
        .value_kind:     hidden_block_count_y
      - .offset:         64
        .size:           4
        .value_kind:     hidden_block_count_z
      - .offset:         68
        .size:           2
        .value_kind:     hidden_group_size_x
      - .offset:         70
        .size:           2
        .value_kind:     hidden_group_size_y
      - .offset:         72
        .size:           2
        .value_kind:     hidden_group_size_z
      - .offset:         74
        .size:           2
        .value_kind:     hidden_remainder_x
      - .offset:         76
        .size:           2
        .value_kind:     hidden_remainder_y
      - .offset:         78
        .size:           2
        .value_kind:     hidden_remainder_z
      - .offset:         96
        .size:           8
        .value_kind:     hidden_global_offset_x
      - .offset:         104
        .size:           8
        .value_kind:     hidden_global_offset_y
      - .offset:         112
        .size:           8
        .value_kind:     hidden_global_offset_z
      - .offset:         120
        .size:           2
        .value_kind:     hidden_grid_dims
      - .offset:         176
        .size:           4
        .value_kind:     hidden_dynamic_lds_size
    .group_segment_fixed_size: 0
    .kernarg_segment_align: 8
    .kernarg_segment_size: 312
    .language:       OpenCL C
    .language_version:
      - 2
      - 0
    .max_flat_workgroup_size: 1024
    .name:           _ZN2at6native12_GLOBAL__N_128vectorized_layer_norm_kernelIN3c108BFloat16EfLb0EEEviT0_PKT_S8_S8_PS5_S9_PS6_
    .private_segment_fixed_size: 0
    .sgpr_count:     35
    .sgpr_spill_count: 0
    .symbol:         _ZN2at6native12_GLOBAL__N_128vectorized_layer_norm_kernelIN3c108BFloat16EfLb0EEEviT0_PKT_S8_S8_PS5_S9_PS6_.kd
    .uniform_work_group_size: 1
    .uses_dynamic_stack: false
    .vgpr_count:     33
    .vgpr_spill_count: 0
    .wavefront_size: 64
  - .agpr_count:     0
    .args:
      - .offset:         0
        .size:           8
        .value_kind:     by_value
      - .offset:         8
        .size:           4
        .value_kind:     by_value
      - .address_space:  global
        .offset:         16
        .size:           8
        .value_kind:     global_buffer
      - .address_space:  global
        .offset:         24
        .size:           8
        .value_kind:     global_buffer
      - .address_space:  global
        .offset:         32
        .size:           8
        .value_kind:     global_buffer
      - .offset:         40
        .size:           4
        .value_kind:     hidden_block_count_x
      - .offset:         44
        .size:           4
        .value_kind:     hidden_block_count_y
      - .offset:         48
        .size:           4
        .value_kind:     hidden_block_count_z
      - .offset:         52
        .size:           2
        .value_kind:     hidden_group_size_x
      - .offset:         54
        .size:           2
        .value_kind:     hidden_group_size_y
      - .offset:         56
        .size:           2
        .value_kind:     hidden_group_size_z
      - .offset:         58
        .size:           2
        .value_kind:     hidden_remainder_x
      - .offset:         60
        .size:           2
        .value_kind:     hidden_remainder_y
      - .offset:         62
        .size:           2
        .value_kind:     hidden_remainder_z
      - .offset:         80
        .size:           8
        .value_kind:     hidden_global_offset_x
      - .offset:         88
        .size:           8
        .value_kind:     hidden_global_offset_y
      - .offset:         96
        .size:           8
        .value_kind:     hidden_global_offset_z
      - .offset:         104
        .size:           2
        .value_kind:     hidden_grid_dims
    .group_segment_fixed_size: 1536
    .kernarg_segment_align: 8
    .kernarg_segment_size: 296
    .language:       OpenCL C
    .language_version:
      - 2
      - 0
    .max_flat_workgroup_size: 1024
    .name:           _ZN2at6native12_GLOBAL__N_124RowwiseMomentsCUDAKernelIN3c108BFloat16EfLb0EEEvlT0_PKT_PS5_S9_
    .private_segment_fixed_size: 0
    .sgpr_count:     25
    .sgpr_spill_count: 0
    .symbol:         _ZN2at6native12_GLOBAL__N_124RowwiseMomentsCUDAKernelIN3c108BFloat16EfLb0EEEvlT0_PKT_PS5_S9_.kd
    .uniform_work_group_size: 1
    .uses_dynamic_stack: false
    .vgpr_count:     21
    .vgpr_spill_count: 0
    .wavefront_size: 64
  - .agpr_count:     0
    .args:
      - .offset:         0
        .size:           8
        .value_kind:     by_value
      - .address_space:  global
        .offset:         8
        .size:           8
        .value_kind:     global_buffer
      - .address_space:  global
        .offset:         16
        .size:           8
        .value_kind:     global_buffer
      - .address_space:  global
        .offset:         24
        .size:           8
        .value_kind:     global_buffer
      - .address_space:  global
        .offset:         32
        .size:           8
        .value_kind:     global_buffer
      - .address_space:  global
        .offset:         40
        .size:           8
        .value_kind:     global_buffer
      - .address_space:  global
        .offset:         48
        .size:           8
        .value_kind:     global_buffer
      - .offset:         56
        .size:           4
        .value_kind:     hidden_block_count_x
      - .offset:         60
        .size:           4
        .value_kind:     hidden_block_count_y
      - .offset:         64
        .size:           4
        .value_kind:     hidden_block_count_z
      - .offset:         68
        .size:           2
        .value_kind:     hidden_group_size_x
      - .offset:         70
        .size:           2
        .value_kind:     hidden_group_size_y
      - .offset:         72
        .size:           2
        .value_kind:     hidden_group_size_z
      - .offset:         74
        .size:           2
        .value_kind:     hidden_remainder_x
      - .offset:         76
        .size:           2
        .value_kind:     hidden_remainder_y
      - .offset:         78
        .size:           2
        .value_kind:     hidden_remainder_z
      - .offset:         96
        .size:           8
        .value_kind:     hidden_global_offset_x
      - .offset:         104
        .size:           8
        .value_kind:     hidden_global_offset_y
      - .offset:         112
        .size:           8
        .value_kind:     hidden_global_offset_z
      - .offset:         120
        .size:           2
        .value_kind:     hidden_grid_dims
    .group_segment_fixed_size: 0
    .kernarg_segment_align: 8
    .kernarg_segment_size: 312
    .language:       OpenCL C
    .language_version:
      - 2
      - 0
    .max_flat_workgroup_size: 1024
    .name:           _ZN2at6native12_GLOBAL__N_126LayerNormForwardCUDAKernelIN3c108BFloat16EfLb0EEEvlPKT_PKT0_SA_S7_S7_PS5_
    .private_segment_fixed_size: 0
    .sgpr_count:     32
    .sgpr_spill_count: 0
    .symbol:         _ZN2at6native12_GLOBAL__N_126LayerNormForwardCUDAKernelIN3c108BFloat16EfLb0EEEvlPKT_PKT0_SA_S7_S7_PS5_.kd
    .uniform_work_group_size: 1
    .uses_dynamic_stack: false
    .vgpr_count:     14
    .vgpr_spill_count: 0
    .wavefront_size: 64
  - .agpr_count:     0
    .args:
      - .offset:         0
        .size:           4
        .value_kind:     by_value
      - .offset:         8
        .size:           8
        .value_kind:     by_value
      - .actual_access:  read_only
        .address_space:  global
        .offset:         16
        .size:           8
        .value_kind:     global_buffer
      - .address_space:  global
        .offset:         24
        .size:           8
        .value_kind:     global_buffer
      - .address_space:  global
        .offset:         32
        .size:           8
        .value_kind:     global_buffer
      - .address_space:  global
        .offset:         40
        .size:           8
        .value_kind:     global_buffer
      - .address_space:  global
        .offset:         48
        .size:           8
        .value_kind:     global_buffer
      - .address_space:  global
        .offset:         56
        .size:           8
        .value_kind:     global_buffer
    .group_segment_fixed_size: 0
    .kernarg_segment_align: 8
    .kernarg_segment_size: 64
    .language:       OpenCL C
    .language_version:
      - 2
      - 0
    .max_flat_workgroup_size: 1024
    .name:           _ZN2at6native12_GLOBAL__N_128vectorized_layer_norm_kernelIddLb1EEEviT0_PKT_S6_S6_PS3_S7_PS4_
    .private_segment_fixed_size: 0
    .sgpr_count:     4
    .sgpr_spill_count: 0
    .symbol:         _ZN2at6native12_GLOBAL__N_128vectorized_layer_norm_kernelIddLb1EEEviT0_PKT_S6_S6_PS3_S7_PS4_.kd
    .uniform_work_group_size: 1
    .uses_dynamic_stack: false
    .vgpr_count:     0
    .vgpr_spill_count: 0
    .wavefront_size: 64
  - .agpr_count:     0
    .args:
      - .offset:         0
        .size:           8
        .value_kind:     by_value
      - .offset:         8
        .size:           8
        .value_kind:     by_value
      - .address_space:  global
        .offset:         16
        .size:           8
        .value_kind:     global_buffer
      - .address_space:  global
        .offset:         24
        .size:           8
        .value_kind:     global_buffer
      - .address_space:  global
        .offset:         32
        .size:           8
        .value_kind:     global_buffer
      - .offset:         40
        .size:           4
        .value_kind:     hidden_block_count_x
      - .offset:         44
        .size:           4
        .value_kind:     hidden_block_count_y
      - .offset:         48
        .size:           4
        .value_kind:     hidden_block_count_z
      - .offset:         52
        .size:           2
        .value_kind:     hidden_group_size_x
      - .offset:         54
        .size:           2
        .value_kind:     hidden_group_size_y
      - .offset:         56
        .size:           2
        .value_kind:     hidden_group_size_z
      - .offset:         58
        .size:           2
        .value_kind:     hidden_remainder_x
      - .offset:         60
        .size:           2
        .value_kind:     hidden_remainder_y
      - .offset:         62
        .size:           2
        .value_kind:     hidden_remainder_z
      - .offset:         80
        .size:           8
        .value_kind:     hidden_global_offset_x
      - .offset:         88
        .size:           8
        .value_kind:     hidden_global_offset_y
      - .offset:         96
        .size:           8
        .value_kind:     hidden_global_offset_z
      - .offset:         104
        .size:           2
        .value_kind:     hidden_grid_dims
    .group_segment_fixed_size: 2048
    .kernarg_segment_align: 8
    .kernarg_segment_size: 296
    .language:       OpenCL C
    .language_version:
      - 2
      - 0
    .max_flat_workgroup_size: 1024
    .name:           _ZN2at6native12_GLOBAL__N_124RowwiseMomentsCUDAKernelIddLb1EEEvlT0_PKT_PS3_S7_
    .private_segment_fixed_size: 0
    .sgpr_count:     22
    .sgpr_spill_count: 0
    .symbol:         _ZN2at6native12_GLOBAL__N_124RowwiseMomentsCUDAKernelIddLb1EEEvlT0_PKT_PS3_S7_.kd
    .uniform_work_group_size: 1
    .uses_dynamic_stack: false
    .vgpr_count:     30
    .vgpr_spill_count: 0
    .wavefront_size: 64
  - .agpr_count:     0
    .args:
      - .offset:         0
        .size:           8
        .value_kind:     by_value
      - .address_space:  global
        .offset:         8
        .size:           8
        .value_kind:     global_buffer
      - .address_space:  global
        .offset:         16
        .size:           8
        .value_kind:     global_buffer
      - .address_space:  global
        .offset:         24
        .size:           8
        .value_kind:     global_buffer
      - .address_space:  global
        .offset:         32
        .size:           8
        .value_kind:     global_buffer
      - .address_space:  global
        .offset:         40
        .size:           8
        .value_kind:     global_buffer
      - .address_space:  global
        .offset:         48
        .size:           8
        .value_kind:     global_buffer
      - .offset:         56
        .size:           4
        .value_kind:     hidden_block_count_x
      - .offset:         60
        .size:           4
        .value_kind:     hidden_block_count_y
      - .offset:         64
        .size:           4
        .value_kind:     hidden_block_count_z
      - .offset:         68
        .size:           2
        .value_kind:     hidden_group_size_x
      - .offset:         70
        .size:           2
        .value_kind:     hidden_group_size_y
      - .offset:         72
        .size:           2
        .value_kind:     hidden_group_size_z
      - .offset:         74
        .size:           2
        .value_kind:     hidden_remainder_x
      - .offset:         76
        .size:           2
        .value_kind:     hidden_remainder_y
      - .offset:         78
        .size:           2
        .value_kind:     hidden_remainder_z
      - .offset:         96
        .size:           8
        .value_kind:     hidden_global_offset_x
      - .offset:         104
        .size:           8
        .value_kind:     hidden_global_offset_y
      - .offset:         112
        .size:           8
        .value_kind:     hidden_global_offset_z
      - .offset:         120
        .size:           2
        .value_kind:     hidden_grid_dims
    .group_segment_fixed_size: 0
    .kernarg_segment_align: 8
    .kernarg_segment_size: 312
    .language:       OpenCL C
    .language_version:
      - 2
      - 0
    .max_flat_workgroup_size: 1024
    .name:           _ZN2at6native12_GLOBAL__N_126LayerNormForwardCUDAKernelIddLb1EEEvlPKT_PKT0_S8_S5_S5_PS3_
    .private_segment_fixed_size: 0
    .sgpr_count:     25
    .sgpr_spill_count: 0
    .symbol:         _ZN2at6native12_GLOBAL__N_126LayerNormForwardCUDAKernelIddLb1EEEvlPKT_PKT0_S8_S5_S5_PS3_.kd
    .uniform_work_group_size: 1
    .uses_dynamic_stack: false
    .vgpr_count:     18
    .vgpr_spill_count: 0
    .wavefront_size: 64
  - .agpr_count:     0
    .args:
      - .offset:         0
        .size:           4
        .value_kind:     by_value
      - .offset:         4
        .size:           4
        .value_kind:     by_value
      - .actual_access:  read_only
        .address_space:  global
        .offset:         8
        .size:           8
        .value_kind:     global_buffer
      - .address_space:  global
        .offset:         16
        .size:           8
        .value_kind:     global_buffer
      - .address_space:  global
        .offset:         24
        .size:           8
        .value_kind:     global_buffer
      - .address_space:  global
        .offset:         32
        .size:           8
        .value_kind:     global_buffer
      - .address_space:  global
        .offset:         40
        .size:           8
        .value_kind:     global_buffer
      - .address_space:  global
        .offset:         48
        .size:           8
        .value_kind:     global_buffer
      - .offset:         56
        .size:           4
        .value_kind:     hidden_block_count_x
      - .offset:         60
        .size:           4
        .value_kind:     hidden_block_count_y
      - .offset:         64
        .size:           4
        .value_kind:     hidden_block_count_z
      - .offset:         68
        .size:           2
        .value_kind:     hidden_group_size_x
      - .offset:         70
        .size:           2
        .value_kind:     hidden_group_size_y
      - .offset:         72
        .size:           2
        .value_kind:     hidden_group_size_z
      - .offset:         74
        .size:           2
        .value_kind:     hidden_remainder_x
      - .offset:         76
        .size:           2
        .value_kind:     hidden_remainder_y
      - .offset:         78
        .size:           2
        .value_kind:     hidden_remainder_z
      - .offset:         96
        .size:           8
        .value_kind:     hidden_global_offset_x
      - .offset:         104
        .size:           8
        .value_kind:     hidden_global_offset_y
      - .offset:         112
        .size:           8
        .value_kind:     hidden_global_offset_z
      - .offset:         120
        .size:           2
        .value_kind:     hidden_grid_dims
      - .offset:         176
        .size:           4
        .value_kind:     hidden_dynamic_lds_size
    .group_segment_fixed_size: 0
    .kernarg_segment_align: 8
    .kernarg_segment_size: 312
    .language:       OpenCL C
    .language_version:
      - 2
      - 0
    .max_flat_workgroup_size: 1024
    .name:           _ZN2at6native12_GLOBAL__N_128vectorized_layer_norm_kernelIffLb1EEEviT0_PKT_S6_S6_PS3_S7_PS4_
    .private_segment_fixed_size: 0
    .sgpr_count:     34
    .sgpr_spill_count: 0
    .symbol:         _ZN2at6native12_GLOBAL__N_128vectorized_layer_norm_kernelIffLb1EEEviT0_PKT_S6_S6_PS3_S7_PS4_.kd
    .uniform_work_group_size: 1
    .uses_dynamic_stack: false
    .vgpr_count:     22
    .vgpr_spill_count: 0
    .wavefront_size: 64
  - .agpr_count:     0
    .args:
      - .offset:         0
        .size:           8
        .value_kind:     by_value
      - .offset:         8
        .size:           4
        .value_kind:     by_value
      - .address_space:  global
        .offset:         16
        .size:           8
        .value_kind:     global_buffer
      - .address_space:  global
        .offset:         24
        .size:           8
        .value_kind:     global_buffer
      - .address_space:  global
        .offset:         32
        .size:           8
        .value_kind:     global_buffer
      - .offset:         40
        .size:           4
        .value_kind:     hidden_block_count_x
      - .offset:         44
        .size:           4
        .value_kind:     hidden_block_count_y
      - .offset:         48
        .size:           4
        .value_kind:     hidden_block_count_z
      - .offset:         52
        .size:           2
        .value_kind:     hidden_group_size_x
      - .offset:         54
        .size:           2
        .value_kind:     hidden_group_size_y
      - .offset:         56
        .size:           2
        .value_kind:     hidden_group_size_z
      - .offset:         58
        .size:           2
        .value_kind:     hidden_remainder_x
      - .offset:         60
        .size:           2
        .value_kind:     hidden_remainder_y
      - .offset:         62
        .size:           2
        .value_kind:     hidden_remainder_z
      - .offset:         80
        .size:           8
        .value_kind:     hidden_global_offset_x
      - .offset:         88
        .size:           8
        .value_kind:     hidden_global_offset_y
      - .offset:         96
        .size:           8
        .value_kind:     hidden_global_offset_z
      - .offset:         104
        .size:           2
        .value_kind:     hidden_grid_dims
    .group_segment_fixed_size: 1536
    .kernarg_segment_align: 8
    .kernarg_segment_size: 296
    .language:       OpenCL C
    .language_version:
      - 2
      - 0
    .max_flat_workgroup_size: 1024
    .name:           _ZN2at6native12_GLOBAL__N_124RowwiseMomentsCUDAKernelIffLb1EEEvlT0_PKT_PS3_S7_
    .private_segment_fixed_size: 0
    .sgpr_count:     21
    .sgpr_spill_count: 0
    .symbol:         _ZN2at6native12_GLOBAL__N_124RowwiseMomentsCUDAKernelIffLb1EEEvlT0_PKT_PS3_S7_.kd
    .uniform_work_group_size: 1
    .uses_dynamic_stack: false
    .vgpr_count:     21
    .vgpr_spill_count: 0
    .wavefront_size: 64
  - .agpr_count:     0
    .args:
      - .offset:         0
        .size:           8
        .value_kind:     by_value
      - .address_space:  global
        .offset:         8
        .size:           8
        .value_kind:     global_buffer
      - .address_space:  global
        .offset:         16
        .size:           8
        .value_kind:     global_buffer
      - .address_space:  global
        .offset:         24
        .size:           8
        .value_kind:     global_buffer
      - .address_space:  global
        .offset:         32
        .size:           8
        .value_kind:     global_buffer
      - .address_space:  global
        .offset:         40
        .size:           8
        .value_kind:     global_buffer
      - .address_space:  global
        .offset:         48
        .size:           8
        .value_kind:     global_buffer
      - .offset:         56
        .size:           4
        .value_kind:     hidden_block_count_x
      - .offset:         60
        .size:           4
        .value_kind:     hidden_block_count_y
      - .offset:         64
        .size:           4
        .value_kind:     hidden_block_count_z
      - .offset:         68
        .size:           2
        .value_kind:     hidden_group_size_x
      - .offset:         70
        .size:           2
        .value_kind:     hidden_group_size_y
      - .offset:         72
        .size:           2
        .value_kind:     hidden_group_size_z
      - .offset:         74
        .size:           2
        .value_kind:     hidden_remainder_x
      - .offset:         76
        .size:           2
        .value_kind:     hidden_remainder_y
      - .offset:         78
        .size:           2
        .value_kind:     hidden_remainder_z
      - .offset:         96
        .size:           8
        .value_kind:     hidden_global_offset_x
      - .offset:         104
        .size:           8
        .value_kind:     hidden_global_offset_y
      - .offset:         112
        .size:           8
        .value_kind:     hidden_global_offset_z
      - .offset:         120
        .size:           2
        .value_kind:     hidden_grid_dims
    .group_segment_fixed_size: 0
    .kernarg_segment_align: 8
    .kernarg_segment_size: 312
    .language:       OpenCL C
    .language_version:
      - 2
      - 0
    .max_flat_workgroup_size: 1024
    .name:           _ZN2at6native12_GLOBAL__N_126LayerNormForwardCUDAKernelIffLb1EEEvlPKT_PKT0_S8_S5_S5_PS3_
    .private_segment_fixed_size: 0
    .sgpr_count:     25
    .sgpr_spill_count: 0
    .symbol:         _ZN2at6native12_GLOBAL__N_126LayerNormForwardCUDAKernelIffLb1EEEvlPKT_PKT0_S8_S5_S5_PS3_.kd
    .uniform_work_group_size: 1
    .uses_dynamic_stack: false
    .vgpr_count:     14
    .vgpr_spill_count: 0
    .wavefront_size: 64
  - .agpr_count:     0
    .args:
      - .offset:         0
        .size:           4
        .value_kind:     by_value
      - .offset:         4
        .size:           4
        .value_kind:     by_value
      - .actual_access:  read_only
        .address_space:  global
        .offset:         8
        .size:           8
        .value_kind:     global_buffer
      - .address_space:  global
        .offset:         16
        .size:           8
        .value_kind:     global_buffer
      - .address_space:  global
        .offset:         24
        .size:           8
        .value_kind:     global_buffer
      - .address_space:  global
        .offset:         32
        .size:           8
        .value_kind:     global_buffer
      - .address_space:  global
        .offset:         40
        .size:           8
        .value_kind:     global_buffer
      - .address_space:  global
        .offset:         48
        .size:           8
        .value_kind:     global_buffer
      - .offset:         56
        .size:           4
        .value_kind:     hidden_block_count_x
      - .offset:         60
        .size:           4
        .value_kind:     hidden_block_count_y
      - .offset:         64
        .size:           4
        .value_kind:     hidden_block_count_z
      - .offset:         68
        .size:           2
        .value_kind:     hidden_group_size_x
      - .offset:         70
        .size:           2
        .value_kind:     hidden_group_size_y
      - .offset:         72
        .size:           2
        .value_kind:     hidden_group_size_z
      - .offset:         74
        .size:           2
        .value_kind:     hidden_remainder_x
      - .offset:         76
        .size:           2
        .value_kind:     hidden_remainder_y
      - .offset:         78
        .size:           2
        .value_kind:     hidden_remainder_z
      - .offset:         96
        .size:           8
        .value_kind:     hidden_global_offset_x
      - .offset:         104
        .size:           8
        .value_kind:     hidden_global_offset_y
      - .offset:         112
        .size:           8
        .value_kind:     hidden_global_offset_z
      - .offset:         120
        .size:           2
        .value_kind:     hidden_grid_dims
      - .offset:         176
        .size:           4
        .value_kind:     hidden_dynamic_lds_size
    .group_segment_fixed_size: 0
    .kernarg_segment_align: 8
    .kernarg_segment_size: 312
    .language:       OpenCL C
    .language_version:
      - 2
      - 0
    .max_flat_workgroup_size: 1024
    .name:           _ZN2at6native12_GLOBAL__N_128vectorized_layer_norm_kernelIN3c104HalfEfLb1EEEviT0_PKT_S8_S8_PS5_S9_PS6_
    .private_segment_fixed_size: 0
    .sgpr_count:     32
    .sgpr_spill_count: 0
    .symbol:         _ZN2at6native12_GLOBAL__N_128vectorized_layer_norm_kernelIN3c104HalfEfLb1EEEviT0_PKT_S8_S8_PS5_S9_PS6_.kd
    .uniform_work_group_size: 1
    .uses_dynamic_stack: false
    .vgpr_count:     26
    .vgpr_spill_count: 0
    .wavefront_size: 64
  - .agpr_count:     0
    .args:
      - .offset:         0
        .size:           8
        .value_kind:     by_value
      - .offset:         8
        .size:           4
        .value_kind:     by_value
      - .address_space:  global
        .offset:         16
        .size:           8
        .value_kind:     global_buffer
      - .address_space:  global
        .offset:         24
        .size:           8
        .value_kind:     global_buffer
      - .address_space:  global
        .offset:         32
        .size:           8
        .value_kind:     global_buffer
      - .offset:         40
        .size:           4
        .value_kind:     hidden_block_count_x
      - .offset:         44
        .size:           4
        .value_kind:     hidden_block_count_y
      - .offset:         48
        .size:           4
        .value_kind:     hidden_block_count_z
      - .offset:         52
        .size:           2
        .value_kind:     hidden_group_size_x
      - .offset:         54
        .size:           2
        .value_kind:     hidden_group_size_y
      - .offset:         56
        .size:           2
        .value_kind:     hidden_group_size_z
      - .offset:         58
        .size:           2
        .value_kind:     hidden_remainder_x
      - .offset:         60
        .size:           2
        .value_kind:     hidden_remainder_y
      - .offset:         62
        .size:           2
        .value_kind:     hidden_remainder_z
      - .offset:         80
        .size:           8
        .value_kind:     hidden_global_offset_x
      - .offset:         88
        .size:           8
        .value_kind:     hidden_global_offset_y
      - .offset:         96
        .size:           8
        .value_kind:     hidden_global_offset_z
      - .offset:         104
        .size:           2
        .value_kind:     hidden_grid_dims
    .group_segment_fixed_size: 1536
    .kernarg_segment_align: 8
    .kernarg_segment_size: 296
    .language:       OpenCL C
    .language_version:
      - 2
      - 0
    .max_flat_workgroup_size: 1024
    .name:           _ZN2at6native12_GLOBAL__N_124RowwiseMomentsCUDAKernelIN3c104HalfEfLb1EEEvlT0_PKT_PS5_S9_
    .private_segment_fixed_size: 0
    .sgpr_count:     21
    .sgpr_spill_count: 0
    .symbol:         _ZN2at6native12_GLOBAL__N_124RowwiseMomentsCUDAKernelIN3c104HalfEfLb1EEEvlT0_PKT_PS5_S9_.kd
    .uniform_work_group_size: 1
    .uses_dynamic_stack: false
    .vgpr_count:     21
    .vgpr_spill_count: 0
    .wavefront_size: 64
  - .agpr_count:     0
    .args:
      - .offset:         0
        .size:           8
        .value_kind:     by_value
      - .address_space:  global
        .offset:         8
        .size:           8
        .value_kind:     global_buffer
      - .address_space:  global
        .offset:         16
        .size:           8
        .value_kind:     global_buffer
      - .address_space:  global
        .offset:         24
        .size:           8
        .value_kind:     global_buffer
      - .address_space:  global
        .offset:         32
        .size:           8
        .value_kind:     global_buffer
      - .address_space:  global
        .offset:         40
        .size:           8
        .value_kind:     global_buffer
      - .address_space:  global
        .offset:         48
        .size:           8
        .value_kind:     global_buffer
      - .offset:         56
        .size:           4
        .value_kind:     hidden_block_count_x
      - .offset:         60
        .size:           4
        .value_kind:     hidden_block_count_y
      - .offset:         64
        .size:           4
        .value_kind:     hidden_block_count_z
      - .offset:         68
        .size:           2
        .value_kind:     hidden_group_size_x
      - .offset:         70
        .size:           2
        .value_kind:     hidden_group_size_y
      - .offset:         72
        .size:           2
        .value_kind:     hidden_group_size_z
      - .offset:         74
        .size:           2
        .value_kind:     hidden_remainder_x
      - .offset:         76
        .size:           2
        .value_kind:     hidden_remainder_y
      - .offset:         78
        .size:           2
        .value_kind:     hidden_remainder_z
      - .offset:         96
        .size:           8
        .value_kind:     hidden_global_offset_x
      - .offset:         104
        .size:           8
        .value_kind:     hidden_global_offset_y
      - .offset:         112
        .size:           8
        .value_kind:     hidden_global_offset_z
      - .offset:         120
        .size:           2
        .value_kind:     hidden_grid_dims
    .group_segment_fixed_size: 0
    .kernarg_segment_align: 8
    .kernarg_segment_size: 312
    .language:       OpenCL C
    .language_version:
      - 2
      - 0
    .max_flat_workgroup_size: 1024
    .name:           _ZN2at6native12_GLOBAL__N_126LayerNormForwardCUDAKernelIN3c104HalfEfLb1EEEvlPKT_PKT0_SA_S7_S7_PS5_
    .private_segment_fixed_size: 0
    .sgpr_count:     24
    .sgpr_spill_count: 0
    .symbol:         _ZN2at6native12_GLOBAL__N_126LayerNormForwardCUDAKernelIN3c104HalfEfLb1EEEvlPKT_PKT0_SA_S7_S7_PS5_.kd
    .uniform_work_group_size: 1
    .uses_dynamic_stack: false
    .vgpr_count:     12
    .vgpr_spill_count: 0
    .wavefront_size: 64
  - .agpr_count:     0
    .args:
      - .offset:         0
        .size:           4
        .value_kind:     by_value
      - .offset:         4
        .size:           4
        .value_kind:     by_value
      - .actual_access:  read_only
        .address_space:  global
        .offset:         8
        .size:           8
        .value_kind:     global_buffer
      - .address_space:  global
        .offset:         16
        .size:           8
        .value_kind:     global_buffer
      - .address_space:  global
        .offset:         24
        .size:           8
        .value_kind:     global_buffer
      - .address_space:  global
        .offset:         32
        .size:           8
        .value_kind:     global_buffer
      - .address_space:  global
        .offset:         40
        .size:           8
        .value_kind:     global_buffer
      - .address_space:  global
        .offset:         48
        .size:           8
        .value_kind:     global_buffer
      - .offset:         56
        .size:           4
        .value_kind:     hidden_block_count_x
      - .offset:         60
        .size:           4
        .value_kind:     hidden_block_count_y
      - .offset:         64
        .size:           4
        .value_kind:     hidden_block_count_z
      - .offset:         68
        .size:           2
        .value_kind:     hidden_group_size_x
      - .offset:         70
        .size:           2
        .value_kind:     hidden_group_size_y
      - .offset:         72
        .size:           2
        .value_kind:     hidden_group_size_z
      - .offset:         74
        .size:           2
        .value_kind:     hidden_remainder_x
      - .offset:         76
        .size:           2
        .value_kind:     hidden_remainder_y
      - .offset:         78
        .size:           2
        .value_kind:     hidden_remainder_z
      - .offset:         96
        .size:           8
        .value_kind:     hidden_global_offset_x
      - .offset:         104
        .size:           8
        .value_kind:     hidden_global_offset_y
      - .offset:         112
        .size:           8
        .value_kind:     hidden_global_offset_z
      - .offset:         120
        .size:           2
        .value_kind:     hidden_grid_dims
      - .offset:         176
        .size:           4
        .value_kind:     hidden_dynamic_lds_size
    .group_segment_fixed_size: 0
    .kernarg_segment_align: 8
    .kernarg_segment_size: 312
    .language:       OpenCL C
    .language_version:
      - 2
      - 0
    .max_flat_workgroup_size: 1024
    .name:           _ZN2at6native12_GLOBAL__N_128vectorized_layer_norm_kernelIN3c108BFloat16EfLb1EEEviT0_PKT_S8_S8_PS5_S9_PS6_
    .private_segment_fixed_size: 0
    .sgpr_count:     33
    .sgpr_spill_count: 0
    .symbol:         _ZN2at6native12_GLOBAL__N_128vectorized_layer_norm_kernelIN3c108BFloat16EfLb1EEEviT0_PKT_S8_S8_PS5_S9_PS6_.kd
    .uniform_work_group_size: 1
    .uses_dynamic_stack: false
    .vgpr_count:     23
    .vgpr_spill_count: 0
    .wavefront_size: 64
  - .agpr_count:     0
    .args:
      - .offset:         0
        .size:           8
        .value_kind:     by_value
      - .offset:         8
        .size:           4
        .value_kind:     by_value
      - .address_space:  global
        .offset:         16
        .size:           8
        .value_kind:     global_buffer
      - .address_space:  global
        .offset:         24
        .size:           8
        .value_kind:     global_buffer
      - .address_space:  global
        .offset:         32
        .size:           8
        .value_kind:     global_buffer
      - .offset:         40
        .size:           4
        .value_kind:     hidden_block_count_x
      - .offset:         44
        .size:           4
        .value_kind:     hidden_block_count_y
      - .offset:         48
        .size:           4
        .value_kind:     hidden_block_count_z
      - .offset:         52
        .size:           2
        .value_kind:     hidden_group_size_x
      - .offset:         54
        .size:           2
        .value_kind:     hidden_group_size_y
      - .offset:         56
        .size:           2
        .value_kind:     hidden_group_size_z
      - .offset:         58
        .size:           2
        .value_kind:     hidden_remainder_x
      - .offset:         60
        .size:           2
        .value_kind:     hidden_remainder_y
      - .offset:         62
        .size:           2
        .value_kind:     hidden_remainder_z
      - .offset:         80
        .size:           8
        .value_kind:     hidden_global_offset_x
      - .offset:         88
        .size:           8
        .value_kind:     hidden_global_offset_y
      - .offset:         96
        .size:           8
        .value_kind:     hidden_global_offset_z
      - .offset:         104
        .size:           2
        .value_kind:     hidden_grid_dims
    .group_segment_fixed_size: 1536
    .kernarg_segment_align: 8
    .kernarg_segment_size: 296
    .language:       OpenCL C
    .language_version:
      - 2
      - 0
    .max_flat_workgroup_size: 1024
    .name:           _ZN2at6native12_GLOBAL__N_124RowwiseMomentsCUDAKernelIN3c108BFloat16EfLb1EEEvlT0_PKT_PS5_S9_
    .private_segment_fixed_size: 0
    .sgpr_count:     21
    .sgpr_spill_count: 0
    .symbol:         _ZN2at6native12_GLOBAL__N_124RowwiseMomentsCUDAKernelIN3c108BFloat16EfLb1EEEvlT0_PKT_PS5_S9_.kd
    .uniform_work_group_size: 1
    .uses_dynamic_stack: false
    .vgpr_count:     21
    .vgpr_spill_count: 0
    .wavefront_size: 64
  - .agpr_count:     0
    .args:
      - .offset:         0
        .size:           8
        .value_kind:     by_value
      - .address_space:  global
        .offset:         8
        .size:           8
        .value_kind:     global_buffer
      - .address_space:  global
        .offset:         16
        .size:           8
        .value_kind:     global_buffer
      - .address_space:  global
        .offset:         24
        .size:           8
        .value_kind:     global_buffer
      - .address_space:  global
        .offset:         32
        .size:           8
        .value_kind:     global_buffer
      - .address_space:  global
        .offset:         40
        .size:           8
        .value_kind:     global_buffer
      - .address_space:  global
        .offset:         48
        .size:           8
        .value_kind:     global_buffer
      - .offset:         56
        .size:           4
        .value_kind:     hidden_block_count_x
      - .offset:         60
        .size:           4
        .value_kind:     hidden_block_count_y
      - .offset:         64
        .size:           4
        .value_kind:     hidden_block_count_z
      - .offset:         68
        .size:           2
        .value_kind:     hidden_group_size_x
      - .offset:         70
        .size:           2
        .value_kind:     hidden_group_size_y
      - .offset:         72
        .size:           2
        .value_kind:     hidden_group_size_z
      - .offset:         74
        .size:           2
        .value_kind:     hidden_remainder_x
      - .offset:         76
        .size:           2
        .value_kind:     hidden_remainder_y
      - .offset:         78
        .size:           2
        .value_kind:     hidden_remainder_z
      - .offset:         96
        .size:           8
        .value_kind:     hidden_global_offset_x
      - .offset:         104
        .size:           8
        .value_kind:     hidden_global_offset_y
      - .offset:         112
        .size:           8
        .value_kind:     hidden_global_offset_z
      - .offset:         120
        .size:           2
        .value_kind:     hidden_grid_dims
    .group_segment_fixed_size: 0
    .kernarg_segment_align: 8
    .kernarg_segment_size: 312
    .language:       OpenCL C
    .language_version:
      - 2
      - 0
    .max_flat_workgroup_size: 1024
    .name:           _ZN2at6native12_GLOBAL__N_126LayerNormForwardCUDAKernelIN3c108BFloat16EfLb1EEEvlPKT_PKT0_SA_S7_S7_PS5_
    .private_segment_fixed_size: 0
    .sgpr_count:     24
    .sgpr_spill_count: 0
    .symbol:         _ZN2at6native12_GLOBAL__N_126LayerNormForwardCUDAKernelIN3c108BFloat16EfLb1EEEvlPKT_PKT0_SA_S7_S7_PS5_.kd
    .uniform_work_group_size: 1
    .uses_dynamic_stack: false
    .vgpr_count:     13
    .vgpr_spill_count: 0
    .wavefront_size: 64
  - .agpr_count:     0
    .args:
      - .actual_access:  read_only
        .address_space:  global
        .offset:         0
        .size:           8
        .value_kind:     global_buffer
      - .actual_access:  read_only
        .address_space:  global
        .offset:         8
        .size:           8
        .value_kind:     global_buffer
      - .offset:         16
        .size:           8
        .value_kind:     by_value
      - .offset:         24
        .size:           8
        .value_kind:     by_value
      - .actual_access:  read_only
        .address_space:  global
        .offset:         32
        .size:           8
        .value_kind:     global_buffer
      - .actual_access:  read_only
        .address_space:  global
        .offset:         40
        .size:           8
        .value_kind:     global_buffer
      - .address_space:  global
        .offset:         48
        .size:           8
        .value_kind:     global_buffer
      - .address_space:  global
        .offset:         56
        .size:           8
        .value_kind:     global_buffer
      - .offset:         64
        .size:           4
        .value_kind:     hidden_block_count_x
      - .offset:         68
        .size:           4
        .value_kind:     hidden_block_count_y
      - .offset:         72
        .size:           4
        .value_kind:     hidden_block_count_z
      - .offset:         76
        .size:           2
        .value_kind:     hidden_group_size_x
      - .offset:         78
        .size:           2
        .value_kind:     hidden_group_size_y
      - .offset:         80
        .size:           2
        .value_kind:     hidden_group_size_z
      - .offset:         82
        .size:           2
        .value_kind:     hidden_remainder_x
      - .offset:         84
        .size:           2
        .value_kind:     hidden_remainder_y
      - .offset:         86
        .size:           2
        .value_kind:     hidden_remainder_z
      - .offset:         104
        .size:           8
        .value_kind:     hidden_global_offset_x
      - .offset:         112
        .size:           8
        .value_kind:     hidden_global_offset_y
      - .offset:         120
        .size:           8
        .value_kind:     hidden_global_offset_z
      - .offset:         128
        .size:           2
        .value_kind:     hidden_grid_dims
      - .offset:         184
        .size:           4
        .value_kind:     hidden_dynamic_lds_size
    .group_segment_fixed_size: 0
    .kernarg_segment_align: 8
    .kernarg_segment_size: 320
    .language:       OpenCL C
    .language_version:
      - 2
      - 0
    .max_flat_workgroup_size: 1024
    .name:           _ZN2at6native12_GLOBAL__N_118cuComputeGradInputIddLb0EEEvPKT_S5_llPKT0_S8_S5_PS3_
    .private_segment_fixed_size: 0
    .sgpr_count:     59
    .sgpr_spill_count: 0
    .symbol:         _ZN2at6native12_GLOBAL__N_118cuComputeGradInputIddLb0EEEvPKT_S5_llPKT0_S8_S5_PS3_.kd
    .uniform_work_group_size: 1
    .uses_dynamic_stack: false
    .vgpr_count:     33
    .vgpr_spill_count: 0
    .wavefront_size: 64
  - .agpr_count:     0
    .args:
      - .actual_access:  read_only
        .address_space:  global
        .offset:         0
        .size:           8
        .value_kind:     global_buffer
      - .actual_access:  read_only
        .address_space:  global
        .offset:         8
        .size:           8
        .value_kind:     global_buffer
      - .actual_access:  read_only
        .address_space:  global
        .offset:         16
        .size:           8
        .value_kind:     global_buffer
      - .actual_access:  read_only
        .address_space:  global
        .offset:         24
        .size:           8
        .value_kind:     global_buffer
      - .actual_access:  read_only
        .address_space:  global
        .offset:         32
        .size:           8
        .value_kind:     global_buffer
      - .address_space:  global
        .offset:         40
        .size:           8
        .value_kind:     global_buffer
      - .offset:         48
        .size:           4
        .value_kind:     by_value
      - .offset:         56
        .size:           4
        .value_kind:     hidden_block_count_x
      - .offset:         60
        .size:           4
        .value_kind:     hidden_block_count_y
      - .offset:         64
        .size:           4
        .value_kind:     hidden_block_count_z
      - .offset:         68
        .size:           2
        .value_kind:     hidden_group_size_x
      - .offset:         70
        .size:           2
        .value_kind:     hidden_group_size_y
      - .offset:         72
        .size:           2
        .value_kind:     hidden_group_size_z
      - .offset:         74
        .size:           2
        .value_kind:     hidden_remainder_x
      - .offset:         76
        .size:           2
        .value_kind:     hidden_remainder_y
      - .offset:         78
        .size:           2
        .value_kind:     hidden_remainder_z
      - .offset:         96
        .size:           8
        .value_kind:     hidden_global_offset_x
      - .offset:         104
        .size:           8
        .value_kind:     hidden_global_offset_y
      - .offset:         112
        .size:           8
        .value_kind:     hidden_global_offset_z
      - .offset:         120
        .size:           2
        .value_kind:     hidden_grid_dims
      - .offset:         176
        .size:           4
        .value_kind:     hidden_dynamic_lds_size
    .group_segment_fixed_size: 0
    .kernarg_segment_align: 8
    .kernarg_segment_size: 312
    .language:       OpenCL C
    .language_version:
      - 2
      - 0
    .max_flat_workgroup_size: 1024
    .name:           _ZN2at6native12_GLOBAL__N_128layer_norm_grad_input_kernelIddLb0EEEvPKT_S5_PKT0_S8_S5_PS3_i
    .private_segment_fixed_size: 0
    .sgpr_count:     39
    .sgpr_spill_count: 0
    .symbol:         _ZN2at6native12_GLOBAL__N_128layer_norm_grad_input_kernelIddLb0EEEvPKT_S5_PKT0_S8_S5_PS3_i.kd
    .uniform_work_group_size: 1
    .uses_dynamic_stack: false
    .vgpr_count:     38
    .vgpr_spill_count: 0
    .wavefront_size: 64
  - .agpr_count:     0
    .args:
      - .offset:         0
        .size:           8
        .value_kind:     by_value
      - .offset:         8
        .size:           8
        .value_kind:     by_value
      - .address_space:  global
        .offset:         16
        .size:           8
        .value_kind:     global_buffer
      - .address_space:  global
        .offset:         24
        .size:           8
        .value_kind:     global_buffer
      - .address_space:  global
        .offset:         32
        .size:           8
        .value_kind:     global_buffer
      - .address_space:  global
        .offset:         40
        .size:           8
        .value_kind:     global_buffer
      - .address_space:  global
        .offset:         48
        .size:           8
        .value_kind:     global_buffer
      - .address_space:  global
        .offset:         56
        .size:           8
        .value_kind:     global_buffer
      - .offset:         64
        .size:           4
        .value_kind:     hidden_block_count_x
      - .offset:         68
        .size:           4
        .value_kind:     hidden_block_count_y
      - .offset:         72
        .size:           4
        .value_kind:     hidden_block_count_z
      - .offset:         76
        .size:           2
        .value_kind:     hidden_group_size_x
      - .offset:         78
        .size:           2
        .value_kind:     hidden_group_size_y
      - .offset:         80
        .size:           2
        .value_kind:     hidden_group_size_z
      - .offset:         82
        .size:           2
        .value_kind:     hidden_remainder_x
      - .offset:         84
        .size:           2
        .value_kind:     hidden_remainder_y
      - .offset:         86
        .size:           2
        .value_kind:     hidden_remainder_z
      - .offset:         104
        .size:           8
        .value_kind:     hidden_global_offset_x
      - .offset:         112
        .size:           8
        .value_kind:     hidden_global_offset_y
      - .offset:         120
        .size:           8
        .value_kind:     hidden_global_offset_z
      - .offset:         128
        .size:           2
        .value_kind:     hidden_grid_dims
    .group_segment_fixed_size: 0
    .kernarg_segment_align: 8
    .kernarg_segment_size: 320
    .language:       OpenCL C
    .language_version:
      - 2
      - 0
    .max_flat_workgroup_size: 1024
    .name:           _ZN2at6native12_GLOBAL__N_133GammaBetaBackwardSimpleCUDAKernelIddLb0EEEvllPKT_S5_PKT0_S8_PS3_S9_
    .private_segment_fixed_size: 0
    .sgpr_count:     28
    .sgpr_spill_count: 0
    .symbol:         _ZN2at6native12_GLOBAL__N_133GammaBetaBackwardSimpleCUDAKernelIddLb0EEEvllPKT_S5_PKT0_S8_PS3_S9_.kd
    .uniform_work_group_size: 1
    .uses_dynamic_stack: false
    .vgpr_count:     20
    .vgpr_spill_count: 0
    .wavefront_size: 64
  - .agpr_count:     0
    .args:
      - .offset:         0
        .size:           8
        .value_kind:     by_value
      - .offset:         8
        .size:           8
        .value_kind:     by_value
      - .actual_access:  read_only
        .address_space:  global
        .offset:         16
        .size:           8
        .value_kind:     global_buffer
      - .actual_access:  read_only
        .address_space:  global
        .offset:         24
        .size:           8
        .value_kind:     global_buffer
      - .actual_access:  read_only
        .address_space:  global
        .offset:         32
        .size:           8
        .value_kind:     global_buffer
      - .actual_access:  read_only
        .address_space:  global
        .offset:         40
        .size:           8
        .value_kind:     global_buffer
      - .actual_access:  write_only
        .address_space:  global
        .offset:         48
        .size:           8
        .value_kind:     global_buffer
      - .actual_access:  write_only
        .address_space:  global
        .offset:         56
        .size:           8
        .value_kind:     global_buffer
      - .offset:         64
        .size:           4
        .value_kind:     hidden_block_count_x
      - .offset:         68
        .size:           4
        .value_kind:     hidden_block_count_y
      - .offset:         72
        .size:           4
        .value_kind:     hidden_block_count_z
      - .offset:         76
        .size:           2
        .value_kind:     hidden_group_size_x
      - .offset:         78
        .size:           2
        .value_kind:     hidden_group_size_y
      - .offset:         80
        .size:           2
        .value_kind:     hidden_group_size_z
      - .offset:         82
        .size:           2
        .value_kind:     hidden_remainder_x
      - .offset:         84
        .size:           2
        .value_kind:     hidden_remainder_y
      - .offset:         86
        .size:           2
        .value_kind:     hidden_remainder_z
      - .offset:         104
        .size:           8
        .value_kind:     hidden_global_offset_x
      - .offset:         112
        .size:           8
        .value_kind:     hidden_global_offset_y
      - .offset:         120
        .size:           8
        .value_kind:     hidden_global_offset_z
      - .offset:         128
        .size:           2
        .value_kind:     hidden_grid_dims
    .group_segment_fixed_size: 0
    .kernarg_segment_align: 8
    .kernarg_segment_size: 320
    .language:       OpenCL C
    .language_version:
      - 2
      - 0
    .max_flat_workgroup_size: 64
    .name:           _ZN2at6native12_GLOBAL__N_135GammaBetaBackwardCUDAKernelTemplateIddLj64ELj1ELj32ELb1ELb1ELb0EEEvllPKT_S5_PKT0_S8_PS3_S9_
    .private_segment_fixed_size: 0
    .sgpr_count:     44
    .sgpr_spill_count: 0
    .symbol:         _ZN2at6native12_GLOBAL__N_135GammaBetaBackwardCUDAKernelTemplateIddLj64ELj1ELj32ELb1ELb1ELb0EEEvllPKT_S5_PKT0_S8_PS3_S9_.kd
    .uniform_work_group_size: 1
    .uses_dynamic_stack: false
    .vgpr_count:     128
    .vgpr_spill_count: 0
    .wavefront_size: 64
  - .agpr_count:     148
    .args:
      - .offset:         0
        .size:           8
        .value_kind:     by_value
      - .offset:         8
        .size:           8
        .value_kind:     by_value
      - .actual_access:  read_only
        .address_space:  global
        .offset:         16
        .size:           8
        .value_kind:     global_buffer
      - .actual_access:  read_only
        .address_space:  global
        .offset:         24
        .size:           8
        .value_kind:     global_buffer
      - .actual_access:  read_only
        .address_space:  global
        .offset:         32
        .size:           8
        .value_kind:     global_buffer
      - .actual_access:  read_only
        .address_space:  global
        .offset:         40
        .size:           8
        .value_kind:     global_buffer
      - .actual_access:  write_only
        .address_space:  global
        .offset:         48
        .size:           8
        .value_kind:     global_buffer
      - .actual_access:  write_only
        .address_space:  global
        .offset:         56
        .size:           8
        .value_kind:     global_buffer
      - .offset:         64
        .size:           4
        .value_kind:     hidden_block_count_x
      - .offset:         68
        .size:           4
        .value_kind:     hidden_block_count_y
      - .offset:         72
        .size:           4
        .value_kind:     hidden_block_count_z
      - .offset:         76
        .size:           2
        .value_kind:     hidden_group_size_x
      - .offset:         78
        .size:           2
        .value_kind:     hidden_group_size_y
      - .offset:         80
        .size:           2
        .value_kind:     hidden_group_size_z
      - .offset:         82
        .size:           2
        .value_kind:     hidden_remainder_x
      - .offset:         84
        .size:           2
        .value_kind:     hidden_remainder_y
      - .offset:         86
        .size:           2
        .value_kind:     hidden_remainder_z
      - .offset:         104
        .size:           8
        .value_kind:     hidden_global_offset_x
      - .offset:         112
        .size:           8
        .value_kind:     hidden_global_offset_y
      - .offset:         120
        .size:           8
        .value_kind:     hidden_global_offset_z
      - .offset:         128
        .size:           2
        .value_kind:     hidden_grid_dims
    .group_segment_fixed_size: 0
    .kernarg_segment_align: 8
    .kernarg_segment_size: 320
    .language:       OpenCL C
    .language_version:
      - 2
      - 0
    .max_flat_workgroup_size: 64
    .name:           _ZN2at6native12_GLOBAL__N_135GammaBetaBackwardCUDAKernelTemplateIddLj64ELj1ELj32ELb1ELb0ELb0EEEvllPKT_S5_PKT0_S8_PS3_S9_
    .private_segment_fixed_size: 0
    .sgpr_count:     46
    .sgpr_spill_count: 0
    .symbol:         _ZN2at6native12_GLOBAL__N_135GammaBetaBackwardCUDAKernelTemplateIddLj64ELj1ELj32ELb1ELb0ELb0EEEvllPKT_S5_PKT0_S8_PS3_S9_.kd
    .uniform_work_group_size: 1
    .uses_dynamic_stack: false
    .vgpr_count:     404
    .vgpr_spill_count: 0
    .wavefront_size: 64
  - .agpr_count:     0
    .args:
      - .offset:         0
        .size:           8
        .value_kind:     by_value
      - .offset:         8
        .size:           8
        .value_kind:     by_value
      - .actual_access:  read_only
        .address_space:  global
        .offset:         16
        .size:           8
        .value_kind:     global_buffer
      - .actual_access:  read_only
        .address_space:  global
        .offset:         24
        .size:           8
        .value_kind:     global_buffer
      - .actual_access:  read_only
        .address_space:  global
        .offset:         32
        .size:           8
        .value_kind:     global_buffer
      - .actual_access:  read_only
        .address_space:  global
        .offset:         40
        .size:           8
        .value_kind:     global_buffer
      - .actual_access:  write_only
        .address_space:  global
        .offset:         48
        .size:           8
        .value_kind:     global_buffer
      - .actual_access:  write_only
        .address_space:  global
        .offset:         56
        .size:           8
        .value_kind:     global_buffer
      - .offset:         64
        .size:           4
        .value_kind:     hidden_block_count_x
      - .offset:         68
        .size:           4
        .value_kind:     hidden_block_count_y
      - .offset:         72
        .size:           4
        .value_kind:     hidden_block_count_z
      - .offset:         76
        .size:           2
        .value_kind:     hidden_group_size_x
      - .offset:         78
        .size:           2
        .value_kind:     hidden_group_size_y
      - .offset:         80
        .size:           2
        .value_kind:     hidden_group_size_z
      - .offset:         82
        .size:           2
        .value_kind:     hidden_remainder_x
      - .offset:         84
        .size:           2
        .value_kind:     hidden_remainder_y
      - .offset:         86
        .size:           2
        .value_kind:     hidden_remainder_z
      - .offset:         104
        .size:           8
        .value_kind:     hidden_global_offset_x
      - .offset:         112
        .size:           8
        .value_kind:     hidden_global_offset_y
      - .offset:         120
        .size:           8
        .value_kind:     hidden_global_offset_z
      - .offset:         128
        .size:           2
        .value_kind:     hidden_grid_dims
    .group_segment_fixed_size: 0
    .kernarg_segment_align: 8
    .kernarg_segment_size: 320
    .language:       OpenCL C
    .language_version:
      - 2
      - 0
    .max_flat_workgroup_size: 64
    .name:           _ZN2at6native12_GLOBAL__N_135GammaBetaBackwardCUDAKernelTemplateIddLj64ELj1ELj8ELb1ELb1ELb0EEEvllPKT_S5_PKT0_S8_PS3_S9_
    .private_segment_fixed_size: 0
    .sgpr_count:     44
    .sgpr_spill_count: 0
    .symbol:         _ZN2at6native12_GLOBAL__N_135GammaBetaBackwardCUDAKernelTemplateIddLj64ELj1ELj8ELb1ELb1ELb0EEEvllPKT_S5_PKT0_S8_PS3_S9_.kd
    .uniform_work_group_size: 1
    .uses_dynamic_stack: false
    .vgpr_count:     64
    .vgpr_spill_count: 0
    .wavefront_size: 64
  - .agpr_count:     0
    .args:
      - .offset:         0
        .size:           8
        .value_kind:     by_value
      - .offset:         8
        .size:           8
        .value_kind:     by_value
      - .actual_access:  read_only
        .address_space:  global
        .offset:         16
        .size:           8
        .value_kind:     global_buffer
      - .actual_access:  read_only
        .address_space:  global
        .offset:         24
        .size:           8
        .value_kind:     global_buffer
      - .actual_access:  read_only
        .address_space:  global
        .offset:         32
        .size:           8
        .value_kind:     global_buffer
      - .actual_access:  read_only
        .address_space:  global
        .offset:         40
        .size:           8
        .value_kind:     global_buffer
      - .actual_access:  write_only
        .address_space:  global
        .offset:         48
        .size:           8
        .value_kind:     global_buffer
      - .actual_access:  write_only
        .address_space:  global
        .offset:         56
        .size:           8
        .value_kind:     global_buffer
      - .offset:         64
        .size:           4
        .value_kind:     hidden_block_count_x
      - .offset:         68
        .size:           4
        .value_kind:     hidden_block_count_y
      - .offset:         72
        .size:           4
        .value_kind:     hidden_block_count_z
      - .offset:         76
        .size:           2
        .value_kind:     hidden_group_size_x
      - .offset:         78
        .size:           2
        .value_kind:     hidden_group_size_y
      - .offset:         80
        .size:           2
        .value_kind:     hidden_group_size_z
      - .offset:         82
        .size:           2
        .value_kind:     hidden_remainder_x
      - .offset:         84
        .size:           2
        .value_kind:     hidden_remainder_y
      - .offset:         86
        .size:           2
        .value_kind:     hidden_remainder_z
      - .offset:         104
        .size:           8
        .value_kind:     hidden_global_offset_x
      - .offset:         112
        .size:           8
        .value_kind:     hidden_global_offset_y
      - .offset:         120
        .size:           8
        .value_kind:     hidden_global_offset_z
      - .offset:         128
        .size:           2
        .value_kind:     hidden_grid_dims
    .group_segment_fixed_size: 0
    .kernarg_segment_align: 8
    .kernarg_segment_size: 320
    .language:       OpenCL C
    .language_version:
      - 2
      - 0
    .max_flat_workgroup_size: 64
    .name:           _ZN2at6native12_GLOBAL__N_135GammaBetaBackwardCUDAKernelTemplateIddLj64ELj1ELj8ELb1ELb0ELb0EEEvllPKT_S5_PKT0_S8_PS3_S9_
    .private_segment_fixed_size: 0
    .sgpr_count:     60
    .sgpr_spill_count: 0
    .symbol:         _ZN2at6native12_GLOBAL__N_135GammaBetaBackwardCUDAKernelTemplateIddLj64ELj1ELj8ELb1ELb0ELb0EEEvllPKT_S5_PKT0_S8_PS3_S9_.kd
    .uniform_work_group_size: 1
    .uses_dynamic_stack: false
    .vgpr_count:     118
    .vgpr_spill_count: 0
    .wavefront_size: 64
  - .agpr_count:     0
    .args:
      - .offset:         0
        .size:           8
        .value_kind:     by_value
      - .offset:         8
        .size:           8
        .value_kind:     by_value
      - .actual_access:  read_only
        .address_space:  global
        .offset:         16
        .size:           8
        .value_kind:     global_buffer
      - .actual_access:  read_only
        .address_space:  global
        .offset:         24
        .size:           8
        .value_kind:     global_buffer
      - .actual_access:  read_only
        .address_space:  global
        .offset:         32
        .size:           8
        .value_kind:     global_buffer
      - .actual_access:  read_only
        .address_space:  global
        .offset:         40
        .size:           8
        .value_kind:     global_buffer
      - .actual_access:  write_only
        .address_space:  global
        .offset:         48
        .size:           8
        .value_kind:     global_buffer
      - .actual_access:  write_only
        .address_space:  global
        .offset:         56
        .size:           8
        .value_kind:     global_buffer
      - .offset:         64
        .size:           4
        .value_kind:     hidden_block_count_x
      - .offset:         68
        .size:           4
        .value_kind:     hidden_block_count_y
      - .offset:         72
        .size:           4
        .value_kind:     hidden_block_count_z
      - .offset:         76
        .size:           2
        .value_kind:     hidden_group_size_x
      - .offset:         78
        .size:           2
        .value_kind:     hidden_group_size_y
      - .offset:         80
        .size:           2
        .value_kind:     hidden_group_size_z
      - .offset:         82
        .size:           2
        .value_kind:     hidden_remainder_x
      - .offset:         84
        .size:           2
        .value_kind:     hidden_remainder_y
      - .offset:         86
        .size:           2
        .value_kind:     hidden_remainder_z
      - .offset:         104
        .size:           8
        .value_kind:     hidden_global_offset_x
      - .offset:         112
        .size:           8
        .value_kind:     hidden_global_offset_y
      - .offset:         120
        .size:           8
        .value_kind:     hidden_global_offset_z
      - .offset:         128
        .size:           2
        .value_kind:     hidden_grid_dims
      - .offset:         184
        .size:           4
        .value_kind:     hidden_dynamic_lds_size
    .group_segment_fixed_size: 0
    .kernarg_segment_align: 8
    .kernarg_segment_size: 320
    .language:       OpenCL C
    .language_version:
      - 2
      - 0
    .max_flat_workgroup_size: 512
    .name:           _ZN2at6native12_GLOBAL__N_135GammaBetaBackwardCUDAKernelTemplateIddLj64ELj8ELj64ELb0ELb1ELb0EEEvllPKT_S5_PKT0_S8_PS3_S9_
    .private_segment_fixed_size: 0
    .sgpr_count:     36
    .sgpr_spill_count: 0
    .symbol:         _ZN2at6native12_GLOBAL__N_135GammaBetaBackwardCUDAKernelTemplateIddLj64ELj8ELj64ELb0ELb1ELb0EEEvllPKT_S5_PKT0_S8_PS3_S9_.kd
    .uniform_work_group_size: 1
    .uses_dynamic_stack: false
    .vgpr_count:     62
    .vgpr_spill_count: 0
    .wavefront_size: 64
  - .agpr_count:     0
    .args:
      - .offset:         0
        .size:           8
        .value_kind:     by_value
      - .offset:         8
        .size:           8
        .value_kind:     by_value
      - .actual_access:  read_only
        .address_space:  global
        .offset:         16
        .size:           8
        .value_kind:     global_buffer
      - .actual_access:  read_only
        .address_space:  global
        .offset:         24
        .size:           8
        .value_kind:     global_buffer
      - .actual_access:  read_only
        .address_space:  global
        .offset:         32
        .size:           8
        .value_kind:     global_buffer
      - .actual_access:  read_only
        .address_space:  global
        .offset:         40
        .size:           8
        .value_kind:     global_buffer
      - .actual_access:  write_only
        .address_space:  global
        .offset:         48
        .size:           8
        .value_kind:     global_buffer
      - .actual_access:  write_only
        .address_space:  global
        .offset:         56
        .size:           8
        .value_kind:     global_buffer
      - .offset:         64
        .size:           4
        .value_kind:     hidden_block_count_x
      - .offset:         68
        .size:           4
        .value_kind:     hidden_block_count_y
      - .offset:         72
        .size:           4
        .value_kind:     hidden_block_count_z
      - .offset:         76
        .size:           2
        .value_kind:     hidden_group_size_x
      - .offset:         78
        .size:           2
        .value_kind:     hidden_group_size_y
      - .offset:         80
        .size:           2
        .value_kind:     hidden_group_size_z
      - .offset:         82
        .size:           2
        .value_kind:     hidden_remainder_x
      - .offset:         84
        .size:           2
        .value_kind:     hidden_remainder_y
      - .offset:         86
        .size:           2
        .value_kind:     hidden_remainder_z
      - .offset:         104
        .size:           8
        .value_kind:     hidden_global_offset_x
      - .offset:         112
        .size:           8
        .value_kind:     hidden_global_offset_y
      - .offset:         120
        .size:           8
        .value_kind:     hidden_global_offset_z
      - .offset:         128
        .size:           2
        .value_kind:     hidden_grid_dims
      - .offset:         184
        .size:           4
        .value_kind:     hidden_dynamic_lds_size
    .group_segment_fixed_size: 0
    .kernarg_segment_align: 8
    .kernarg_segment_size: 320
    .language:       OpenCL C
    .language_version:
      - 2
      - 0
    .max_flat_workgroup_size: 512
    .name:           _ZN2at6native12_GLOBAL__N_135GammaBetaBackwardCUDAKernelTemplateIddLj64ELj8ELj64ELb0ELb0ELb0EEEvllPKT_S5_PKT0_S8_PS3_S9_
    .private_segment_fixed_size: 0
    .sgpr_count:     58
    .sgpr_spill_count: 0
    .symbol:         _ZN2at6native12_GLOBAL__N_135GammaBetaBackwardCUDAKernelTemplateIddLj64ELj8ELj64ELb0ELb0ELb0EEEvllPKT_S5_PKT0_S8_PS3_S9_.kd
    .uniform_work_group_size: 1
    .uses_dynamic_stack: false
    .vgpr_count:     118
    .vgpr_spill_count: 0
    .wavefront_size: 64
  - .agpr_count:     0
    .args:
      - .offset:         0
        .size:           8
        .value_kind:     by_value
      - .offset:         8
        .size:           8
        .value_kind:     by_value
      - .actual_access:  read_only
        .address_space:  global
        .offset:         16
        .size:           8
        .value_kind:     global_buffer
      - .actual_access:  read_only
        .address_space:  global
        .offset:         24
        .size:           8
        .value_kind:     global_buffer
      - .actual_access:  read_only
        .address_space:  global
        .offset:         32
        .size:           8
        .value_kind:     global_buffer
      - .actual_access:  read_only
        .address_space:  global
        .offset:         40
        .size:           8
        .value_kind:     global_buffer
      - .actual_access:  write_only
        .address_space:  global
        .offset:         48
        .size:           8
        .value_kind:     global_buffer
      - .actual_access:  write_only
        .address_space:  global
        .offset:         56
        .size:           8
        .value_kind:     global_buffer
      - .offset:         64
        .size:           4
        .value_kind:     hidden_block_count_x
      - .offset:         68
        .size:           4
        .value_kind:     hidden_block_count_y
      - .offset:         72
        .size:           4
        .value_kind:     hidden_block_count_z
      - .offset:         76
        .size:           2
        .value_kind:     hidden_group_size_x
      - .offset:         78
        .size:           2
        .value_kind:     hidden_group_size_y
      - .offset:         80
        .size:           2
        .value_kind:     hidden_group_size_z
      - .offset:         82
        .size:           2
        .value_kind:     hidden_remainder_x
      - .offset:         84
        .size:           2
        .value_kind:     hidden_remainder_y
      - .offset:         86
        .size:           2
        .value_kind:     hidden_remainder_z
      - .offset:         104
        .size:           8
        .value_kind:     hidden_global_offset_x
      - .offset:         112
        .size:           8
        .value_kind:     hidden_global_offset_y
      - .offset:         120
        .size:           8
        .value_kind:     hidden_global_offset_z
      - .offset:         128
        .size:           2
        .value_kind:     hidden_grid_dims
      - .offset:         184
        .size:           4
        .value_kind:     hidden_dynamic_lds_size
    .group_segment_fixed_size: 0
    .kernarg_segment_align: 8
    .kernarg_segment_size: 320
    .language:       OpenCL C
    .language_version:
      - 2
      - 0
    .max_flat_workgroup_size: 1024
    .name:           _ZN2at6native12_GLOBAL__N_135GammaBetaBackwardCUDAKernelTemplateIddLj64ELj16ELj128ELb0ELb1ELb0EEEvllPKT_S5_PKT0_S8_PS3_S9_
    .private_segment_fixed_size: 0
    .sgpr_count:     36
    .sgpr_spill_count: 0
    .symbol:         _ZN2at6native12_GLOBAL__N_135GammaBetaBackwardCUDAKernelTemplateIddLj64ELj16ELj128ELb0ELb1ELb0EEEvllPKT_S5_PKT0_S8_PS3_S9_.kd
    .uniform_work_group_size: 1
    .uses_dynamic_stack: false
    .vgpr_count:     62
    .vgpr_spill_count: 0
    .wavefront_size: 64
  - .agpr_count:     0
    .args:
      - .offset:         0
        .size:           8
        .value_kind:     by_value
      - .offset:         8
        .size:           8
        .value_kind:     by_value
      - .actual_access:  read_only
        .address_space:  global
        .offset:         16
        .size:           8
        .value_kind:     global_buffer
      - .actual_access:  read_only
        .address_space:  global
        .offset:         24
        .size:           8
        .value_kind:     global_buffer
      - .actual_access:  read_only
        .address_space:  global
        .offset:         32
        .size:           8
        .value_kind:     global_buffer
      - .actual_access:  read_only
        .address_space:  global
        .offset:         40
        .size:           8
        .value_kind:     global_buffer
      - .actual_access:  write_only
        .address_space:  global
        .offset:         48
        .size:           8
        .value_kind:     global_buffer
      - .actual_access:  write_only
        .address_space:  global
        .offset:         56
        .size:           8
        .value_kind:     global_buffer
      - .offset:         64
        .size:           4
        .value_kind:     hidden_block_count_x
      - .offset:         68
        .size:           4
        .value_kind:     hidden_block_count_y
      - .offset:         72
        .size:           4
        .value_kind:     hidden_block_count_z
      - .offset:         76
        .size:           2
        .value_kind:     hidden_group_size_x
      - .offset:         78
        .size:           2
        .value_kind:     hidden_group_size_y
      - .offset:         80
        .size:           2
        .value_kind:     hidden_group_size_z
      - .offset:         82
        .size:           2
        .value_kind:     hidden_remainder_x
      - .offset:         84
        .size:           2
        .value_kind:     hidden_remainder_y
      - .offset:         86
        .size:           2
        .value_kind:     hidden_remainder_z
      - .offset:         104
        .size:           8
        .value_kind:     hidden_global_offset_x
      - .offset:         112
        .size:           8
        .value_kind:     hidden_global_offset_y
      - .offset:         120
        .size:           8
        .value_kind:     hidden_global_offset_z
      - .offset:         128
        .size:           2
        .value_kind:     hidden_grid_dims
      - .offset:         184
        .size:           4
        .value_kind:     hidden_dynamic_lds_size
    .group_segment_fixed_size: 0
    .kernarg_segment_align: 8
    .kernarg_segment_size: 320
    .language:       OpenCL C
    .language_version:
      - 2
      - 0
    .max_flat_workgroup_size: 1024
    .name:           _ZN2at6native12_GLOBAL__N_135GammaBetaBackwardCUDAKernelTemplateIddLj64ELj16ELj128ELb0ELb0ELb0EEEvllPKT_S5_PKT0_S8_PS3_S9_
    .private_segment_fixed_size: 0
    .sgpr_count:     58
    .sgpr_spill_count: 0
    .symbol:         _ZN2at6native12_GLOBAL__N_135GammaBetaBackwardCUDAKernelTemplateIddLj64ELj16ELj128ELb0ELb0ELb0EEEvllPKT_S5_PKT0_S8_PS3_S9_.kd
    .uniform_work_group_size: 1
    .uses_dynamic_stack: false
    .vgpr_count:     118
    .vgpr_spill_count: 0
    .wavefront_size: 64
  - .agpr_count:     0
    .args:
      - .offset:         0
        .size:           8
        .value_kind:     by_value
      - .offset:         8
        .size:           8
        .value_kind:     by_value
      - .actual_access:  read_only
        .address_space:  global
        .offset:         16
        .size:           8
        .value_kind:     global_buffer
      - .actual_access:  read_only
        .address_space:  global
        .offset:         24
        .size:           8
        .value_kind:     global_buffer
      - .actual_access:  read_only
        .address_space:  global
        .offset:         32
        .size:           8
        .value_kind:     global_buffer
      - .actual_access:  read_only
        .address_space:  global
        .offset:         40
        .size:           8
        .value_kind:     global_buffer
      - .actual_access:  write_only
        .address_space:  global
        .offset:         48
        .size:           8
        .value_kind:     global_buffer
      - .actual_access:  write_only
        .address_space:  global
        .offset:         56
        .size:           8
        .value_kind:     global_buffer
      - .offset:         64
        .size:           4
        .value_kind:     hidden_block_count_x
      - .offset:         68
        .size:           4
        .value_kind:     hidden_block_count_y
      - .offset:         72
        .size:           4
        .value_kind:     hidden_block_count_z
      - .offset:         76
        .size:           2
        .value_kind:     hidden_group_size_x
      - .offset:         78
        .size:           2
        .value_kind:     hidden_group_size_y
      - .offset:         80
        .size:           2
        .value_kind:     hidden_group_size_z
      - .offset:         82
        .size:           2
        .value_kind:     hidden_remainder_x
      - .offset:         84
        .size:           2
        .value_kind:     hidden_remainder_y
      - .offset:         86
        .size:           2
        .value_kind:     hidden_remainder_z
      - .offset:         104
        .size:           8
        .value_kind:     hidden_global_offset_x
      - .offset:         112
        .size:           8
        .value_kind:     hidden_global_offset_y
      - .offset:         120
        .size:           8
        .value_kind:     hidden_global_offset_z
      - .offset:         128
        .size:           2
        .value_kind:     hidden_grid_dims
      - .offset:         184
        .size:           4
        .value_kind:     hidden_dynamic_lds_size
    .group_segment_fixed_size: 0
    .kernarg_segment_align: 8
    .kernarg_segment_size: 320
    .language:       OpenCL C
    .language_version:
      - 2
      - 0
    .max_flat_workgroup_size: 1024
    .name:           _ZN2at6native12_GLOBAL__N_135GammaBetaBackwardCUDAKernelTemplateIddLj64ELj16ELj256ELb0ELb1ELb0EEEvllPKT_S5_PKT0_S8_PS3_S9_
    .private_segment_fixed_size: 0
    .sgpr_count:     36
    .sgpr_spill_count: 0
    .symbol:         _ZN2at6native12_GLOBAL__N_135GammaBetaBackwardCUDAKernelTemplateIddLj64ELj16ELj256ELb0ELb1ELb0EEEvllPKT_S5_PKT0_S8_PS3_S9_.kd
    .uniform_work_group_size: 1
    .uses_dynamic_stack: false
    .vgpr_count:     72
    .vgpr_spill_count: 0
    .wavefront_size: 64
  - .agpr_count:     0
    .args:
      - .offset:         0
        .size:           8
        .value_kind:     by_value
      - .offset:         8
        .size:           8
        .value_kind:     by_value
      - .actual_access:  read_only
        .address_space:  global
        .offset:         16
        .size:           8
        .value_kind:     global_buffer
      - .actual_access:  read_only
        .address_space:  global
        .offset:         24
        .size:           8
        .value_kind:     global_buffer
      - .actual_access:  read_only
        .address_space:  global
        .offset:         32
        .size:           8
        .value_kind:     global_buffer
      - .actual_access:  read_only
        .address_space:  global
        .offset:         40
        .size:           8
        .value_kind:     global_buffer
      - .actual_access:  write_only
        .address_space:  global
        .offset:         48
        .size:           8
        .value_kind:     global_buffer
      - .actual_access:  write_only
        .address_space:  global
        .offset:         56
        .size:           8
        .value_kind:     global_buffer
      - .offset:         64
        .size:           4
        .value_kind:     hidden_block_count_x
      - .offset:         68
        .size:           4
        .value_kind:     hidden_block_count_y
      - .offset:         72
        .size:           4
        .value_kind:     hidden_block_count_z
      - .offset:         76
        .size:           2
        .value_kind:     hidden_group_size_x
      - .offset:         78
        .size:           2
        .value_kind:     hidden_group_size_y
      - .offset:         80
        .size:           2
        .value_kind:     hidden_group_size_z
      - .offset:         82
        .size:           2
        .value_kind:     hidden_remainder_x
      - .offset:         84
        .size:           2
        .value_kind:     hidden_remainder_y
      - .offset:         86
        .size:           2
        .value_kind:     hidden_remainder_z
      - .offset:         104
        .size:           8
        .value_kind:     hidden_global_offset_x
      - .offset:         112
        .size:           8
        .value_kind:     hidden_global_offset_y
      - .offset:         120
        .size:           8
        .value_kind:     hidden_global_offset_z
      - .offset:         128
        .size:           2
        .value_kind:     hidden_grid_dims
      - .offset:         184
        .size:           4
        .value_kind:     hidden_dynamic_lds_size
    .group_segment_fixed_size: 0
    .kernarg_segment_align: 8
    .kernarg_segment_size: 320
    .language:       OpenCL C
    .language_version:
      - 2
      - 0
    .max_flat_workgroup_size: 1024
    .name:           _ZN2at6native12_GLOBAL__N_135GammaBetaBackwardCUDAKernelTemplateIddLj64ELj16ELj256ELb0ELb0ELb0EEEvllPKT_S5_PKT0_S8_PS3_S9_
    .private_segment_fixed_size: 592
    .sgpr_count:     80
    .sgpr_spill_count: 0
    .symbol:         _ZN2at6native12_GLOBAL__N_135GammaBetaBackwardCUDAKernelTemplateIddLj64ELj16ELj256ELb0ELb0ELb0EEEvllPKT_S5_PKT0_S8_PS3_S9_.kd
    .uniform_work_group_size: 1
    .uses_dynamic_stack: false
    .vgpr_count:     128
    .vgpr_spill_count: 356
    .wavefront_size: 64
  - .agpr_count:     0
    .args:
      - .offset:         0
        .size:           8
        .value_kind:     by_value
      - .offset:         8
        .size:           8
        .value_kind:     by_value
      - .actual_access:  read_only
        .address_space:  global
        .offset:         16
        .size:           8
        .value_kind:     global_buffer
      - .actual_access:  read_only
        .address_space:  global
        .offset:         24
        .size:           8
        .value_kind:     global_buffer
      - .actual_access:  read_only
        .address_space:  global
        .offset:         32
        .size:           8
        .value_kind:     global_buffer
      - .actual_access:  read_only
        .address_space:  global
        .offset:         40
        .size:           8
        .value_kind:     global_buffer
      - .actual_access:  write_only
        .address_space:  global
        .offset:         48
        .size:           8
        .value_kind:     global_buffer
      - .actual_access:  write_only
        .address_space:  global
        .offset:         56
        .size:           8
        .value_kind:     global_buffer
      - .offset:         64
        .size:           4
        .value_kind:     hidden_block_count_x
      - .offset:         68
        .size:           4
        .value_kind:     hidden_block_count_y
      - .offset:         72
        .size:           4
        .value_kind:     hidden_block_count_z
      - .offset:         76
        .size:           2
        .value_kind:     hidden_group_size_x
      - .offset:         78
        .size:           2
        .value_kind:     hidden_group_size_y
      - .offset:         80
        .size:           2
        .value_kind:     hidden_group_size_z
      - .offset:         82
        .size:           2
        .value_kind:     hidden_remainder_x
      - .offset:         84
        .size:           2
        .value_kind:     hidden_remainder_y
      - .offset:         86
        .size:           2
        .value_kind:     hidden_remainder_z
      - .offset:         104
        .size:           8
        .value_kind:     hidden_global_offset_x
      - .offset:         112
        .size:           8
        .value_kind:     hidden_global_offset_y
      - .offset:         120
        .size:           8
        .value_kind:     hidden_global_offset_z
      - .offset:         128
        .size:           2
        .value_kind:     hidden_grid_dims
    .group_segment_fixed_size: 0
    .kernarg_segment_align: 8
    .kernarg_segment_size: 320
    .language:       OpenCL C
    .language_version:
      - 2
      - 0
    .max_flat_workgroup_size: 32
    .name:           _ZN2at6native12_GLOBAL__N_135GammaBetaBackwardCUDAKernelTemplateIddLj32ELj1ELj32ELb1ELb1ELb0EEEvllPKT_S5_PKT0_S8_PS3_S9_
    .private_segment_fixed_size: 0
    .sgpr_count:     44
    .sgpr_spill_count: 0
    .symbol:         _ZN2at6native12_GLOBAL__N_135GammaBetaBackwardCUDAKernelTemplateIddLj32ELj1ELj32ELb1ELb1ELb0EEEvllPKT_S5_PKT0_S8_PS3_S9_.kd
    .uniform_work_group_size: 1
    .uses_dynamic_stack: false
    .vgpr_count:     128
    .vgpr_spill_count: 0
    .wavefront_size: 64
  - .agpr_count:     148
    .args:
      - .offset:         0
        .size:           8
        .value_kind:     by_value
      - .offset:         8
        .size:           8
        .value_kind:     by_value
      - .actual_access:  read_only
        .address_space:  global
        .offset:         16
        .size:           8
        .value_kind:     global_buffer
      - .actual_access:  read_only
        .address_space:  global
        .offset:         24
        .size:           8
        .value_kind:     global_buffer
      - .actual_access:  read_only
        .address_space:  global
        .offset:         32
        .size:           8
        .value_kind:     global_buffer
      - .actual_access:  read_only
        .address_space:  global
        .offset:         40
        .size:           8
        .value_kind:     global_buffer
      - .actual_access:  write_only
        .address_space:  global
        .offset:         48
        .size:           8
        .value_kind:     global_buffer
      - .actual_access:  write_only
        .address_space:  global
        .offset:         56
        .size:           8
        .value_kind:     global_buffer
      - .offset:         64
        .size:           4
        .value_kind:     hidden_block_count_x
      - .offset:         68
        .size:           4
        .value_kind:     hidden_block_count_y
      - .offset:         72
        .size:           4
        .value_kind:     hidden_block_count_z
      - .offset:         76
        .size:           2
        .value_kind:     hidden_group_size_x
      - .offset:         78
        .size:           2
        .value_kind:     hidden_group_size_y
      - .offset:         80
        .size:           2
        .value_kind:     hidden_group_size_z
      - .offset:         82
        .size:           2
        .value_kind:     hidden_remainder_x
      - .offset:         84
        .size:           2
        .value_kind:     hidden_remainder_y
      - .offset:         86
        .size:           2
        .value_kind:     hidden_remainder_z
      - .offset:         104
        .size:           8
        .value_kind:     hidden_global_offset_x
      - .offset:         112
        .size:           8
        .value_kind:     hidden_global_offset_y
      - .offset:         120
        .size:           8
        .value_kind:     hidden_global_offset_z
      - .offset:         128
        .size:           2
        .value_kind:     hidden_grid_dims
    .group_segment_fixed_size: 0
    .kernarg_segment_align: 8
    .kernarg_segment_size: 320
    .language:       OpenCL C
    .language_version:
      - 2
      - 0
    .max_flat_workgroup_size: 32
    .name:           _ZN2at6native12_GLOBAL__N_135GammaBetaBackwardCUDAKernelTemplateIddLj32ELj1ELj32ELb1ELb0ELb0EEEvllPKT_S5_PKT0_S8_PS3_S9_
    .private_segment_fixed_size: 0
    .sgpr_count:     46
    .sgpr_spill_count: 0
    .symbol:         _ZN2at6native12_GLOBAL__N_135GammaBetaBackwardCUDAKernelTemplateIddLj32ELj1ELj32ELb1ELb0ELb0EEEvllPKT_S5_PKT0_S8_PS3_S9_.kd
    .uniform_work_group_size: 1
    .uses_dynamic_stack: false
    .vgpr_count:     404
    .vgpr_spill_count: 0
    .wavefront_size: 64
  - .agpr_count:     0
    .args:
      - .offset:         0
        .size:           8
        .value_kind:     by_value
      - .offset:         8
        .size:           8
        .value_kind:     by_value
      - .actual_access:  read_only
        .address_space:  global
        .offset:         16
        .size:           8
        .value_kind:     global_buffer
      - .actual_access:  read_only
        .address_space:  global
        .offset:         24
        .size:           8
        .value_kind:     global_buffer
      - .actual_access:  read_only
        .address_space:  global
        .offset:         32
        .size:           8
        .value_kind:     global_buffer
      - .actual_access:  read_only
        .address_space:  global
        .offset:         40
        .size:           8
        .value_kind:     global_buffer
      - .actual_access:  write_only
        .address_space:  global
        .offset:         48
        .size:           8
        .value_kind:     global_buffer
      - .actual_access:  write_only
        .address_space:  global
        .offset:         56
        .size:           8
        .value_kind:     global_buffer
      - .offset:         64
        .size:           4
        .value_kind:     hidden_block_count_x
      - .offset:         68
        .size:           4
        .value_kind:     hidden_block_count_y
      - .offset:         72
        .size:           4
        .value_kind:     hidden_block_count_z
      - .offset:         76
        .size:           2
        .value_kind:     hidden_group_size_x
      - .offset:         78
        .size:           2
        .value_kind:     hidden_group_size_y
      - .offset:         80
        .size:           2
        .value_kind:     hidden_group_size_z
      - .offset:         82
        .size:           2
        .value_kind:     hidden_remainder_x
      - .offset:         84
        .size:           2
        .value_kind:     hidden_remainder_y
      - .offset:         86
        .size:           2
        .value_kind:     hidden_remainder_z
      - .offset:         104
        .size:           8
        .value_kind:     hidden_global_offset_x
      - .offset:         112
        .size:           8
        .value_kind:     hidden_global_offset_y
      - .offset:         120
        .size:           8
        .value_kind:     hidden_global_offset_z
      - .offset:         128
        .size:           2
        .value_kind:     hidden_grid_dims
    .group_segment_fixed_size: 0
    .kernarg_segment_align: 8
    .kernarg_segment_size: 320
    .language:       OpenCL C
    .language_version:
      - 2
      - 0
    .max_flat_workgroup_size: 32
    .name:           _ZN2at6native12_GLOBAL__N_135GammaBetaBackwardCUDAKernelTemplateIddLj32ELj1ELj8ELb1ELb1ELb0EEEvllPKT_S5_PKT0_S8_PS3_S9_
    .private_segment_fixed_size: 0
    .sgpr_count:     44
    .sgpr_spill_count: 0
    .symbol:         _ZN2at6native12_GLOBAL__N_135GammaBetaBackwardCUDAKernelTemplateIddLj32ELj1ELj8ELb1ELb1ELb0EEEvllPKT_S5_PKT0_S8_PS3_S9_.kd
    .uniform_work_group_size: 1
    .uses_dynamic_stack: false
    .vgpr_count:     64
    .vgpr_spill_count: 0
    .wavefront_size: 64
  - .agpr_count:     0
    .args:
      - .offset:         0
        .size:           8
        .value_kind:     by_value
      - .offset:         8
        .size:           8
        .value_kind:     by_value
      - .actual_access:  read_only
        .address_space:  global
        .offset:         16
        .size:           8
        .value_kind:     global_buffer
      - .actual_access:  read_only
        .address_space:  global
        .offset:         24
        .size:           8
        .value_kind:     global_buffer
      - .actual_access:  read_only
        .address_space:  global
        .offset:         32
        .size:           8
        .value_kind:     global_buffer
      - .actual_access:  read_only
        .address_space:  global
        .offset:         40
        .size:           8
        .value_kind:     global_buffer
      - .actual_access:  write_only
        .address_space:  global
        .offset:         48
        .size:           8
        .value_kind:     global_buffer
      - .actual_access:  write_only
        .address_space:  global
        .offset:         56
        .size:           8
        .value_kind:     global_buffer
      - .offset:         64
        .size:           4
        .value_kind:     hidden_block_count_x
      - .offset:         68
        .size:           4
        .value_kind:     hidden_block_count_y
      - .offset:         72
        .size:           4
        .value_kind:     hidden_block_count_z
      - .offset:         76
        .size:           2
        .value_kind:     hidden_group_size_x
      - .offset:         78
        .size:           2
        .value_kind:     hidden_group_size_y
      - .offset:         80
        .size:           2
        .value_kind:     hidden_group_size_z
      - .offset:         82
        .size:           2
        .value_kind:     hidden_remainder_x
      - .offset:         84
        .size:           2
        .value_kind:     hidden_remainder_y
      - .offset:         86
        .size:           2
        .value_kind:     hidden_remainder_z
      - .offset:         104
        .size:           8
        .value_kind:     hidden_global_offset_x
      - .offset:         112
        .size:           8
        .value_kind:     hidden_global_offset_y
      - .offset:         120
        .size:           8
        .value_kind:     hidden_global_offset_z
      - .offset:         128
        .size:           2
        .value_kind:     hidden_grid_dims
    .group_segment_fixed_size: 0
    .kernarg_segment_align: 8
    .kernarg_segment_size: 320
    .language:       OpenCL C
    .language_version:
      - 2
      - 0
    .max_flat_workgroup_size: 32
    .name:           _ZN2at6native12_GLOBAL__N_135GammaBetaBackwardCUDAKernelTemplateIddLj32ELj1ELj8ELb1ELb0ELb0EEEvllPKT_S5_PKT0_S8_PS3_S9_
    .private_segment_fixed_size: 0
    .sgpr_count:     60
    .sgpr_spill_count: 0
    .symbol:         _ZN2at6native12_GLOBAL__N_135GammaBetaBackwardCUDAKernelTemplateIddLj32ELj1ELj8ELb1ELb0ELb0EEEvllPKT_S5_PKT0_S8_PS3_S9_.kd
    .uniform_work_group_size: 1
    .uses_dynamic_stack: false
    .vgpr_count:     118
    .vgpr_spill_count: 0
    .wavefront_size: 64
  - .agpr_count:     0
    .args:
      - .offset:         0
        .size:           8
        .value_kind:     by_value
      - .offset:         8
        .size:           8
        .value_kind:     by_value
      - .actual_access:  read_only
        .address_space:  global
        .offset:         16
        .size:           8
        .value_kind:     global_buffer
      - .actual_access:  read_only
        .address_space:  global
        .offset:         24
        .size:           8
        .value_kind:     global_buffer
      - .actual_access:  read_only
        .address_space:  global
        .offset:         32
        .size:           8
        .value_kind:     global_buffer
      - .actual_access:  read_only
        .address_space:  global
        .offset:         40
        .size:           8
        .value_kind:     global_buffer
      - .actual_access:  write_only
        .address_space:  global
        .offset:         48
        .size:           8
        .value_kind:     global_buffer
      - .actual_access:  write_only
        .address_space:  global
        .offset:         56
        .size:           8
        .value_kind:     global_buffer
      - .offset:         64
        .size:           4
        .value_kind:     hidden_block_count_x
      - .offset:         68
        .size:           4
        .value_kind:     hidden_block_count_y
      - .offset:         72
        .size:           4
        .value_kind:     hidden_block_count_z
      - .offset:         76
        .size:           2
        .value_kind:     hidden_group_size_x
      - .offset:         78
        .size:           2
        .value_kind:     hidden_group_size_y
      - .offset:         80
        .size:           2
        .value_kind:     hidden_group_size_z
      - .offset:         82
        .size:           2
        .value_kind:     hidden_remainder_x
      - .offset:         84
        .size:           2
        .value_kind:     hidden_remainder_y
      - .offset:         86
        .size:           2
        .value_kind:     hidden_remainder_z
      - .offset:         104
        .size:           8
        .value_kind:     hidden_global_offset_x
      - .offset:         112
        .size:           8
        .value_kind:     hidden_global_offset_y
      - .offset:         120
        .size:           8
        .value_kind:     hidden_global_offset_z
      - .offset:         128
        .size:           2
        .value_kind:     hidden_grid_dims
      - .offset:         184
        .size:           4
        .value_kind:     hidden_dynamic_lds_size
    .group_segment_fixed_size: 0
    .kernarg_segment_align: 8
    .kernarg_segment_size: 320
    .language:       OpenCL C
    .language_version:
      - 2
      - 0
    .max_flat_workgroup_size: 256
    .name:           _ZN2at6native12_GLOBAL__N_135GammaBetaBackwardCUDAKernelTemplateIddLj32ELj8ELj64ELb0ELb1ELb0EEEvllPKT_S5_PKT0_S8_PS3_S9_
    .private_segment_fixed_size: 0
    .sgpr_count:     36
    .sgpr_spill_count: 0
    .symbol:         _ZN2at6native12_GLOBAL__N_135GammaBetaBackwardCUDAKernelTemplateIddLj32ELj8ELj64ELb0ELb1ELb0EEEvllPKT_S5_PKT0_S8_PS3_S9_.kd
    .uniform_work_group_size: 1
    .uses_dynamic_stack: false
    .vgpr_count:     62
    .vgpr_spill_count: 0
    .wavefront_size: 64
  - .agpr_count:     0
    .args:
      - .offset:         0
        .size:           8
        .value_kind:     by_value
      - .offset:         8
        .size:           8
        .value_kind:     by_value
      - .actual_access:  read_only
        .address_space:  global
        .offset:         16
        .size:           8
        .value_kind:     global_buffer
      - .actual_access:  read_only
        .address_space:  global
        .offset:         24
        .size:           8
        .value_kind:     global_buffer
      - .actual_access:  read_only
        .address_space:  global
        .offset:         32
        .size:           8
        .value_kind:     global_buffer
      - .actual_access:  read_only
        .address_space:  global
        .offset:         40
        .size:           8
        .value_kind:     global_buffer
      - .actual_access:  write_only
        .address_space:  global
        .offset:         48
        .size:           8
        .value_kind:     global_buffer
      - .actual_access:  write_only
        .address_space:  global
        .offset:         56
        .size:           8
        .value_kind:     global_buffer
      - .offset:         64
        .size:           4
        .value_kind:     hidden_block_count_x
      - .offset:         68
        .size:           4
        .value_kind:     hidden_block_count_y
      - .offset:         72
        .size:           4
        .value_kind:     hidden_block_count_z
      - .offset:         76
        .size:           2
        .value_kind:     hidden_group_size_x
      - .offset:         78
        .size:           2
        .value_kind:     hidden_group_size_y
      - .offset:         80
        .size:           2
        .value_kind:     hidden_group_size_z
      - .offset:         82
        .size:           2
        .value_kind:     hidden_remainder_x
      - .offset:         84
        .size:           2
        .value_kind:     hidden_remainder_y
      - .offset:         86
        .size:           2
        .value_kind:     hidden_remainder_z
      - .offset:         104
        .size:           8
        .value_kind:     hidden_global_offset_x
      - .offset:         112
        .size:           8
        .value_kind:     hidden_global_offset_y
      - .offset:         120
        .size:           8
        .value_kind:     hidden_global_offset_z
      - .offset:         128
        .size:           2
        .value_kind:     hidden_grid_dims
      - .offset:         184
        .size:           4
        .value_kind:     hidden_dynamic_lds_size
    .group_segment_fixed_size: 0
    .kernarg_segment_align: 8
    .kernarg_segment_size: 320
    .language:       OpenCL C
    .language_version:
      - 2
      - 0
    .max_flat_workgroup_size: 256
    .name:           _ZN2at6native12_GLOBAL__N_135GammaBetaBackwardCUDAKernelTemplateIddLj32ELj8ELj64ELb0ELb0ELb0EEEvllPKT_S5_PKT0_S8_PS3_S9_
    .private_segment_fixed_size: 0
    .sgpr_count:     58
    .sgpr_spill_count: 0
    .symbol:         _ZN2at6native12_GLOBAL__N_135GammaBetaBackwardCUDAKernelTemplateIddLj32ELj8ELj64ELb0ELb0ELb0EEEvllPKT_S5_PKT0_S8_PS3_S9_.kd
    .uniform_work_group_size: 1
    .uses_dynamic_stack: false
    .vgpr_count:     118
    .vgpr_spill_count: 0
    .wavefront_size: 64
  - .agpr_count:     0
    .args:
      - .offset:         0
        .size:           8
        .value_kind:     by_value
      - .offset:         8
        .size:           8
        .value_kind:     by_value
      - .actual_access:  read_only
        .address_space:  global
        .offset:         16
        .size:           8
        .value_kind:     global_buffer
      - .actual_access:  read_only
        .address_space:  global
        .offset:         24
        .size:           8
        .value_kind:     global_buffer
      - .actual_access:  read_only
        .address_space:  global
        .offset:         32
        .size:           8
        .value_kind:     global_buffer
      - .actual_access:  read_only
        .address_space:  global
        .offset:         40
        .size:           8
        .value_kind:     global_buffer
      - .actual_access:  write_only
        .address_space:  global
        .offset:         48
        .size:           8
        .value_kind:     global_buffer
      - .actual_access:  write_only
        .address_space:  global
        .offset:         56
        .size:           8
        .value_kind:     global_buffer
      - .offset:         64
        .size:           4
        .value_kind:     hidden_block_count_x
      - .offset:         68
        .size:           4
        .value_kind:     hidden_block_count_y
      - .offset:         72
        .size:           4
        .value_kind:     hidden_block_count_z
      - .offset:         76
        .size:           2
        .value_kind:     hidden_group_size_x
      - .offset:         78
        .size:           2
        .value_kind:     hidden_group_size_y
      - .offset:         80
        .size:           2
        .value_kind:     hidden_group_size_z
      - .offset:         82
        .size:           2
        .value_kind:     hidden_remainder_x
      - .offset:         84
        .size:           2
        .value_kind:     hidden_remainder_y
      - .offset:         86
        .size:           2
        .value_kind:     hidden_remainder_z
      - .offset:         104
        .size:           8
        .value_kind:     hidden_global_offset_x
      - .offset:         112
        .size:           8
        .value_kind:     hidden_global_offset_y
      - .offset:         120
        .size:           8
        .value_kind:     hidden_global_offset_z
      - .offset:         128
        .size:           2
        .value_kind:     hidden_grid_dims
      - .offset:         184
        .size:           4
        .value_kind:     hidden_dynamic_lds_size
    .group_segment_fixed_size: 0
    .kernarg_segment_align: 8
    .kernarg_segment_size: 320
    .language:       OpenCL C
    .language_version:
      - 2
      - 0
    .max_flat_workgroup_size: 512
    .name:           _ZN2at6native12_GLOBAL__N_135GammaBetaBackwardCUDAKernelTemplateIddLj32ELj16ELj128ELb0ELb1ELb0EEEvllPKT_S5_PKT0_S8_PS3_S9_
    .private_segment_fixed_size: 0
    .sgpr_count:     36
    .sgpr_spill_count: 0
    .symbol:         _ZN2at6native12_GLOBAL__N_135GammaBetaBackwardCUDAKernelTemplateIddLj32ELj16ELj128ELb0ELb1ELb0EEEvllPKT_S5_PKT0_S8_PS3_S9_.kd
    .uniform_work_group_size: 1
    .uses_dynamic_stack: false
    .vgpr_count:     62
    .vgpr_spill_count: 0
    .wavefront_size: 64
  - .agpr_count:     0
    .args:
      - .offset:         0
        .size:           8
        .value_kind:     by_value
      - .offset:         8
        .size:           8
        .value_kind:     by_value
      - .actual_access:  read_only
        .address_space:  global
        .offset:         16
        .size:           8
        .value_kind:     global_buffer
      - .actual_access:  read_only
        .address_space:  global
        .offset:         24
        .size:           8
        .value_kind:     global_buffer
      - .actual_access:  read_only
        .address_space:  global
        .offset:         32
        .size:           8
        .value_kind:     global_buffer
      - .actual_access:  read_only
        .address_space:  global
        .offset:         40
        .size:           8
        .value_kind:     global_buffer
      - .actual_access:  write_only
        .address_space:  global
        .offset:         48
        .size:           8
        .value_kind:     global_buffer
      - .actual_access:  write_only
        .address_space:  global
        .offset:         56
        .size:           8
        .value_kind:     global_buffer
      - .offset:         64
        .size:           4
        .value_kind:     hidden_block_count_x
      - .offset:         68
        .size:           4
        .value_kind:     hidden_block_count_y
      - .offset:         72
        .size:           4
        .value_kind:     hidden_block_count_z
      - .offset:         76
        .size:           2
        .value_kind:     hidden_group_size_x
      - .offset:         78
        .size:           2
        .value_kind:     hidden_group_size_y
      - .offset:         80
        .size:           2
        .value_kind:     hidden_group_size_z
      - .offset:         82
        .size:           2
        .value_kind:     hidden_remainder_x
      - .offset:         84
        .size:           2
        .value_kind:     hidden_remainder_y
      - .offset:         86
        .size:           2
        .value_kind:     hidden_remainder_z
      - .offset:         104
        .size:           8
        .value_kind:     hidden_global_offset_x
      - .offset:         112
        .size:           8
        .value_kind:     hidden_global_offset_y
      - .offset:         120
        .size:           8
        .value_kind:     hidden_global_offset_z
      - .offset:         128
        .size:           2
        .value_kind:     hidden_grid_dims
      - .offset:         184
        .size:           4
        .value_kind:     hidden_dynamic_lds_size
    .group_segment_fixed_size: 0
    .kernarg_segment_align: 8
    .kernarg_segment_size: 320
    .language:       OpenCL C
    .language_version:
      - 2
      - 0
    .max_flat_workgroup_size: 512
    .name:           _ZN2at6native12_GLOBAL__N_135GammaBetaBackwardCUDAKernelTemplateIddLj32ELj16ELj128ELb0ELb0ELb0EEEvllPKT_S5_PKT0_S8_PS3_S9_
    .private_segment_fixed_size: 0
    .sgpr_count:     58
    .sgpr_spill_count: 0
    .symbol:         _ZN2at6native12_GLOBAL__N_135GammaBetaBackwardCUDAKernelTemplateIddLj32ELj16ELj128ELb0ELb0ELb0EEEvllPKT_S5_PKT0_S8_PS3_S9_.kd
    .uniform_work_group_size: 1
    .uses_dynamic_stack: false
    .vgpr_count:     118
    .vgpr_spill_count: 0
    .wavefront_size: 64
  - .agpr_count:     0
    .args:
      - .offset:         0
        .size:           8
        .value_kind:     by_value
      - .offset:         8
        .size:           8
        .value_kind:     by_value
      - .actual_access:  read_only
        .address_space:  global
        .offset:         16
        .size:           8
        .value_kind:     global_buffer
      - .actual_access:  read_only
        .address_space:  global
        .offset:         24
        .size:           8
        .value_kind:     global_buffer
      - .actual_access:  read_only
        .address_space:  global
        .offset:         32
        .size:           8
        .value_kind:     global_buffer
      - .actual_access:  read_only
        .address_space:  global
        .offset:         40
        .size:           8
        .value_kind:     global_buffer
      - .actual_access:  write_only
        .address_space:  global
        .offset:         48
        .size:           8
        .value_kind:     global_buffer
      - .actual_access:  write_only
        .address_space:  global
        .offset:         56
        .size:           8
        .value_kind:     global_buffer
      - .offset:         64
        .size:           4
        .value_kind:     hidden_block_count_x
      - .offset:         68
        .size:           4
        .value_kind:     hidden_block_count_y
      - .offset:         72
        .size:           4
        .value_kind:     hidden_block_count_z
      - .offset:         76
        .size:           2
        .value_kind:     hidden_group_size_x
      - .offset:         78
        .size:           2
        .value_kind:     hidden_group_size_y
      - .offset:         80
        .size:           2
        .value_kind:     hidden_group_size_z
      - .offset:         82
        .size:           2
        .value_kind:     hidden_remainder_x
      - .offset:         84
        .size:           2
        .value_kind:     hidden_remainder_y
      - .offset:         86
        .size:           2
        .value_kind:     hidden_remainder_z
      - .offset:         104
        .size:           8
        .value_kind:     hidden_global_offset_x
      - .offset:         112
        .size:           8
        .value_kind:     hidden_global_offset_y
      - .offset:         120
        .size:           8
        .value_kind:     hidden_global_offset_z
      - .offset:         128
        .size:           2
        .value_kind:     hidden_grid_dims
      - .offset:         184
        .size:           4
        .value_kind:     hidden_dynamic_lds_size
    .group_segment_fixed_size: 0
    .kernarg_segment_align: 8
    .kernarg_segment_size: 320
    .language:       OpenCL C
    .language_version:
      - 2
      - 0
    .max_flat_workgroup_size: 1024
    .name:           _ZN2at6native12_GLOBAL__N_135GammaBetaBackwardCUDAKernelTemplateIddLj32ELj32ELj256ELb0ELb1ELb0EEEvllPKT_S5_PKT0_S8_PS3_S9_
    .private_segment_fixed_size: 0
    .sgpr_count:     36
    .sgpr_spill_count: 0
    .symbol:         _ZN2at6native12_GLOBAL__N_135GammaBetaBackwardCUDAKernelTemplateIddLj32ELj32ELj256ELb0ELb1ELb0EEEvllPKT_S5_PKT0_S8_PS3_S9_.kd
    .uniform_work_group_size: 1
    .uses_dynamic_stack: false
    .vgpr_count:     62
    .vgpr_spill_count: 0
    .wavefront_size: 64
  - .agpr_count:     0
    .args:
      - .offset:         0
        .size:           8
        .value_kind:     by_value
      - .offset:         8
        .size:           8
        .value_kind:     by_value
      - .actual_access:  read_only
        .address_space:  global
        .offset:         16
        .size:           8
        .value_kind:     global_buffer
      - .actual_access:  read_only
        .address_space:  global
        .offset:         24
        .size:           8
        .value_kind:     global_buffer
      - .actual_access:  read_only
        .address_space:  global
        .offset:         32
        .size:           8
        .value_kind:     global_buffer
      - .actual_access:  read_only
        .address_space:  global
        .offset:         40
        .size:           8
        .value_kind:     global_buffer
      - .actual_access:  write_only
        .address_space:  global
        .offset:         48
        .size:           8
        .value_kind:     global_buffer
      - .actual_access:  write_only
        .address_space:  global
        .offset:         56
        .size:           8
        .value_kind:     global_buffer
      - .offset:         64
        .size:           4
        .value_kind:     hidden_block_count_x
      - .offset:         68
        .size:           4
        .value_kind:     hidden_block_count_y
      - .offset:         72
        .size:           4
        .value_kind:     hidden_block_count_z
      - .offset:         76
        .size:           2
        .value_kind:     hidden_group_size_x
      - .offset:         78
        .size:           2
        .value_kind:     hidden_group_size_y
      - .offset:         80
        .size:           2
        .value_kind:     hidden_group_size_z
      - .offset:         82
        .size:           2
        .value_kind:     hidden_remainder_x
      - .offset:         84
        .size:           2
        .value_kind:     hidden_remainder_y
      - .offset:         86
        .size:           2
        .value_kind:     hidden_remainder_z
      - .offset:         104
        .size:           8
        .value_kind:     hidden_global_offset_x
      - .offset:         112
        .size:           8
        .value_kind:     hidden_global_offset_y
      - .offset:         120
        .size:           8
        .value_kind:     hidden_global_offset_z
      - .offset:         128
        .size:           2
        .value_kind:     hidden_grid_dims
      - .offset:         184
        .size:           4
        .value_kind:     hidden_dynamic_lds_size
    .group_segment_fixed_size: 0
    .kernarg_segment_align: 8
    .kernarg_segment_size: 320
    .language:       OpenCL C
    .language_version:
      - 2
      - 0
    .max_flat_workgroup_size: 1024
    .name:           _ZN2at6native12_GLOBAL__N_135GammaBetaBackwardCUDAKernelTemplateIddLj32ELj32ELj256ELb0ELb0ELb0EEEvllPKT_S5_PKT0_S8_PS3_S9_
    .private_segment_fixed_size: 0
    .sgpr_count:     58
    .sgpr_spill_count: 0
    .symbol:         _ZN2at6native12_GLOBAL__N_135GammaBetaBackwardCUDAKernelTemplateIddLj32ELj32ELj256ELb0ELb0ELb0EEEvllPKT_S5_PKT0_S8_PS3_S9_.kd
    .uniform_work_group_size: 1
    .uses_dynamic_stack: false
    .vgpr_count:     118
    .vgpr_spill_count: 0
    .wavefront_size: 64
  - .agpr_count:     0
    .args:
      - .actual_access:  read_only
        .address_space:  global
        .offset:         0
        .size:           8
        .value_kind:     global_buffer
      - .actual_access:  read_only
        .address_space:  global
        .offset:         8
        .size:           8
        .value_kind:     global_buffer
      - .offset:         16
        .size:           8
        .value_kind:     by_value
      - .offset:         24
        .size:           8
        .value_kind:     by_value
      - .actual_access:  read_only
        .address_space:  global
        .offset:         32
        .size:           8
        .value_kind:     global_buffer
      - .actual_access:  read_only
        .address_space:  global
        .offset:         40
        .size:           8
        .value_kind:     global_buffer
      - .address_space:  global
        .offset:         48
        .size:           8
        .value_kind:     global_buffer
      - .address_space:  global
        .offset:         56
        .size:           8
        .value_kind:     global_buffer
      - .offset:         64
        .size:           4
        .value_kind:     hidden_block_count_x
      - .offset:         68
        .size:           4
        .value_kind:     hidden_block_count_y
      - .offset:         72
        .size:           4
        .value_kind:     hidden_block_count_z
      - .offset:         76
        .size:           2
        .value_kind:     hidden_group_size_x
      - .offset:         78
        .size:           2
        .value_kind:     hidden_group_size_y
      - .offset:         80
        .size:           2
        .value_kind:     hidden_group_size_z
      - .offset:         82
        .size:           2
        .value_kind:     hidden_remainder_x
      - .offset:         84
        .size:           2
        .value_kind:     hidden_remainder_y
      - .offset:         86
        .size:           2
        .value_kind:     hidden_remainder_z
      - .offset:         104
        .size:           8
        .value_kind:     hidden_global_offset_x
      - .offset:         112
        .size:           8
        .value_kind:     hidden_global_offset_y
      - .offset:         120
        .size:           8
        .value_kind:     hidden_global_offset_z
      - .offset:         128
        .size:           2
        .value_kind:     hidden_grid_dims
      - .offset:         184
        .size:           4
        .value_kind:     hidden_dynamic_lds_size
    .group_segment_fixed_size: 0
    .kernarg_segment_align: 8
    .kernarg_segment_size: 320
    .language:       OpenCL C
    .language_version:
      - 2
      - 0
    .max_flat_workgroup_size: 1024
    .name:           _ZN2at6native12_GLOBAL__N_118cuComputeGradInputIffLb0EEEvPKT_S5_llPKT0_S8_S5_PS3_
    .private_segment_fixed_size: 0
    .sgpr_count:     57
    .sgpr_spill_count: 0
    .symbol:         _ZN2at6native12_GLOBAL__N_118cuComputeGradInputIffLb0EEEvPKT_S5_llPKT0_S8_S5_PS3_.kd
    .uniform_work_group_size: 1
    .uses_dynamic_stack: false
    .vgpr_count:     30
    .vgpr_spill_count: 0
    .wavefront_size: 64
  - .agpr_count:     0
    .args:
      - .actual_access:  read_only
        .address_space:  global
        .offset:         0
        .size:           8
        .value_kind:     global_buffer
      - .actual_access:  read_only
        .address_space:  global
        .offset:         8
        .size:           8
        .value_kind:     global_buffer
      - .actual_access:  read_only
        .address_space:  global
        .offset:         16
        .size:           8
        .value_kind:     global_buffer
      - .actual_access:  read_only
        .address_space:  global
        .offset:         24
        .size:           8
        .value_kind:     global_buffer
      - .actual_access:  read_only
        .address_space:  global
        .offset:         32
        .size:           8
        .value_kind:     global_buffer
      - .address_space:  global
        .offset:         40
        .size:           8
        .value_kind:     global_buffer
      - .offset:         48
        .size:           4
        .value_kind:     by_value
      - .offset:         56
        .size:           4
        .value_kind:     hidden_block_count_x
      - .offset:         60
        .size:           4
        .value_kind:     hidden_block_count_y
      - .offset:         64
        .size:           4
        .value_kind:     hidden_block_count_z
      - .offset:         68
        .size:           2
        .value_kind:     hidden_group_size_x
      - .offset:         70
        .size:           2
        .value_kind:     hidden_group_size_y
      - .offset:         72
        .size:           2
        .value_kind:     hidden_group_size_z
      - .offset:         74
        .size:           2
        .value_kind:     hidden_remainder_x
      - .offset:         76
        .size:           2
        .value_kind:     hidden_remainder_y
      - .offset:         78
        .size:           2
        .value_kind:     hidden_remainder_z
      - .offset:         96
        .size:           8
        .value_kind:     hidden_global_offset_x
      - .offset:         104
        .size:           8
        .value_kind:     hidden_global_offset_y
      - .offset:         112
        .size:           8
        .value_kind:     hidden_global_offset_z
      - .offset:         120
        .size:           2
        .value_kind:     hidden_grid_dims
      - .offset:         176
        .size:           4
        .value_kind:     hidden_dynamic_lds_size
    .group_segment_fixed_size: 0
    .kernarg_segment_align: 8
    .kernarg_segment_size: 312
    .language:       OpenCL C
    .language_version:
      - 2
      - 0
    .max_flat_workgroup_size: 1024
    .name:           _ZN2at6native12_GLOBAL__N_128layer_norm_grad_input_kernelIffLb0EEEvPKT_S5_PKT0_S8_S5_PS3_i
    .private_segment_fixed_size: 0
    .sgpr_count:     36
    .sgpr_spill_count: 0
    .symbol:         _ZN2at6native12_GLOBAL__N_128layer_norm_grad_input_kernelIffLb0EEEvPKT_S5_PKT0_S8_S5_PS3_i.kd
    .uniform_work_group_size: 1
    .uses_dynamic_stack: false
    .vgpr_count:     25
    .vgpr_spill_count: 0
    .wavefront_size: 64
  - .agpr_count:     0
    .args:
      - .offset:         0
        .size:           8
        .value_kind:     by_value
      - .offset:         8
        .size:           8
        .value_kind:     by_value
      - .address_space:  global
        .offset:         16
        .size:           8
        .value_kind:     global_buffer
      - .address_space:  global
        .offset:         24
        .size:           8
        .value_kind:     global_buffer
      - .address_space:  global
        .offset:         32
        .size:           8
        .value_kind:     global_buffer
      - .address_space:  global
        .offset:         40
        .size:           8
        .value_kind:     global_buffer
      - .address_space:  global
        .offset:         48
        .size:           8
        .value_kind:     global_buffer
      - .address_space:  global
        .offset:         56
        .size:           8
        .value_kind:     global_buffer
      - .offset:         64
        .size:           4
        .value_kind:     hidden_block_count_x
      - .offset:         68
        .size:           4
        .value_kind:     hidden_block_count_y
      - .offset:         72
        .size:           4
        .value_kind:     hidden_block_count_z
      - .offset:         76
        .size:           2
        .value_kind:     hidden_group_size_x
      - .offset:         78
        .size:           2
        .value_kind:     hidden_group_size_y
      - .offset:         80
        .size:           2
        .value_kind:     hidden_group_size_z
      - .offset:         82
        .size:           2
        .value_kind:     hidden_remainder_x
      - .offset:         84
        .size:           2
        .value_kind:     hidden_remainder_y
      - .offset:         86
        .size:           2
        .value_kind:     hidden_remainder_z
      - .offset:         104
        .size:           8
        .value_kind:     hidden_global_offset_x
      - .offset:         112
        .size:           8
        .value_kind:     hidden_global_offset_y
      - .offset:         120
        .size:           8
        .value_kind:     hidden_global_offset_z
      - .offset:         128
        .size:           2
        .value_kind:     hidden_grid_dims
    .group_segment_fixed_size: 0
    .kernarg_segment_align: 8
    .kernarg_segment_size: 320
    .language:       OpenCL C
    .language_version:
      - 2
      - 0
    .max_flat_workgroup_size: 1024
    .name:           _ZN2at6native12_GLOBAL__N_133GammaBetaBackwardSimpleCUDAKernelIffLb0EEEvllPKT_S5_PKT0_S8_PS3_S9_
    .private_segment_fixed_size: 0
    .sgpr_count:     28
    .sgpr_spill_count: 0
    .symbol:         _ZN2at6native12_GLOBAL__N_133GammaBetaBackwardSimpleCUDAKernelIffLb0EEEvllPKT_S5_PKT0_S8_PS3_S9_.kd
    .uniform_work_group_size: 1
    .uses_dynamic_stack: false
    .vgpr_count:     13
    .vgpr_spill_count: 0
    .wavefront_size: 64
  - .agpr_count:     0
    .args:
      - .offset:         0
        .size:           8
        .value_kind:     by_value
      - .offset:         8
        .size:           8
        .value_kind:     by_value
      - .actual_access:  read_only
        .address_space:  global
        .offset:         16
        .size:           8
        .value_kind:     global_buffer
      - .actual_access:  read_only
        .address_space:  global
        .offset:         24
        .size:           8
        .value_kind:     global_buffer
      - .actual_access:  read_only
        .address_space:  global
        .offset:         32
        .size:           8
        .value_kind:     global_buffer
      - .actual_access:  read_only
        .address_space:  global
        .offset:         40
        .size:           8
        .value_kind:     global_buffer
      - .actual_access:  write_only
        .address_space:  global
        .offset:         48
        .size:           8
        .value_kind:     global_buffer
      - .actual_access:  write_only
        .address_space:  global
        .offset:         56
        .size:           8
        .value_kind:     global_buffer
      - .offset:         64
        .size:           4
        .value_kind:     hidden_block_count_x
      - .offset:         68
        .size:           4
        .value_kind:     hidden_block_count_y
      - .offset:         72
        .size:           4
        .value_kind:     hidden_block_count_z
      - .offset:         76
        .size:           2
        .value_kind:     hidden_group_size_x
      - .offset:         78
        .size:           2
        .value_kind:     hidden_group_size_y
      - .offset:         80
        .size:           2
        .value_kind:     hidden_group_size_z
      - .offset:         82
        .size:           2
        .value_kind:     hidden_remainder_x
      - .offset:         84
        .size:           2
        .value_kind:     hidden_remainder_y
      - .offset:         86
        .size:           2
        .value_kind:     hidden_remainder_z
      - .offset:         104
        .size:           8
        .value_kind:     hidden_global_offset_x
      - .offset:         112
        .size:           8
        .value_kind:     hidden_global_offset_y
      - .offset:         120
        .size:           8
        .value_kind:     hidden_global_offset_z
      - .offset:         128
        .size:           2
        .value_kind:     hidden_grid_dims
    .group_segment_fixed_size: 0
    .kernarg_segment_align: 8
    .kernarg_segment_size: 320
    .language:       OpenCL C
    .language_version:
      - 2
      - 0
    .max_flat_workgroup_size: 64
    .name:           _ZN2at6native12_GLOBAL__N_135GammaBetaBackwardCUDAKernelTemplateIffLj64ELj1ELj32ELb1ELb1ELb0EEEvllPKT_S5_PKT0_S8_PS3_S9_
    .private_segment_fixed_size: 0
    .sgpr_count:     44
    .sgpr_spill_count: 0
    .symbol:         _ZN2at6native12_GLOBAL__N_135GammaBetaBackwardCUDAKernelTemplateIffLj64ELj1ELj32ELb1ELb1ELb0EEEvllPKT_S5_PKT0_S8_PS3_S9_.kd
    .uniform_work_group_size: 1
    .uses_dynamic_stack: false
    .vgpr_count:     83
    .vgpr_spill_count: 0
    .wavefront_size: 64
  - .agpr_count:     78
    .args:
      - .offset:         0
        .size:           8
        .value_kind:     by_value
      - .offset:         8
        .size:           8
        .value_kind:     by_value
      - .actual_access:  read_only
        .address_space:  global
        .offset:         16
        .size:           8
        .value_kind:     global_buffer
      - .actual_access:  read_only
        .address_space:  global
        .offset:         24
        .size:           8
        .value_kind:     global_buffer
      - .actual_access:  read_only
        .address_space:  global
        .offset:         32
        .size:           8
        .value_kind:     global_buffer
      - .actual_access:  read_only
        .address_space:  global
        .offset:         40
        .size:           8
        .value_kind:     global_buffer
      - .actual_access:  write_only
        .address_space:  global
        .offset:         48
        .size:           8
        .value_kind:     global_buffer
      - .actual_access:  write_only
        .address_space:  global
        .offset:         56
        .size:           8
        .value_kind:     global_buffer
      - .offset:         64
        .size:           4
        .value_kind:     hidden_block_count_x
      - .offset:         68
        .size:           4
        .value_kind:     hidden_block_count_y
      - .offset:         72
        .size:           4
        .value_kind:     hidden_block_count_z
      - .offset:         76
        .size:           2
        .value_kind:     hidden_group_size_x
      - .offset:         78
        .size:           2
        .value_kind:     hidden_group_size_y
      - .offset:         80
        .size:           2
        .value_kind:     hidden_group_size_z
      - .offset:         82
        .size:           2
        .value_kind:     hidden_remainder_x
      - .offset:         84
        .size:           2
        .value_kind:     hidden_remainder_y
      - .offset:         86
        .size:           2
        .value_kind:     hidden_remainder_z
      - .offset:         104
        .size:           8
        .value_kind:     hidden_global_offset_x
      - .offset:         112
        .size:           8
        .value_kind:     hidden_global_offset_y
      - .offset:         120
        .size:           8
        .value_kind:     hidden_global_offset_z
      - .offset:         128
        .size:           2
        .value_kind:     hidden_grid_dims
    .group_segment_fixed_size: 0
    .kernarg_segment_align: 8
    .kernarg_segment_size: 320
    .language:       OpenCL C
    .language_version:
      - 2
      - 0
    .max_flat_workgroup_size: 64
    .name:           _ZN2at6native12_GLOBAL__N_135GammaBetaBackwardCUDAKernelTemplateIffLj64ELj1ELj32ELb1ELb0ELb0EEEvllPKT_S5_PKT0_S8_PS3_S9_
    .private_segment_fixed_size: 0
    .sgpr_count:     42
    .sgpr_spill_count: 0
    .symbol:         _ZN2at6native12_GLOBAL__N_135GammaBetaBackwardCUDAKernelTemplateIffLj64ELj1ELj32ELb1ELb0ELb0EEEvllPKT_S5_PKT0_S8_PS3_S9_.kd
    .uniform_work_group_size: 1
    .uses_dynamic_stack: false
    .vgpr_count:     334
    .vgpr_spill_count: 0
    .wavefront_size: 64
  - .agpr_count:     0
    .args:
      - .offset:         0
        .size:           8
        .value_kind:     by_value
      - .offset:         8
        .size:           8
        .value_kind:     by_value
      - .actual_access:  read_only
        .address_space:  global
        .offset:         16
        .size:           8
        .value_kind:     global_buffer
      - .actual_access:  read_only
        .address_space:  global
        .offset:         24
        .size:           8
        .value_kind:     global_buffer
      - .actual_access:  read_only
        .address_space:  global
        .offset:         32
        .size:           8
        .value_kind:     global_buffer
      - .actual_access:  read_only
        .address_space:  global
        .offset:         40
        .size:           8
        .value_kind:     global_buffer
      - .actual_access:  write_only
        .address_space:  global
        .offset:         48
        .size:           8
        .value_kind:     global_buffer
      - .actual_access:  write_only
        .address_space:  global
        .offset:         56
        .size:           8
        .value_kind:     global_buffer
      - .offset:         64
        .size:           4
        .value_kind:     hidden_block_count_x
      - .offset:         68
        .size:           4
        .value_kind:     hidden_block_count_y
      - .offset:         72
        .size:           4
        .value_kind:     hidden_block_count_z
      - .offset:         76
        .size:           2
        .value_kind:     hidden_group_size_x
      - .offset:         78
        .size:           2
        .value_kind:     hidden_group_size_y
      - .offset:         80
        .size:           2
        .value_kind:     hidden_group_size_z
      - .offset:         82
        .size:           2
        .value_kind:     hidden_remainder_x
      - .offset:         84
        .size:           2
        .value_kind:     hidden_remainder_y
      - .offset:         86
        .size:           2
        .value_kind:     hidden_remainder_z
      - .offset:         104
        .size:           8
        .value_kind:     hidden_global_offset_x
      - .offset:         112
        .size:           8
        .value_kind:     hidden_global_offset_y
      - .offset:         120
        .size:           8
        .value_kind:     hidden_global_offset_z
      - .offset:         128
        .size:           2
        .value_kind:     hidden_grid_dims
    .group_segment_fixed_size: 0
    .kernarg_segment_align: 8
    .kernarg_segment_size: 320
    .language:       OpenCL C
    .language_version:
      - 2
      - 0
    .max_flat_workgroup_size: 64
    .name:           _ZN2at6native12_GLOBAL__N_135GammaBetaBackwardCUDAKernelTemplateIffLj64ELj1ELj8ELb1ELb1ELb0EEEvllPKT_S5_PKT0_S8_PS3_S9_
    .private_segment_fixed_size: 0
    .sgpr_count:     44
    .sgpr_spill_count: 0
    .symbol:         _ZN2at6native12_GLOBAL__N_135GammaBetaBackwardCUDAKernelTemplateIffLj64ELj1ELj8ELb1ELb1ELb0EEEvllPKT_S5_PKT0_S8_PS3_S9_.kd
    .uniform_work_group_size: 1
    .uses_dynamic_stack: false
    .vgpr_count:     48
    .vgpr_spill_count: 0
    .wavefront_size: 64
  - .agpr_count:     0
    .args:
      - .offset:         0
        .size:           8
        .value_kind:     by_value
      - .offset:         8
        .size:           8
        .value_kind:     by_value
      - .actual_access:  read_only
        .address_space:  global
        .offset:         16
        .size:           8
        .value_kind:     global_buffer
      - .actual_access:  read_only
        .address_space:  global
        .offset:         24
        .size:           8
        .value_kind:     global_buffer
      - .actual_access:  read_only
        .address_space:  global
        .offset:         32
        .size:           8
        .value_kind:     global_buffer
      - .actual_access:  read_only
        .address_space:  global
        .offset:         40
        .size:           8
        .value_kind:     global_buffer
      - .actual_access:  write_only
        .address_space:  global
        .offset:         48
        .size:           8
        .value_kind:     global_buffer
      - .actual_access:  write_only
        .address_space:  global
        .offset:         56
        .size:           8
        .value_kind:     global_buffer
      - .offset:         64
        .size:           4
        .value_kind:     hidden_block_count_x
      - .offset:         68
        .size:           4
        .value_kind:     hidden_block_count_y
      - .offset:         72
        .size:           4
        .value_kind:     hidden_block_count_z
      - .offset:         76
        .size:           2
        .value_kind:     hidden_group_size_x
      - .offset:         78
        .size:           2
        .value_kind:     hidden_group_size_y
      - .offset:         80
        .size:           2
        .value_kind:     hidden_group_size_z
      - .offset:         82
        .size:           2
        .value_kind:     hidden_remainder_x
      - .offset:         84
        .size:           2
        .value_kind:     hidden_remainder_y
      - .offset:         86
        .size:           2
        .value_kind:     hidden_remainder_z
      - .offset:         104
        .size:           8
        .value_kind:     hidden_global_offset_x
      - .offset:         112
        .size:           8
        .value_kind:     hidden_global_offset_y
      - .offset:         120
        .size:           8
        .value_kind:     hidden_global_offset_z
      - .offset:         128
        .size:           2
        .value_kind:     hidden_grid_dims
    .group_segment_fixed_size: 0
    .kernarg_segment_align: 8
    .kernarg_segment_size: 320
    .language:       OpenCL C
    .language_version:
      - 2
      - 0
    .max_flat_workgroup_size: 64
    .name:           _ZN2at6native12_GLOBAL__N_135GammaBetaBackwardCUDAKernelTemplateIffLj64ELj1ELj8ELb1ELb0ELb0EEEvllPKT_S5_PKT0_S8_PS3_S9_
    .private_segment_fixed_size: 0
    .sgpr_count:     50
    .sgpr_spill_count: 0
    .symbol:         _ZN2at6native12_GLOBAL__N_135GammaBetaBackwardCUDAKernelTemplateIffLj64ELj1ELj8ELb1ELb0ELb0EEEvllPKT_S5_PKT0_S8_PS3_S9_.kd
    .uniform_work_group_size: 1
    .uses_dynamic_stack: false
    .vgpr_count:     98
    .vgpr_spill_count: 0
    .wavefront_size: 64
  - .agpr_count:     0
    .args:
      - .offset:         0
        .size:           8
        .value_kind:     by_value
      - .offset:         8
        .size:           8
        .value_kind:     by_value
      - .actual_access:  read_only
        .address_space:  global
        .offset:         16
        .size:           8
        .value_kind:     global_buffer
      - .actual_access:  read_only
        .address_space:  global
        .offset:         24
        .size:           8
        .value_kind:     global_buffer
      - .actual_access:  read_only
        .address_space:  global
        .offset:         32
        .size:           8
        .value_kind:     global_buffer
      - .actual_access:  read_only
        .address_space:  global
        .offset:         40
        .size:           8
        .value_kind:     global_buffer
      - .actual_access:  write_only
        .address_space:  global
        .offset:         48
        .size:           8
        .value_kind:     global_buffer
      - .actual_access:  write_only
        .address_space:  global
        .offset:         56
        .size:           8
        .value_kind:     global_buffer
      - .offset:         64
        .size:           4
        .value_kind:     hidden_block_count_x
      - .offset:         68
        .size:           4
        .value_kind:     hidden_block_count_y
      - .offset:         72
        .size:           4
        .value_kind:     hidden_block_count_z
      - .offset:         76
        .size:           2
        .value_kind:     hidden_group_size_x
      - .offset:         78
        .size:           2
        .value_kind:     hidden_group_size_y
      - .offset:         80
        .size:           2
        .value_kind:     hidden_group_size_z
      - .offset:         82
        .size:           2
        .value_kind:     hidden_remainder_x
      - .offset:         84
        .size:           2
        .value_kind:     hidden_remainder_y
      - .offset:         86
        .size:           2
        .value_kind:     hidden_remainder_z
      - .offset:         104
        .size:           8
        .value_kind:     hidden_global_offset_x
      - .offset:         112
        .size:           8
        .value_kind:     hidden_global_offset_y
      - .offset:         120
        .size:           8
        .value_kind:     hidden_global_offset_z
      - .offset:         128
        .size:           2
        .value_kind:     hidden_grid_dims
      - .offset:         184
        .size:           4
        .value_kind:     hidden_dynamic_lds_size
    .group_segment_fixed_size: 0
    .kernarg_segment_align: 8
    .kernarg_segment_size: 320
    .language:       OpenCL C
    .language_version:
      - 2
      - 0
    .max_flat_workgroup_size: 512
    .name:           _ZN2at6native12_GLOBAL__N_135GammaBetaBackwardCUDAKernelTemplateIffLj64ELj8ELj64ELb0ELb1ELb0EEEvllPKT_S5_PKT0_S8_PS3_S9_
    .private_segment_fixed_size: 0
    .sgpr_count:     36
    .sgpr_spill_count: 0
    .symbol:         _ZN2at6native12_GLOBAL__N_135GammaBetaBackwardCUDAKernelTemplateIffLj64ELj8ELj64ELb0ELb1ELb0EEEvllPKT_S5_PKT0_S8_PS3_S9_.kd
    .uniform_work_group_size: 1
    .uses_dynamic_stack: false
    .vgpr_count:     49
    .vgpr_spill_count: 0
    .wavefront_size: 64
  - .agpr_count:     0
    .args:
      - .offset:         0
        .size:           8
        .value_kind:     by_value
      - .offset:         8
        .size:           8
        .value_kind:     by_value
      - .actual_access:  read_only
        .address_space:  global
        .offset:         16
        .size:           8
        .value_kind:     global_buffer
      - .actual_access:  read_only
        .address_space:  global
        .offset:         24
        .size:           8
        .value_kind:     global_buffer
      - .actual_access:  read_only
        .address_space:  global
        .offset:         32
        .size:           8
        .value_kind:     global_buffer
      - .actual_access:  read_only
        .address_space:  global
        .offset:         40
        .size:           8
        .value_kind:     global_buffer
      - .actual_access:  write_only
        .address_space:  global
        .offset:         48
        .size:           8
        .value_kind:     global_buffer
      - .actual_access:  write_only
        .address_space:  global
        .offset:         56
        .size:           8
        .value_kind:     global_buffer
      - .offset:         64
        .size:           4
        .value_kind:     hidden_block_count_x
      - .offset:         68
        .size:           4
        .value_kind:     hidden_block_count_y
      - .offset:         72
        .size:           4
        .value_kind:     hidden_block_count_z
      - .offset:         76
        .size:           2
        .value_kind:     hidden_group_size_x
      - .offset:         78
        .size:           2
        .value_kind:     hidden_group_size_y
      - .offset:         80
        .size:           2
        .value_kind:     hidden_group_size_z
      - .offset:         82
        .size:           2
        .value_kind:     hidden_remainder_x
      - .offset:         84
        .size:           2
        .value_kind:     hidden_remainder_y
      - .offset:         86
        .size:           2
        .value_kind:     hidden_remainder_z
      - .offset:         104
        .size:           8
        .value_kind:     hidden_global_offset_x
      - .offset:         112
        .size:           8
        .value_kind:     hidden_global_offset_y
      - .offset:         120
        .size:           8
        .value_kind:     hidden_global_offset_z
      - .offset:         128
        .size:           2
        .value_kind:     hidden_grid_dims
      - .offset:         184
        .size:           4
        .value_kind:     hidden_dynamic_lds_size
    .group_segment_fixed_size: 0
    .kernarg_segment_align: 8
    .kernarg_segment_size: 320
    .language:       OpenCL C
    .language_version:
      - 2
      - 0
    .max_flat_workgroup_size: 512
    .name:           _ZN2at6native12_GLOBAL__N_135GammaBetaBackwardCUDAKernelTemplateIffLj64ELj8ELj64ELb0ELb0ELb0EEEvllPKT_S5_PKT0_S8_PS3_S9_
    .private_segment_fixed_size: 0
    .sgpr_count:     48
    .sgpr_spill_count: 0
    .symbol:         _ZN2at6native12_GLOBAL__N_135GammaBetaBackwardCUDAKernelTemplateIffLj64ELj8ELj64ELb0ELb0ELb0EEEvllPKT_S5_PKT0_S8_PS3_S9_.kd
    .uniform_work_group_size: 1
    .uses_dynamic_stack: false
    .vgpr_count:     98
    .vgpr_spill_count: 0
    .wavefront_size: 64
  - .agpr_count:     0
    .args:
      - .offset:         0
        .size:           8
        .value_kind:     by_value
      - .offset:         8
        .size:           8
        .value_kind:     by_value
      - .actual_access:  read_only
        .address_space:  global
        .offset:         16
        .size:           8
        .value_kind:     global_buffer
      - .actual_access:  read_only
        .address_space:  global
        .offset:         24
        .size:           8
        .value_kind:     global_buffer
      - .actual_access:  read_only
        .address_space:  global
        .offset:         32
        .size:           8
        .value_kind:     global_buffer
      - .actual_access:  read_only
        .address_space:  global
        .offset:         40
        .size:           8
        .value_kind:     global_buffer
      - .actual_access:  write_only
        .address_space:  global
        .offset:         48
        .size:           8
        .value_kind:     global_buffer
      - .actual_access:  write_only
        .address_space:  global
        .offset:         56
        .size:           8
        .value_kind:     global_buffer
      - .offset:         64
        .size:           4
        .value_kind:     hidden_block_count_x
      - .offset:         68
        .size:           4
        .value_kind:     hidden_block_count_y
      - .offset:         72
        .size:           4
        .value_kind:     hidden_block_count_z
      - .offset:         76
        .size:           2
        .value_kind:     hidden_group_size_x
      - .offset:         78
        .size:           2
        .value_kind:     hidden_group_size_y
      - .offset:         80
        .size:           2
        .value_kind:     hidden_group_size_z
      - .offset:         82
        .size:           2
        .value_kind:     hidden_remainder_x
      - .offset:         84
        .size:           2
        .value_kind:     hidden_remainder_y
      - .offset:         86
        .size:           2
        .value_kind:     hidden_remainder_z
      - .offset:         104
        .size:           8
        .value_kind:     hidden_global_offset_x
      - .offset:         112
        .size:           8
        .value_kind:     hidden_global_offset_y
      - .offset:         120
        .size:           8
        .value_kind:     hidden_global_offset_z
      - .offset:         128
        .size:           2
        .value_kind:     hidden_grid_dims
      - .offset:         184
        .size:           4
        .value_kind:     hidden_dynamic_lds_size
    .group_segment_fixed_size: 0
    .kernarg_segment_align: 8
    .kernarg_segment_size: 320
    .language:       OpenCL C
    .language_version:
      - 2
      - 0
    .max_flat_workgroup_size: 1024
    .name:           _ZN2at6native12_GLOBAL__N_135GammaBetaBackwardCUDAKernelTemplateIffLj64ELj16ELj128ELb0ELb1ELb0EEEvllPKT_S5_PKT0_S8_PS3_S9_
    .private_segment_fixed_size: 0
    .sgpr_count:     36
    .sgpr_spill_count: 0
    .symbol:         _ZN2at6native12_GLOBAL__N_135GammaBetaBackwardCUDAKernelTemplateIffLj64ELj16ELj128ELb0ELb1ELb0EEEvllPKT_S5_PKT0_S8_PS3_S9_.kd
    .uniform_work_group_size: 1
    .uses_dynamic_stack: false
    .vgpr_count:     49
    .vgpr_spill_count: 0
    .wavefront_size: 64
  - .agpr_count:     0
    .args:
      - .offset:         0
        .size:           8
        .value_kind:     by_value
      - .offset:         8
        .size:           8
        .value_kind:     by_value
      - .actual_access:  read_only
        .address_space:  global
        .offset:         16
        .size:           8
        .value_kind:     global_buffer
      - .actual_access:  read_only
        .address_space:  global
        .offset:         24
        .size:           8
        .value_kind:     global_buffer
      - .actual_access:  read_only
        .address_space:  global
        .offset:         32
        .size:           8
        .value_kind:     global_buffer
      - .actual_access:  read_only
        .address_space:  global
        .offset:         40
        .size:           8
        .value_kind:     global_buffer
      - .actual_access:  write_only
        .address_space:  global
        .offset:         48
        .size:           8
        .value_kind:     global_buffer
      - .actual_access:  write_only
        .address_space:  global
        .offset:         56
        .size:           8
        .value_kind:     global_buffer
      - .offset:         64
        .size:           4
        .value_kind:     hidden_block_count_x
      - .offset:         68
        .size:           4
        .value_kind:     hidden_block_count_y
      - .offset:         72
        .size:           4
        .value_kind:     hidden_block_count_z
      - .offset:         76
        .size:           2
        .value_kind:     hidden_group_size_x
      - .offset:         78
        .size:           2
        .value_kind:     hidden_group_size_y
      - .offset:         80
        .size:           2
        .value_kind:     hidden_group_size_z
      - .offset:         82
        .size:           2
        .value_kind:     hidden_remainder_x
      - .offset:         84
        .size:           2
        .value_kind:     hidden_remainder_y
      - .offset:         86
        .size:           2
        .value_kind:     hidden_remainder_z
      - .offset:         104
        .size:           8
        .value_kind:     hidden_global_offset_x
      - .offset:         112
        .size:           8
        .value_kind:     hidden_global_offset_y
      - .offset:         120
        .size:           8
        .value_kind:     hidden_global_offset_z
      - .offset:         128
        .size:           2
        .value_kind:     hidden_grid_dims
      - .offset:         184
        .size:           4
        .value_kind:     hidden_dynamic_lds_size
    .group_segment_fixed_size: 0
    .kernarg_segment_align: 8
    .kernarg_segment_size: 320
    .language:       OpenCL C
    .language_version:
      - 2
      - 0
    .max_flat_workgroup_size: 1024
    .name:           _ZN2at6native12_GLOBAL__N_135GammaBetaBackwardCUDAKernelTemplateIffLj64ELj16ELj128ELb0ELb0ELb0EEEvllPKT_S5_PKT0_S8_PS3_S9_
    .private_segment_fixed_size: 0
    .sgpr_count:     48
    .sgpr_spill_count: 0
    .symbol:         _ZN2at6native12_GLOBAL__N_135GammaBetaBackwardCUDAKernelTemplateIffLj64ELj16ELj128ELb0ELb0ELb0EEEvllPKT_S5_PKT0_S8_PS3_S9_.kd
    .uniform_work_group_size: 1
    .uses_dynamic_stack: false
    .vgpr_count:     98
    .vgpr_spill_count: 0
    .wavefront_size: 64
  - .agpr_count:     0
    .args:
      - .offset:         0
        .size:           8
        .value_kind:     by_value
      - .offset:         8
        .size:           8
        .value_kind:     by_value
      - .actual_access:  read_only
        .address_space:  global
        .offset:         16
        .size:           8
        .value_kind:     global_buffer
      - .actual_access:  read_only
        .address_space:  global
        .offset:         24
        .size:           8
        .value_kind:     global_buffer
      - .actual_access:  read_only
        .address_space:  global
        .offset:         32
        .size:           8
        .value_kind:     global_buffer
      - .actual_access:  read_only
        .address_space:  global
        .offset:         40
        .size:           8
        .value_kind:     global_buffer
      - .actual_access:  write_only
        .address_space:  global
        .offset:         48
        .size:           8
        .value_kind:     global_buffer
      - .actual_access:  write_only
        .address_space:  global
        .offset:         56
        .size:           8
        .value_kind:     global_buffer
      - .offset:         64
        .size:           4
        .value_kind:     hidden_block_count_x
      - .offset:         68
        .size:           4
        .value_kind:     hidden_block_count_y
      - .offset:         72
        .size:           4
        .value_kind:     hidden_block_count_z
      - .offset:         76
        .size:           2
        .value_kind:     hidden_group_size_x
      - .offset:         78
        .size:           2
        .value_kind:     hidden_group_size_y
      - .offset:         80
        .size:           2
        .value_kind:     hidden_group_size_z
      - .offset:         82
        .size:           2
        .value_kind:     hidden_remainder_x
      - .offset:         84
        .size:           2
        .value_kind:     hidden_remainder_y
      - .offset:         86
        .size:           2
        .value_kind:     hidden_remainder_z
      - .offset:         104
        .size:           8
        .value_kind:     hidden_global_offset_x
      - .offset:         112
        .size:           8
        .value_kind:     hidden_global_offset_y
      - .offset:         120
        .size:           8
        .value_kind:     hidden_global_offset_z
      - .offset:         128
        .size:           2
        .value_kind:     hidden_grid_dims
      - .offset:         184
        .size:           4
        .value_kind:     hidden_dynamic_lds_size
    .group_segment_fixed_size: 0
    .kernarg_segment_align: 8
    .kernarg_segment_size: 320
    .language:       OpenCL C
    .language_version:
      - 2
      - 0
    .max_flat_workgroup_size: 1024
    .name:           _ZN2at6native12_GLOBAL__N_135GammaBetaBackwardCUDAKernelTemplateIffLj64ELj16ELj256ELb0ELb1ELb0EEEvllPKT_S5_PKT0_S8_PS3_S9_
    .private_segment_fixed_size: 0
    .sgpr_count:     36
    .sgpr_spill_count: 0
    .symbol:         _ZN2at6native12_GLOBAL__N_135GammaBetaBackwardCUDAKernelTemplateIffLj64ELj16ELj256ELb0ELb1ELb0EEEvllPKT_S5_PKT0_S8_PS3_S9_.kd
    .uniform_work_group_size: 1
    .uses_dynamic_stack: false
    .vgpr_count:     64
    .vgpr_spill_count: 0
    .wavefront_size: 64
  - .agpr_count:     0
    .args:
      - .offset:         0
        .size:           8
        .value_kind:     by_value
      - .offset:         8
        .size:           8
        .value_kind:     by_value
      - .actual_access:  read_only
        .address_space:  global
        .offset:         16
        .size:           8
        .value_kind:     global_buffer
      - .actual_access:  read_only
        .address_space:  global
        .offset:         24
        .size:           8
        .value_kind:     global_buffer
      - .actual_access:  read_only
        .address_space:  global
        .offset:         32
        .size:           8
        .value_kind:     global_buffer
      - .actual_access:  read_only
        .address_space:  global
        .offset:         40
        .size:           8
        .value_kind:     global_buffer
      - .actual_access:  write_only
        .address_space:  global
        .offset:         48
        .size:           8
        .value_kind:     global_buffer
      - .actual_access:  write_only
        .address_space:  global
        .offset:         56
        .size:           8
        .value_kind:     global_buffer
      - .offset:         64
        .size:           4
        .value_kind:     hidden_block_count_x
      - .offset:         68
        .size:           4
        .value_kind:     hidden_block_count_y
      - .offset:         72
        .size:           4
        .value_kind:     hidden_block_count_z
      - .offset:         76
        .size:           2
        .value_kind:     hidden_group_size_x
      - .offset:         78
        .size:           2
        .value_kind:     hidden_group_size_y
      - .offset:         80
        .size:           2
        .value_kind:     hidden_group_size_z
      - .offset:         82
        .size:           2
        .value_kind:     hidden_remainder_x
      - .offset:         84
        .size:           2
        .value_kind:     hidden_remainder_y
      - .offset:         86
        .size:           2
        .value_kind:     hidden_remainder_z
      - .offset:         104
        .size:           8
        .value_kind:     hidden_global_offset_x
      - .offset:         112
        .size:           8
        .value_kind:     hidden_global_offset_y
      - .offset:         120
        .size:           8
        .value_kind:     hidden_global_offset_z
      - .offset:         128
        .size:           2
        .value_kind:     hidden_grid_dims
      - .offset:         184
        .size:           4
        .value_kind:     hidden_dynamic_lds_size
    .group_segment_fixed_size: 0
    .kernarg_segment_align: 8
    .kernarg_segment_size: 320
    .language:       OpenCL C
    .language_version:
      - 2
      - 0
    .max_flat_workgroup_size: 1024
    .name:           _ZN2at6native12_GLOBAL__N_135GammaBetaBackwardCUDAKernelTemplateIffLj64ELj16ELj256ELb0ELb0ELb0EEEvllPKT_S5_PKT0_S8_PS3_S9_
    .private_segment_fixed_size: 400
    .sgpr_count:     60
    .sgpr_spill_count: 0
    .symbol:         _ZN2at6native12_GLOBAL__N_135GammaBetaBackwardCUDAKernelTemplateIffLj64ELj16ELj256ELb0ELb0ELb0EEEvllPKT_S5_PKT0_S8_PS3_S9_.kd
    .uniform_work_group_size: 1
    .uses_dynamic_stack: false
    .vgpr_count:     128
    .vgpr_spill_count: 193
    .wavefront_size: 64
  - .agpr_count:     0
    .args:
      - .offset:         0
        .size:           8
        .value_kind:     by_value
      - .offset:         8
        .size:           8
        .value_kind:     by_value
      - .actual_access:  read_only
        .address_space:  global
        .offset:         16
        .size:           8
        .value_kind:     global_buffer
      - .actual_access:  read_only
        .address_space:  global
        .offset:         24
        .size:           8
        .value_kind:     global_buffer
      - .actual_access:  read_only
        .address_space:  global
        .offset:         32
        .size:           8
        .value_kind:     global_buffer
      - .actual_access:  read_only
        .address_space:  global
        .offset:         40
        .size:           8
        .value_kind:     global_buffer
      - .actual_access:  write_only
        .address_space:  global
        .offset:         48
        .size:           8
        .value_kind:     global_buffer
      - .actual_access:  write_only
        .address_space:  global
        .offset:         56
        .size:           8
        .value_kind:     global_buffer
      - .offset:         64
        .size:           4
        .value_kind:     hidden_block_count_x
      - .offset:         68
        .size:           4
        .value_kind:     hidden_block_count_y
      - .offset:         72
        .size:           4
        .value_kind:     hidden_block_count_z
      - .offset:         76
        .size:           2
        .value_kind:     hidden_group_size_x
      - .offset:         78
        .size:           2
        .value_kind:     hidden_group_size_y
      - .offset:         80
        .size:           2
        .value_kind:     hidden_group_size_z
      - .offset:         82
        .size:           2
        .value_kind:     hidden_remainder_x
      - .offset:         84
        .size:           2
        .value_kind:     hidden_remainder_y
      - .offset:         86
        .size:           2
        .value_kind:     hidden_remainder_z
      - .offset:         104
        .size:           8
        .value_kind:     hidden_global_offset_x
      - .offset:         112
        .size:           8
        .value_kind:     hidden_global_offset_y
      - .offset:         120
        .size:           8
        .value_kind:     hidden_global_offset_z
      - .offset:         128
        .size:           2
        .value_kind:     hidden_grid_dims
    .group_segment_fixed_size: 0
    .kernarg_segment_align: 8
    .kernarg_segment_size: 320
    .language:       OpenCL C
    .language_version:
      - 2
      - 0
    .max_flat_workgroup_size: 32
    .name:           _ZN2at6native12_GLOBAL__N_135GammaBetaBackwardCUDAKernelTemplateIffLj32ELj1ELj32ELb1ELb1ELb0EEEvllPKT_S5_PKT0_S8_PS3_S9_
    .private_segment_fixed_size: 0
    .sgpr_count:     44
    .sgpr_spill_count: 0
    .symbol:         _ZN2at6native12_GLOBAL__N_135GammaBetaBackwardCUDAKernelTemplateIffLj32ELj1ELj32ELb1ELb1ELb0EEEvllPKT_S5_PKT0_S8_PS3_S9_.kd
    .uniform_work_group_size: 1
    .uses_dynamic_stack: false
    .vgpr_count:     83
    .vgpr_spill_count: 0
    .wavefront_size: 64
  - .agpr_count:     78
    .args:
      - .offset:         0
        .size:           8
        .value_kind:     by_value
      - .offset:         8
        .size:           8
        .value_kind:     by_value
      - .actual_access:  read_only
        .address_space:  global
        .offset:         16
        .size:           8
        .value_kind:     global_buffer
      - .actual_access:  read_only
        .address_space:  global
        .offset:         24
        .size:           8
        .value_kind:     global_buffer
      - .actual_access:  read_only
        .address_space:  global
        .offset:         32
        .size:           8
        .value_kind:     global_buffer
      - .actual_access:  read_only
        .address_space:  global
        .offset:         40
        .size:           8
        .value_kind:     global_buffer
      - .actual_access:  write_only
        .address_space:  global
        .offset:         48
        .size:           8
        .value_kind:     global_buffer
      - .actual_access:  write_only
        .address_space:  global
        .offset:         56
        .size:           8
        .value_kind:     global_buffer
      - .offset:         64
        .size:           4
        .value_kind:     hidden_block_count_x
      - .offset:         68
        .size:           4
        .value_kind:     hidden_block_count_y
      - .offset:         72
        .size:           4
        .value_kind:     hidden_block_count_z
      - .offset:         76
        .size:           2
        .value_kind:     hidden_group_size_x
      - .offset:         78
        .size:           2
        .value_kind:     hidden_group_size_y
      - .offset:         80
        .size:           2
        .value_kind:     hidden_group_size_z
      - .offset:         82
        .size:           2
        .value_kind:     hidden_remainder_x
      - .offset:         84
        .size:           2
        .value_kind:     hidden_remainder_y
      - .offset:         86
        .size:           2
        .value_kind:     hidden_remainder_z
      - .offset:         104
        .size:           8
        .value_kind:     hidden_global_offset_x
      - .offset:         112
        .size:           8
        .value_kind:     hidden_global_offset_y
      - .offset:         120
        .size:           8
        .value_kind:     hidden_global_offset_z
      - .offset:         128
        .size:           2
        .value_kind:     hidden_grid_dims
    .group_segment_fixed_size: 0
    .kernarg_segment_align: 8
    .kernarg_segment_size: 320
    .language:       OpenCL C
    .language_version:
      - 2
      - 0
    .max_flat_workgroup_size: 32
    .name:           _ZN2at6native12_GLOBAL__N_135GammaBetaBackwardCUDAKernelTemplateIffLj32ELj1ELj32ELb1ELb0ELb0EEEvllPKT_S5_PKT0_S8_PS3_S9_
    .private_segment_fixed_size: 0
    .sgpr_count:     42
    .sgpr_spill_count: 0
    .symbol:         _ZN2at6native12_GLOBAL__N_135GammaBetaBackwardCUDAKernelTemplateIffLj32ELj1ELj32ELb1ELb0ELb0EEEvllPKT_S5_PKT0_S8_PS3_S9_.kd
    .uniform_work_group_size: 1
    .uses_dynamic_stack: false
    .vgpr_count:     334
    .vgpr_spill_count: 0
    .wavefront_size: 64
  - .agpr_count:     0
    .args:
      - .offset:         0
        .size:           8
        .value_kind:     by_value
      - .offset:         8
        .size:           8
        .value_kind:     by_value
      - .actual_access:  read_only
        .address_space:  global
        .offset:         16
        .size:           8
        .value_kind:     global_buffer
      - .actual_access:  read_only
        .address_space:  global
        .offset:         24
        .size:           8
        .value_kind:     global_buffer
      - .actual_access:  read_only
        .address_space:  global
        .offset:         32
        .size:           8
        .value_kind:     global_buffer
      - .actual_access:  read_only
        .address_space:  global
        .offset:         40
        .size:           8
        .value_kind:     global_buffer
      - .actual_access:  write_only
        .address_space:  global
        .offset:         48
        .size:           8
        .value_kind:     global_buffer
      - .actual_access:  write_only
        .address_space:  global
        .offset:         56
        .size:           8
        .value_kind:     global_buffer
      - .offset:         64
        .size:           4
        .value_kind:     hidden_block_count_x
      - .offset:         68
        .size:           4
        .value_kind:     hidden_block_count_y
      - .offset:         72
        .size:           4
        .value_kind:     hidden_block_count_z
      - .offset:         76
        .size:           2
        .value_kind:     hidden_group_size_x
      - .offset:         78
        .size:           2
        .value_kind:     hidden_group_size_y
      - .offset:         80
        .size:           2
        .value_kind:     hidden_group_size_z
      - .offset:         82
        .size:           2
        .value_kind:     hidden_remainder_x
      - .offset:         84
        .size:           2
        .value_kind:     hidden_remainder_y
      - .offset:         86
        .size:           2
        .value_kind:     hidden_remainder_z
      - .offset:         104
        .size:           8
        .value_kind:     hidden_global_offset_x
      - .offset:         112
        .size:           8
        .value_kind:     hidden_global_offset_y
      - .offset:         120
        .size:           8
        .value_kind:     hidden_global_offset_z
      - .offset:         128
        .size:           2
        .value_kind:     hidden_grid_dims
    .group_segment_fixed_size: 0
    .kernarg_segment_align: 8
    .kernarg_segment_size: 320
    .language:       OpenCL C
    .language_version:
      - 2
      - 0
    .max_flat_workgroup_size: 32
    .name:           _ZN2at6native12_GLOBAL__N_135GammaBetaBackwardCUDAKernelTemplateIffLj32ELj1ELj8ELb1ELb1ELb0EEEvllPKT_S5_PKT0_S8_PS3_S9_
    .private_segment_fixed_size: 0
    .sgpr_count:     44
    .sgpr_spill_count: 0
    .symbol:         _ZN2at6native12_GLOBAL__N_135GammaBetaBackwardCUDAKernelTemplateIffLj32ELj1ELj8ELb1ELb1ELb0EEEvllPKT_S5_PKT0_S8_PS3_S9_.kd
    .uniform_work_group_size: 1
    .uses_dynamic_stack: false
    .vgpr_count:     48
    .vgpr_spill_count: 0
    .wavefront_size: 64
  - .agpr_count:     0
    .args:
      - .offset:         0
        .size:           8
        .value_kind:     by_value
      - .offset:         8
        .size:           8
        .value_kind:     by_value
      - .actual_access:  read_only
        .address_space:  global
        .offset:         16
        .size:           8
        .value_kind:     global_buffer
      - .actual_access:  read_only
        .address_space:  global
        .offset:         24
        .size:           8
        .value_kind:     global_buffer
      - .actual_access:  read_only
        .address_space:  global
        .offset:         32
        .size:           8
        .value_kind:     global_buffer
      - .actual_access:  read_only
        .address_space:  global
        .offset:         40
        .size:           8
        .value_kind:     global_buffer
      - .actual_access:  write_only
        .address_space:  global
        .offset:         48
        .size:           8
        .value_kind:     global_buffer
      - .actual_access:  write_only
        .address_space:  global
        .offset:         56
        .size:           8
        .value_kind:     global_buffer
      - .offset:         64
        .size:           4
        .value_kind:     hidden_block_count_x
      - .offset:         68
        .size:           4
        .value_kind:     hidden_block_count_y
      - .offset:         72
        .size:           4
        .value_kind:     hidden_block_count_z
      - .offset:         76
        .size:           2
        .value_kind:     hidden_group_size_x
      - .offset:         78
        .size:           2
        .value_kind:     hidden_group_size_y
      - .offset:         80
        .size:           2
        .value_kind:     hidden_group_size_z
      - .offset:         82
        .size:           2
        .value_kind:     hidden_remainder_x
      - .offset:         84
        .size:           2
        .value_kind:     hidden_remainder_y
      - .offset:         86
        .size:           2
        .value_kind:     hidden_remainder_z
      - .offset:         104
        .size:           8
        .value_kind:     hidden_global_offset_x
      - .offset:         112
        .size:           8
        .value_kind:     hidden_global_offset_y
      - .offset:         120
        .size:           8
        .value_kind:     hidden_global_offset_z
      - .offset:         128
        .size:           2
        .value_kind:     hidden_grid_dims
    .group_segment_fixed_size: 0
    .kernarg_segment_align: 8
    .kernarg_segment_size: 320
    .language:       OpenCL C
    .language_version:
      - 2
      - 0
    .max_flat_workgroup_size: 32
    .name:           _ZN2at6native12_GLOBAL__N_135GammaBetaBackwardCUDAKernelTemplateIffLj32ELj1ELj8ELb1ELb0ELb0EEEvllPKT_S5_PKT0_S8_PS3_S9_
    .private_segment_fixed_size: 0
    .sgpr_count:     50
    .sgpr_spill_count: 0
    .symbol:         _ZN2at6native12_GLOBAL__N_135GammaBetaBackwardCUDAKernelTemplateIffLj32ELj1ELj8ELb1ELb0ELb0EEEvllPKT_S5_PKT0_S8_PS3_S9_.kd
    .uniform_work_group_size: 1
    .uses_dynamic_stack: false
    .vgpr_count:     98
    .vgpr_spill_count: 0
    .wavefront_size: 64
  - .agpr_count:     0
    .args:
      - .offset:         0
        .size:           8
        .value_kind:     by_value
      - .offset:         8
        .size:           8
        .value_kind:     by_value
      - .actual_access:  read_only
        .address_space:  global
        .offset:         16
        .size:           8
        .value_kind:     global_buffer
      - .actual_access:  read_only
        .address_space:  global
        .offset:         24
        .size:           8
        .value_kind:     global_buffer
      - .actual_access:  read_only
        .address_space:  global
        .offset:         32
        .size:           8
        .value_kind:     global_buffer
      - .actual_access:  read_only
        .address_space:  global
        .offset:         40
        .size:           8
        .value_kind:     global_buffer
      - .actual_access:  write_only
        .address_space:  global
        .offset:         48
        .size:           8
        .value_kind:     global_buffer
      - .actual_access:  write_only
        .address_space:  global
        .offset:         56
        .size:           8
        .value_kind:     global_buffer
      - .offset:         64
        .size:           4
        .value_kind:     hidden_block_count_x
      - .offset:         68
        .size:           4
        .value_kind:     hidden_block_count_y
      - .offset:         72
        .size:           4
        .value_kind:     hidden_block_count_z
      - .offset:         76
        .size:           2
        .value_kind:     hidden_group_size_x
      - .offset:         78
        .size:           2
        .value_kind:     hidden_group_size_y
      - .offset:         80
        .size:           2
        .value_kind:     hidden_group_size_z
      - .offset:         82
        .size:           2
        .value_kind:     hidden_remainder_x
      - .offset:         84
        .size:           2
        .value_kind:     hidden_remainder_y
      - .offset:         86
        .size:           2
        .value_kind:     hidden_remainder_z
      - .offset:         104
        .size:           8
        .value_kind:     hidden_global_offset_x
      - .offset:         112
        .size:           8
        .value_kind:     hidden_global_offset_y
      - .offset:         120
        .size:           8
        .value_kind:     hidden_global_offset_z
      - .offset:         128
        .size:           2
        .value_kind:     hidden_grid_dims
      - .offset:         184
        .size:           4
        .value_kind:     hidden_dynamic_lds_size
    .group_segment_fixed_size: 0
    .kernarg_segment_align: 8
    .kernarg_segment_size: 320
    .language:       OpenCL C
    .language_version:
      - 2
      - 0
    .max_flat_workgroup_size: 256
    .name:           _ZN2at6native12_GLOBAL__N_135GammaBetaBackwardCUDAKernelTemplateIffLj32ELj8ELj64ELb0ELb1ELb0EEEvllPKT_S5_PKT0_S8_PS3_S9_
    .private_segment_fixed_size: 0
    .sgpr_count:     36
    .sgpr_spill_count: 0
    .symbol:         _ZN2at6native12_GLOBAL__N_135GammaBetaBackwardCUDAKernelTemplateIffLj32ELj8ELj64ELb0ELb1ELb0EEEvllPKT_S5_PKT0_S8_PS3_S9_.kd
    .uniform_work_group_size: 1
    .uses_dynamic_stack: false
    .vgpr_count:     49
    .vgpr_spill_count: 0
    .wavefront_size: 64
  - .agpr_count:     0
    .args:
      - .offset:         0
        .size:           8
        .value_kind:     by_value
      - .offset:         8
        .size:           8
        .value_kind:     by_value
      - .actual_access:  read_only
        .address_space:  global
        .offset:         16
        .size:           8
        .value_kind:     global_buffer
      - .actual_access:  read_only
        .address_space:  global
        .offset:         24
        .size:           8
        .value_kind:     global_buffer
      - .actual_access:  read_only
        .address_space:  global
        .offset:         32
        .size:           8
        .value_kind:     global_buffer
      - .actual_access:  read_only
        .address_space:  global
        .offset:         40
        .size:           8
        .value_kind:     global_buffer
      - .actual_access:  write_only
        .address_space:  global
        .offset:         48
        .size:           8
        .value_kind:     global_buffer
      - .actual_access:  write_only
        .address_space:  global
        .offset:         56
        .size:           8
        .value_kind:     global_buffer
      - .offset:         64
        .size:           4
        .value_kind:     hidden_block_count_x
      - .offset:         68
        .size:           4
        .value_kind:     hidden_block_count_y
      - .offset:         72
        .size:           4
        .value_kind:     hidden_block_count_z
      - .offset:         76
        .size:           2
        .value_kind:     hidden_group_size_x
      - .offset:         78
        .size:           2
        .value_kind:     hidden_group_size_y
      - .offset:         80
        .size:           2
        .value_kind:     hidden_group_size_z
      - .offset:         82
        .size:           2
        .value_kind:     hidden_remainder_x
      - .offset:         84
        .size:           2
        .value_kind:     hidden_remainder_y
      - .offset:         86
        .size:           2
        .value_kind:     hidden_remainder_z
      - .offset:         104
        .size:           8
        .value_kind:     hidden_global_offset_x
      - .offset:         112
        .size:           8
        .value_kind:     hidden_global_offset_y
      - .offset:         120
        .size:           8
        .value_kind:     hidden_global_offset_z
      - .offset:         128
        .size:           2
        .value_kind:     hidden_grid_dims
      - .offset:         184
        .size:           4
        .value_kind:     hidden_dynamic_lds_size
    .group_segment_fixed_size: 0
    .kernarg_segment_align: 8
    .kernarg_segment_size: 320
    .language:       OpenCL C
    .language_version:
      - 2
      - 0
    .max_flat_workgroup_size: 256
    .name:           _ZN2at6native12_GLOBAL__N_135GammaBetaBackwardCUDAKernelTemplateIffLj32ELj8ELj64ELb0ELb0ELb0EEEvllPKT_S5_PKT0_S8_PS3_S9_
    .private_segment_fixed_size: 0
    .sgpr_count:     48
    .sgpr_spill_count: 0
    .symbol:         _ZN2at6native12_GLOBAL__N_135GammaBetaBackwardCUDAKernelTemplateIffLj32ELj8ELj64ELb0ELb0ELb0EEEvllPKT_S5_PKT0_S8_PS3_S9_.kd
    .uniform_work_group_size: 1
    .uses_dynamic_stack: false
    .vgpr_count:     98
    .vgpr_spill_count: 0
    .wavefront_size: 64
  - .agpr_count:     0
    .args:
      - .offset:         0
        .size:           8
        .value_kind:     by_value
      - .offset:         8
        .size:           8
        .value_kind:     by_value
      - .actual_access:  read_only
        .address_space:  global
        .offset:         16
        .size:           8
        .value_kind:     global_buffer
      - .actual_access:  read_only
        .address_space:  global
        .offset:         24
        .size:           8
        .value_kind:     global_buffer
      - .actual_access:  read_only
        .address_space:  global
        .offset:         32
        .size:           8
        .value_kind:     global_buffer
      - .actual_access:  read_only
        .address_space:  global
        .offset:         40
        .size:           8
        .value_kind:     global_buffer
      - .actual_access:  write_only
        .address_space:  global
        .offset:         48
        .size:           8
        .value_kind:     global_buffer
      - .actual_access:  write_only
        .address_space:  global
        .offset:         56
        .size:           8
        .value_kind:     global_buffer
      - .offset:         64
        .size:           4
        .value_kind:     hidden_block_count_x
      - .offset:         68
        .size:           4
        .value_kind:     hidden_block_count_y
      - .offset:         72
        .size:           4
        .value_kind:     hidden_block_count_z
      - .offset:         76
        .size:           2
        .value_kind:     hidden_group_size_x
      - .offset:         78
        .size:           2
        .value_kind:     hidden_group_size_y
      - .offset:         80
        .size:           2
        .value_kind:     hidden_group_size_z
      - .offset:         82
        .size:           2
        .value_kind:     hidden_remainder_x
      - .offset:         84
        .size:           2
        .value_kind:     hidden_remainder_y
      - .offset:         86
        .size:           2
        .value_kind:     hidden_remainder_z
      - .offset:         104
        .size:           8
        .value_kind:     hidden_global_offset_x
      - .offset:         112
        .size:           8
        .value_kind:     hidden_global_offset_y
      - .offset:         120
        .size:           8
        .value_kind:     hidden_global_offset_z
      - .offset:         128
        .size:           2
        .value_kind:     hidden_grid_dims
      - .offset:         184
        .size:           4
        .value_kind:     hidden_dynamic_lds_size
    .group_segment_fixed_size: 0
    .kernarg_segment_align: 8
    .kernarg_segment_size: 320
    .language:       OpenCL C
    .language_version:
      - 2
      - 0
    .max_flat_workgroup_size: 512
    .name:           _ZN2at6native12_GLOBAL__N_135GammaBetaBackwardCUDAKernelTemplateIffLj32ELj16ELj128ELb0ELb1ELb0EEEvllPKT_S5_PKT0_S8_PS3_S9_
    .private_segment_fixed_size: 0
    .sgpr_count:     36
    .sgpr_spill_count: 0
    .symbol:         _ZN2at6native12_GLOBAL__N_135GammaBetaBackwardCUDAKernelTemplateIffLj32ELj16ELj128ELb0ELb1ELb0EEEvllPKT_S5_PKT0_S8_PS3_S9_.kd
    .uniform_work_group_size: 1
    .uses_dynamic_stack: false
    .vgpr_count:     49
    .vgpr_spill_count: 0
    .wavefront_size: 64
  - .agpr_count:     0
    .args:
      - .offset:         0
        .size:           8
        .value_kind:     by_value
      - .offset:         8
        .size:           8
        .value_kind:     by_value
      - .actual_access:  read_only
        .address_space:  global
        .offset:         16
        .size:           8
        .value_kind:     global_buffer
      - .actual_access:  read_only
        .address_space:  global
        .offset:         24
        .size:           8
        .value_kind:     global_buffer
      - .actual_access:  read_only
        .address_space:  global
        .offset:         32
        .size:           8
        .value_kind:     global_buffer
      - .actual_access:  read_only
        .address_space:  global
        .offset:         40
        .size:           8
        .value_kind:     global_buffer
      - .actual_access:  write_only
        .address_space:  global
        .offset:         48
        .size:           8
        .value_kind:     global_buffer
      - .actual_access:  write_only
        .address_space:  global
        .offset:         56
        .size:           8
        .value_kind:     global_buffer
      - .offset:         64
        .size:           4
        .value_kind:     hidden_block_count_x
      - .offset:         68
        .size:           4
        .value_kind:     hidden_block_count_y
      - .offset:         72
        .size:           4
        .value_kind:     hidden_block_count_z
      - .offset:         76
        .size:           2
        .value_kind:     hidden_group_size_x
      - .offset:         78
        .size:           2
        .value_kind:     hidden_group_size_y
      - .offset:         80
        .size:           2
        .value_kind:     hidden_group_size_z
      - .offset:         82
        .size:           2
        .value_kind:     hidden_remainder_x
      - .offset:         84
        .size:           2
        .value_kind:     hidden_remainder_y
      - .offset:         86
        .size:           2
        .value_kind:     hidden_remainder_z
      - .offset:         104
        .size:           8
        .value_kind:     hidden_global_offset_x
      - .offset:         112
        .size:           8
        .value_kind:     hidden_global_offset_y
      - .offset:         120
        .size:           8
        .value_kind:     hidden_global_offset_z
      - .offset:         128
        .size:           2
        .value_kind:     hidden_grid_dims
      - .offset:         184
        .size:           4
        .value_kind:     hidden_dynamic_lds_size
    .group_segment_fixed_size: 0
    .kernarg_segment_align: 8
    .kernarg_segment_size: 320
    .language:       OpenCL C
    .language_version:
      - 2
      - 0
    .max_flat_workgroup_size: 512
    .name:           _ZN2at6native12_GLOBAL__N_135GammaBetaBackwardCUDAKernelTemplateIffLj32ELj16ELj128ELb0ELb0ELb0EEEvllPKT_S5_PKT0_S8_PS3_S9_
    .private_segment_fixed_size: 0
    .sgpr_count:     48
    .sgpr_spill_count: 0
    .symbol:         _ZN2at6native12_GLOBAL__N_135GammaBetaBackwardCUDAKernelTemplateIffLj32ELj16ELj128ELb0ELb0ELb0EEEvllPKT_S5_PKT0_S8_PS3_S9_.kd
    .uniform_work_group_size: 1
    .uses_dynamic_stack: false
    .vgpr_count:     98
    .vgpr_spill_count: 0
    .wavefront_size: 64
  - .agpr_count:     0
    .args:
      - .offset:         0
        .size:           8
        .value_kind:     by_value
      - .offset:         8
        .size:           8
        .value_kind:     by_value
      - .actual_access:  read_only
        .address_space:  global
        .offset:         16
        .size:           8
        .value_kind:     global_buffer
      - .actual_access:  read_only
        .address_space:  global
        .offset:         24
        .size:           8
        .value_kind:     global_buffer
      - .actual_access:  read_only
        .address_space:  global
        .offset:         32
        .size:           8
        .value_kind:     global_buffer
      - .actual_access:  read_only
        .address_space:  global
        .offset:         40
        .size:           8
        .value_kind:     global_buffer
      - .actual_access:  write_only
        .address_space:  global
        .offset:         48
        .size:           8
        .value_kind:     global_buffer
      - .actual_access:  write_only
        .address_space:  global
        .offset:         56
        .size:           8
        .value_kind:     global_buffer
      - .offset:         64
        .size:           4
        .value_kind:     hidden_block_count_x
      - .offset:         68
        .size:           4
        .value_kind:     hidden_block_count_y
      - .offset:         72
        .size:           4
        .value_kind:     hidden_block_count_z
      - .offset:         76
        .size:           2
        .value_kind:     hidden_group_size_x
      - .offset:         78
        .size:           2
        .value_kind:     hidden_group_size_y
      - .offset:         80
        .size:           2
        .value_kind:     hidden_group_size_z
      - .offset:         82
        .size:           2
        .value_kind:     hidden_remainder_x
      - .offset:         84
        .size:           2
        .value_kind:     hidden_remainder_y
      - .offset:         86
        .size:           2
        .value_kind:     hidden_remainder_z
      - .offset:         104
        .size:           8
        .value_kind:     hidden_global_offset_x
      - .offset:         112
        .size:           8
        .value_kind:     hidden_global_offset_y
      - .offset:         120
        .size:           8
        .value_kind:     hidden_global_offset_z
      - .offset:         128
        .size:           2
        .value_kind:     hidden_grid_dims
      - .offset:         184
        .size:           4
        .value_kind:     hidden_dynamic_lds_size
    .group_segment_fixed_size: 0
    .kernarg_segment_align: 8
    .kernarg_segment_size: 320
    .language:       OpenCL C
    .language_version:
      - 2
      - 0
    .max_flat_workgroup_size: 1024
    .name:           _ZN2at6native12_GLOBAL__N_135GammaBetaBackwardCUDAKernelTemplateIffLj32ELj32ELj256ELb0ELb1ELb0EEEvllPKT_S5_PKT0_S8_PS3_S9_
    .private_segment_fixed_size: 0
    .sgpr_count:     36
    .sgpr_spill_count: 0
    .symbol:         _ZN2at6native12_GLOBAL__N_135GammaBetaBackwardCUDAKernelTemplateIffLj32ELj32ELj256ELb0ELb1ELb0EEEvllPKT_S5_PKT0_S8_PS3_S9_.kd
    .uniform_work_group_size: 1
    .uses_dynamic_stack: false
    .vgpr_count:     49
    .vgpr_spill_count: 0
    .wavefront_size: 64
  - .agpr_count:     0
    .args:
      - .offset:         0
        .size:           8
        .value_kind:     by_value
      - .offset:         8
        .size:           8
        .value_kind:     by_value
      - .actual_access:  read_only
        .address_space:  global
        .offset:         16
        .size:           8
        .value_kind:     global_buffer
      - .actual_access:  read_only
        .address_space:  global
        .offset:         24
        .size:           8
        .value_kind:     global_buffer
      - .actual_access:  read_only
        .address_space:  global
        .offset:         32
        .size:           8
        .value_kind:     global_buffer
      - .actual_access:  read_only
        .address_space:  global
        .offset:         40
        .size:           8
        .value_kind:     global_buffer
      - .actual_access:  write_only
        .address_space:  global
        .offset:         48
        .size:           8
        .value_kind:     global_buffer
      - .actual_access:  write_only
        .address_space:  global
        .offset:         56
        .size:           8
        .value_kind:     global_buffer
      - .offset:         64
        .size:           4
        .value_kind:     hidden_block_count_x
      - .offset:         68
        .size:           4
        .value_kind:     hidden_block_count_y
      - .offset:         72
        .size:           4
        .value_kind:     hidden_block_count_z
      - .offset:         76
        .size:           2
        .value_kind:     hidden_group_size_x
      - .offset:         78
        .size:           2
        .value_kind:     hidden_group_size_y
      - .offset:         80
        .size:           2
        .value_kind:     hidden_group_size_z
      - .offset:         82
        .size:           2
        .value_kind:     hidden_remainder_x
      - .offset:         84
        .size:           2
        .value_kind:     hidden_remainder_y
      - .offset:         86
        .size:           2
        .value_kind:     hidden_remainder_z
      - .offset:         104
        .size:           8
        .value_kind:     hidden_global_offset_x
      - .offset:         112
        .size:           8
        .value_kind:     hidden_global_offset_y
      - .offset:         120
        .size:           8
        .value_kind:     hidden_global_offset_z
      - .offset:         128
        .size:           2
        .value_kind:     hidden_grid_dims
      - .offset:         184
        .size:           4
        .value_kind:     hidden_dynamic_lds_size
    .group_segment_fixed_size: 0
    .kernarg_segment_align: 8
    .kernarg_segment_size: 320
    .language:       OpenCL C
    .language_version:
      - 2
      - 0
    .max_flat_workgroup_size: 1024
    .name:           _ZN2at6native12_GLOBAL__N_135GammaBetaBackwardCUDAKernelTemplateIffLj32ELj32ELj256ELb0ELb0ELb0EEEvllPKT_S5_PKT0_S8_PS3_S9_
    .private_segment_fixed_size: 0
    .sgpr_count:     48
    .sgpr_spill_count: 0
    .symbol:         _ZN2at6native12_GLOBAL__N_135GammaBetaBackwardCUDAKernelTemplateIffLj32ELj32ELj256ELb0ELb0ELb0EEEvllPKT_S5_PKT0_S8_PS3_S9_.kd
    .uniform_work_group_size: 1
    .uses_dynamic_stack: false
    .vgpr_count:     98
    .vgpr_spill_count: 0
    .wavefront_size: 64
  - .agpr_count:     0
    .args:
      - .actual_access:  read_only
        .address_space:  global
        .offset:         0
        .size:           8
        .value_kind:     global_buffer
      - .actual_access:  read_only
        .address_space:  global
        .offset:         8
        .size:           8
        .value_kind:     global_buffer
      - .offset:         16
        .size:           8
        .value_kind:     by_value
      - .offset:         24
        .size:           8
        .value_kind:     by_value
      - .actual_access:  read_only
        .address_space:  global
        .offset:         32
        .size:           8
        .value_kind:     global_buffer
      - .actual_access:  read_only
        .address_space:  global
        .offset:         40
        .size:           8
        .value_kind:     global_buffer
      - .address_space:  global
        .offset:         48
        .size:           8
        .value_kind:     global_buffer
      - .address_space:  global
        .offset:         56
        .size:           8
        .value_kind:     global_buffer
      - .offset:         64
        .size:           4
        .value_kind:     hidden_block_count_x
      - .offset:         68
        .size:           4
        .value_kind:     hidden_block_count_y
      - .offset:         72
        .size:           4
        .value_kind:     hidden_block_count_z
      - .offset:         76
        .size:           2
        .value_kind:     hidden_group_size_x
      - .offset:         78
        .size:           2
        .value_kind:     hidden_group_size_y
      - .offset:         80
        .size:           2
        .value_kind:     hidden_group_size_z
      - .offset:         82
        .size:           2
        .value_kind:     hidden_remainder_x
      - .offset:         84
        .size:           2
        .value_kind:     hidden_remainder_y
      - .offset:         86
        .size:           2
        .value_kind:     hidden_remainder_z
      - .offset:         104
        .size:           8
        .value_kind:     hidden_global_offset_x
      - .offset:         112
        .size:           8
        .value_kind:     hidden_global_offset_y
      - .offset:         120
        .size:           8
        .value_kind:     hidden_global_offset_z
      - .offset:         128
        .size:           2
        .value_kind:     hidden_grid_dims
      - .offset:         184
        .size:           4
        .value_kind:     hidden_dynamic_lds_size
    .group_segment_fixed_size: 0
    .kernarg_segment_align: 8
    .kernarg_segment_size: 320
    .language:       OpenCL C
    .language_version:
      - 2
      - 0
    .max_flat_workgroup_size: 1024
    .name:           _ZN2at6native12_GLOBAL__N_118cuComputeGradInputIN3c104HalfEfLb0EEEvPKT_S7_llPKT0_SA_S7_PS5_
    .private_segment_fixed_size: 0
    .sgpr_count:     57
    .sgpr_spill_count: 0
    .symbol:         _ZN2at6native12_GLOBAL__N_118cuComputeGradInputIN3c104HalfEfLb0EEEvPKT_S7_llPKT0_SA_S7_PS5_.kd
    .uniform_work_group_size: 1
    .uses_dynamic_stack: false
    .vgpr_count:     28
    .vgpr_spill_count: 0
    .wavefront_size: 64
  - .agpr_count:     0
    .args:
      - .actual_access:  read_only
        .address_space:  global
        .offset:         0
        .size:           8
        .value_kind:     global_buffer
      - .actual_access:  read_only
        .address_space:  global
        .offset:         8
        .size:           8
        .value_kind:     global_buffer
      - .actual_access:  read_only
        .address_space:  global
        .offset:         16
        .size:           8
        .value_kind:     global_buffer
      - .actual_access:  read_only
        .address_space:  global
        .offset:         24
        .size:           8
        .value_kind:     global_buffer
      - .actual_access:  read_only
        .address_space:  global
        .offset:         32
        .size:           8
        .value_kind:     global_buffer
      - .address_space:  global
        .offset:         40
        .size:           8
        .value_kind:     global_buffer
      - .offset:         48
        .size:           4
        .value_kind:     by_value
      - .offset:         56
        .size:           4
        .value_kind:     hidden_block_count_x
      - .offset:         60
        .size:           4
        .value_kind:     hidden_block_count_y
      - .offset:         64
        .size:           4
        .value_kind:     hidden_block_count_z
      - .offset:         68
        .size:           2
        .value_kind:     hidden_group_size_x
      - .offset:         70
        .size:           2
        .value_kind:     hidden_group_size_y
      - .offset:         72
        .size:           2
        .value_kind:     hidden_group_size_z
      - .offset:         74
        .size:           2
        .value_kind:     hidden_remainder_x
      - .offset:         76
        .size:           2
        .value_kind:     hidden_remainder_y
      - .offset:         78
        .size:           2
        .value_kind:     hidden_remainder_z
      - .offset:         96
        .size:           8
        .value_kind:     hidden_global_offset_x
      - .offset:         104
        .size:           8
        .value_kind:     hidden_global_offset_y
      - .offset:         112
        .size:           8
        .value_kind:     hidden_global_offset_z
      - .offset:         120
        .size:           2
        .value_kind:     hidden_grid_dims
      - .offset:         176
        .size:           4
        .value_kind:     hidden_dynamic_lds_size
    .group_segment_fixed_size: 0
    .kernarg_segment_align: 8
    .kernarg_segment_size: 312
    .language:       OpenCL C
    .language_version:
      - 2
      - 0
    .max_flat_workgroup_size: 1024
    .name:           _ZN2at6native12_GLOBAL__N_128layer_norm_grad_input_kernelIN3c104HalfEfLb0EEEvPKT_S7_PKT0_SA_S7_PS5_i
    .private_segment_fixed_size: 0
    .sgpr_count:     36
    .sgpr_spill_count: 0
    .symbol:         _ZN2at6native12_GLOBAL__N_128layer_norm_grad_input_kernelIN3c104HalfEfLb0EEEvPKT_S7_PKT0_SA_S7_PS5_i.kd
    .uniform_work_group_size: 1
    .uses_dynamic_stack: false
    .vgpr_count:     25
    .vgpr_spill_count: 0
    .wavefront_size: 64
  - .agpr_count:     0
    .args:
      - .offset:         0
        .size:           8
        .value_kind:     by_value
      - .offset:         8
        .size:           8
        .value_kind:     by_value
      - .address_space:  global
        .offset:         16
        .size:           8
        .value_kind:     global_buffer
      - .address_space:  global
        .offset:         24
        .size:           8
        .value_kind:     global_buffer
      - .address_space:  global
        .offset:         32
        .size:           8
        .value_kind:     global_buffer
      - .address_space:  global
        .offset:         40
        .size:           8
        .value_kind:     global_buffer
      - .address_space:  global
        .offset:         48
        .size:           8
        .value_kind:     global_buffer
      - .address_space:  global
        .offset:         56
        .size:           8
        .value_kind:     global_buffer
      - .offset:         64
        .size:           4
        .value_kind:     hidden_block_count_x
      - .offset:         68
        .size:           4
        .value_kind:     hidden_block_count_y
      - .offset:         72
        .size:           4
        .value_kind:     hidden_block_count_z
      - .offset:         76
        .size:           2
        .value_kind:     hidden_group_size_x
      - .offset:         78
        .size:           2
        .value_kind:     hidden_group_size_y
      - .offset:         80
        .size:           2
        .value_kind:     hidden_group_size_z
      - .offset:         82
        .size:           2
        .value_kind:     hidden_remainder_x
      - .offset:         84
        .size:           2
        .value_kind:     hidden_remainder_y
      - .offset:         86
        .size:           2
        .value_kind:     hidden_remainder_z
      - .offset:         104
        .size:           8
        .value_kind:     hidden_global_offset_x
      - .offset:         112
        .size:           8
        .value_kind:     hidden_global_offset_y
      - .offset:         120
        .size:           8
        .value_kind:     hidden_global_offset_z
      - .offset:         128
        .size:           2
        .value_kind:     hidden_grid_dims
    .group_segment_fixed_size: 0
    .kernarg_segment_align: 8
    .kernarg_segment_size: 320
    .language:       OpenCL C
    .language_version:
      - 2
      - 0
    .max_flat_workgroup_size: 1024
    .name:           _ZN2at6native12_GLOBAL__N_133GammaBetaBackwardSimpleCUDAKernelIN3c104HalfEfLb0EEEvllPKT_S7_PKT0_SA_PS5_SB_
    .private_segment_fixed_size: 0
    .sgpr_count:     28
    .sgpr_spill_count: 0
    .symbol:         _ZN2at6native12_GLOBAL__N_133GammaBetaBackwardSimpleCUDAKernelIN3c104HalfEfLb0EEEvllPKT_S7_PKT0_SA_PS5_SB_.kd
    .uniform_work_group_size: 1
    .uses_dynamic_stack: false
    .vgpr_count:     10
    .vgpr_spill_count: 0
    .wavefront_size: 64
  - .agpr_count:     0
    .args:
      - .offset:         0
        .size:           8
        .value_kind:     by_value
      - .offset:         8
        .size:           8
        .value_kind:     by_value
      - .actual_access:  read_only
        .address_space:  global
        .offset:         16
        .size:           8
        .value_kind:     global_buffer
      - .actual_access:  read_only
        .address_space:  global
        .offset:         24
        .size:           8
        .value_kind:     global_buffer
      - .actual_access:  read_only
        .address_space:  global
        .offset:         32
        .size:           8
        .value_kind:     global_buffer
      - .actual_access:  read_only
        .address_space:  global
        .offset:         40
        .size:           8
        .value_kind:     global_buffer
      - .actual_access:  write_only
        .address_space:  global
        .offset:         48
        .size:           8
        .value_kind:     global_buffer
      - .actual_access:  write_only
        .address_space:  global
        .offset:         56
        .size:           8
        .value_kind:     global_buffer
      - .offset:         64
        .size:           4
        .value_kind:     hidden_block_count_x
      - .offset:         68
        .size:           4
        .value_kind:     hidden_block_count_y
      - .offset:         72
        .size:           4
        .value_kind:     hidden_block_count_z
      - .offset:         76
        .size:           2
        .value_kind:     hidden_group_size_x
      - .offset:         78
        .size:           2
        .value_kind:     hidden_group_size_y
      - .offset:         80
        .size:           2
        .value_kind:     hidden_group_size_z
      - .offset:         82
        .size:           2
        .value_kind:     hidden_remainder_x
      - .offset:         84
        .size:           2
        .value_kind:     hidden_remainder_y
      - .offset:         86
        .size:           2
        .value_kind:     hidden_remainder_z
      - .offset:         104
        .size:           8
        .value_kind:     hidden_global_offset_x
      - .offset:         112
        .size:           8
        .value_kind:     hidden_global_offset_y
      - .offset:         120
        .size:           8
        .value_kind:     hidden_global_offset_z
      - .offset:         128
        .size:           2
        .value_kind:     hidden_grid_dims
    .group_segment_fixed_size: 0
    .kernarg_segment_align: 8
    .kernarg_segment_size: 320
    .language:       OpenCL C
    .language_version:
      - 2
      - 0
    .max_flat_workgroup_size: 64
    .name:           _ZN2at6native12_GLOBAL__N_135GammaBetaBackwardCUDAKernelTemplateIN3c104HalfEfLj64ELj1ELj32ELb1ELb1ELb0EEEvllPKT_S7_PKT0_SA_PS5_SB_
    .private_segment_fixed_size: 0
    .sgpr_count:     44
    .sgpr_spill_count: 0
    .symbol:         _ZN2at6native12_GLOBAL__N_135GammaBetaBackwardCUDAKernelTemplateIN3c104HalfEfLj64ELj1ELj32ELb1ELb1ELb0EEEvllPKT_S7_PKT0_SA_PS5_SB_.kd
    .uniform_work_group_size: 1
    .uses_dynamic_stack: false
    .vgpr_count:     83
    .vgpr_spill_count: 0
    .wavefront_size: 64
  - .agpr_count:     88
    .args:
      - .offset:         0
        .size:           8
        .value_kind:     by_value
      - .offset:         8
        .size:           8
        .value_kind:     by_value
      - .actual_access:  read_only
        .address_space:  global
        .offset:         16
        .size:           8
        .value_kind:     global_buffer
      - .actual_access:  read_only
        .address_space:  global
        .offset:         24
        .size:           8
        .value_kind:     global_buffer
      - .actual_access:  read_only
        .address_space:  global
        .offset:         32
        .size:           8
        .value_kind:     global_buffer
      - .actual_access:  read_only
        .address_space:  global
        .offset:         40
        .size:           8
        .value_kind:     global_buffer
      - .actual_access:  write_only
        .address_space:  global
        .offset:         48
        .size:           8
        .value_kind:     global_buffer
      - .actual_access:  write_only
        .address_space:  global
        .offset:         56
        .size:           8
        .value_kind:     global_buffer
      - .offset:         64
        .size:           4
        .value_kind:     hidden_block_count_x
      - .offset:         68
        .size:           4
        .value_kind:     hidden_block_count_y
      - .offset:         72
        .size:           4
        .value_kind:     hidden_block_count_z
      - .offset:         76
        .size:           2
        .value_kind:     hidden_group_size_x
      - .offset:         78
        .size:           2
        .value_kind:     hidden_group_size_y
      - .offset:         80
        .size:           2
        .value_kind:     hidden_group_size_z
      - .offset:         82
        .size:           2
        .value_kind:     hidden_remainder_x
      - .offset:         84
        .size:           2
        .value_kind:     hidden_remainder_y
      - .offset:         86
        .size:           2
        .value_kind:     hidden_remainder_z
      - .offset:         104
        .size:           8
        .value_kind:     hidden_global_offset_x
      - .offset:         112
        .size:           8
        .value_kind:     hidden_global_offset_y
      - .offset:         120
        .size:           8
        .value_kind:     hidden_global_offset_z
      - .offset:         128
        .size:           2
        .value_kind:     hidden_grid_dims
    .group_segment_fixed_size: 0
    .kernarg_segment_align: 8
    .kernarg_segment_size: 320
    .language:       OpenCL C
    .language_version:
      - 2
      - 0
    .max_flat_workgroup_size: 64
    .name:           _ZN2at6native12_GLOBAL__N_135GammaBetaBackwardCUDAKernelTemplateIN3c104HalfEfLj64ELj1ELj32ELb1ELb0ELb0EEEvllPKT_S7_PKT0_SA_PS5_SB_
    .private_segment_fixed_size: 0
    .sgpr_count:     42
    .sgpr_spill_count: 0
    .symbol:         _ZN2at6native12_GLOBAL__N_135GammaBetaBackwardCUDAKernelTemplateIN3c104HalfEfLj64ELj1ELj32ELb1ELb0ELb0EEEvllPKT_S7_PKT0_SA_PS5_SB_.kd
    .uniform_work_group_size: 1
    .uses_dynamic_stack: false
    .vgpr_count:     344
    .vgpr_spill_count: 0
    .wavefront_size: 64
  - .agpr_count:     0
    .args:
      - .offset:         0
        .size:           8
        .value_kind:     by_value
      - .offset:         8
        .size:           8
        .value_kind:     by_value
      - .actual_access:  read_only
        .address_space:  global
        .offset:         16
        .size:           8
        .value_kind:     global_buffer
      - .actual_access:  read_only
        .address_space:  global
        .offset:         24
        .size:           8
        .value_kind:     global_buffer
      - .actual_access:  read_only
        .address_space:  global
        .offset:         32
        .size:           8
        .value_kind:     global_buffer
      - .actual_access:  read_only
        .address_space:  global
        .offset:         40
        .size:           8
        .value_kind:     global_buffer
      - .actual_access:  write_only
        .address_space:  global
        .offset:         48
        .size:           8
        .value_kind:     global_buffer
      - .actual_access:  write_only
        .address_space:  global
        .offset:         56
        .size:           8
        .value_kind:     global_buffer
      - .offset:         64
        .size:           4
        .value_kind:     hidden_block_count_x
      - .offset:         68
        .size:           4
        .value_kind:     hidden_block_count_y
      - .offset:         72
        .size:           4
        .value_kind:     hidden_block_count_z
      - .offset:         76
        .size:           2
        .value_kind:     hidden_group_size_x
      - .offset:         78
        .size:           2
        .value_kind:     hidden_group_size_y
      - .offset:         80
        .size:           2
        .value_kind:     hidden_group_size_z
      - .offset:         82
        .size:           2
        .value_kind:     hidden_remainder_x
      - .offset:         84
        .size:           2
        .value_kind:     hidden_remainder_y
      - .offset:         86
        .size:           2
        .value_kind:     hidden_remainder_z
      - .offset:         104
        .size:           8
        .value_kind:     hidden_global_offset_x
      - .offset:         112
        .size:           8
        .value_kind:     hidden_global_offset_y
      - .offset:         120
        .size:           8
        .value_kind:     hidden_global_offset_z
      - .offset:         128
        .size:           2
        .value_kind:     hidden_grid_dims
    .group_segment_fixed_size: 0
    .kernarg_segment_align: 8
    .kernarg_segment_size: 320
    .language:       OpenCL C
    .language_version:
      - 2
      - 0
    .max_flat_workgroup_size: 64
    .name:           _ZN2at6native12_GLOBAL__N_135GammaBetaBackwardCUDAKernelTemplateIN3c104HalfEfLj64ELj1ELj8ELb1ELb1ELb0EEEvllPKT_S7_PKT0_SA_PS5_SB_
    .private_segment_fixed_size: 0
    .sgpr_count:     44
    .sgpr_spill_count: 0
    .symbol:         _ZN2at6native12_GLOBAL__N_135GammaBetaBackwardCUDAKernelTemplateIN3c104HalfEfLj64ELj1ELj8ELb1ELb1ELb0EEEvllPKT_S7_PKT0_SA_PS5_SB_.kd
    .uniform_work_group_size: 1
    .uses_dynamic_stack: false
    .vgpr_count:     47
    .vgpr_spill_count: 0
    .wavefront_size: 64
  - .agpr_count:     0
    .args:
      - .offset:         0
        .size:           8
        .value_kind:     by_value
      - .offset:         8
        .size:           8
        .value_kind:     by_value
      - .actual_access:  read_only
        .address_space:  global
        .offset:         16
        .size:           8
        .value_kind:     global_buffer
      - .actual_access:  read_only
        .address_space:  global
        .offset:         24
        .size:           8
        .value_kind:     global_buffer
      - .actual_access:  read_only
        .address_space:  global
        .offset:         32
        .size:           8
        .value_kind:     global_buffer
      - .actual_access:  read_only
        .address_space:  global
        .offset:         40
        .size:           8
        .value_kind:     global_buffer
      - .actual_access:  write_only
        .address_space:  global
        .offset:         48
        .size:           8
        .value_kind:     global_buffer
      - .actual_access:  write_only
        .address_space:  global
        .offset:         56
        .size:           8
        .value_kind:     global_buffer
      - .offset:         64
        .size:           4
        .value_kind:     hidden_block_count_x
      - .offset:         68
        .size:           4
        .value_kind:     hidden_block_count_y
      - .offset:         72
        .size:           4
        .value_kind:     hidden_block_count_z
      - .offset:         76
        .size:           2
        .value_kind:     hidden_group_size_x
      - .offset:         78
        .size:           2
        .value_kind:     hidden_group_size_y
      - .offset:         80
        .size:           2
        .value_kind:     hidden_group_size_z
      - .offset:         82
        .size:           2
        .value_kind:     hidden_remainder_x
      - .offset:         84
        .size:           2
        .value_kind:     hidden_remainder_y
      - .offset:         86
        .size:           2
        .value_kind:     hidden_remainder_z
      - .offset:         104
        .size:           8
        .value_kind:     hidden_global_offset_x
      - .offset:         112
        .size:           8
        .value_kind:     hidden_global_offset_y
      - .offset:         120
        .size:           8
        .value_kind:     hidden_global_offset_z
      - .offset:         128
        .size:           2
        .value_kind:     hidden_grid_dims
    .group_segment_fixed_size: 0
    .kernarg_segment_align: 8
    .kernarg_segment_size: 320
    .language:       OpenCL C
    .language_version:
      - 2
      - 0
    .max_flat_workgroup_size: 64
    .name:           _ZN2at6native12_GLOBAL__N_135GammaBetaBackwardCUDAKernelTemplateIN3c104HalfEfLj64ELj1ELj8ELb1ELb0ELb0EEEvllPKT_S7_PKT0_SA_PS5_SB_
    .private_segment_fixed_size: 0
    .sgpr_count:     50
    .sgpr_spill_count: 0
    .symbol:         _ZN2at6native12_GLOBAL__N_135GammaBetaBackwardCUDAKernelTemplateIN3c104HalfEfLj64ELj1ELj8ELb1ELb0ELb0EEEvllPKT_S7_PKT0_SA_PS5_SB_.kd
    .uniform_work_group_size: 1
    .uses_dynamic_stack: false
    .vgpr_count:     100
    .vgpr_spill_count: 0
    .wavefront_size: 64
  - .agpr_count:     0
    .args:
      - .offset:         0
        .size:           8
        .value_kind:     by_value
      - .offset:         8
        .size:           8
        .value_kind:     by_value
      - .actual_access:  read_only
        .address_space:  global
        .offset:         16
        .size:           8
        .value_kind:     global_buffer
      - .actual_access:  read_only
        .address_space:  global
        .offset:         24
        .size:           8
        .value_kind:     global_buffer
      - .actual_access:  read_only
        .address_space:  global
        .offset:         32
        .size:           8
        .value_kind:     global_buffer
      - .actual_access:  read_only
        .address_space:  global
        .offset:         40
        .size:           8
        .value_kind:     global_buffer
      - .actual_access:  write_only
        .address_space:  global
        .offset:         48
        .size:           8
        .value_kind:     global_buffer
      - .actual_access:  write_only
        .address_space:  global
        .offset:         56
        .size:           8
        .value_kind:     global_buffer
      - .offset:         64
        .size:           4
        .value_kind:     hidden_block_count_x
      - .offset:         68
        .size:           4
        .value_kind:     hidden_block_count_y
      - .offset:         72
        .size:           4
        .value_kind:     hidden_block_count_z
      - .offset:         76
        .size:           2
        .value_kind:     hidden_group_size_x
      - .offset:         78
        .size:           2
        .value_kind:     hidden_group_size_y
      - .offset:         80
        .size:           2
        .value_kind:     hidden_group_size_z
      - .offset:         82
        .size:           2
        .value_kind:     hidden_remainder_x
      - .offset:         84
        .size:           2
        .value_kind:     hidden_remainder_y
      - .offset:         86
        .size:           2
        .value_kind:     hidden_remainder_z
      - .offset:         104
        .size:           8
        .value_kind:     hidden_global_offset_x
      - .offset:         112
        .size:           8
        .value_kind:     hidden_global_offset_y
      - .offset:         120
        .size:           8
        .value_kind:     hidden_global_offset_z
      - .offset:         128
        .size:           2
        .value_kind:     hidden_grid_dims
      - .offset:         184
        .size:           4
        .value_kind:     hidden_dynamic_lds_size
    .group_segment_fixed_size: 0
    .kernarg_segment_align: 8
    .kernarg_segment_size: 320
    .language:       OpenCL C
    .language_version:
      - 2
      - 0
    .max_flat_workgroup_size: 512
    .name:           _ZN2at6native12_GLOBAL__N_135GammaBetaBackwardCUDAKernelTemplateIN3c104HalfEfLj64ELj8ELj64ELb0ELb1ELb0EEEvllPKT_S7_PKT0_SA_PS5_SB_
    .private_segment_fixed_size: 0
    .sgpr_count:     36
    .sgpr_spill_count: 0
    .symbol:         _ZN2at6native12_GLOBAL__N_135GammaBetaBackwardCUDAKernelTemplateIN3c104HalfEfLj64ELj8ELj64ELb0ELb1ELb0EEEvllPKT_S7_PKT0_SA_PS5_SB_.kd
    .uniform_work_group_size: 1
    .uses_dynamic_stack: false
    .vgpr_count:     48
    .vgpr_spill_count: 0
    .wavefront_size: 64
  - .agpr_count:     0
    .args:
      - .offset:         0
        .size:           8
        .value_kind:     by_value
      - .offset:         8
        .size:           8
        .value_kind:     by_value
      - .actual_access:  read_only
        .address_space:  global
        .offset:         16
        .size:           8
        .value_kind:     global_buffer
      - .actual_access:  read_only
        .address_space:  global
        .offset:         24
        .size:           8
        .value_kind:     global_buffer
      - .actual_access:  read_only
        .address_space:  global
        .offset:         32
        .size:           8
        .value_kind:     global_buffer
      - .actual_access:  read_only
        .address_space:  global
        .offset:         40
        .size:           8
        .value_kind:     global_buffer
      - .actual_access:  write_only
        .address_space:  global
        .offset:         48
        .size:           8
        .value_kind:     global_buffer
      - .actual_access:  write_only
        .address_space:  global
        .offset:         56
        .size:           8
        .value_kind:     global_buffer
      - .offset:         64
        .size:           4
        .value_kind:     hidden_block_count_x
      - .offset:         68
        .size:           4
        .value_kind:     hidden_block_count_y
      - .offset:         72
        .size:           4
        .value_kind:     hidden_block_count_z
      - .offset:         76
        .size:           2
        .value_kind:     hidden_group_size_x
      - .offset:         78
        .size:           2
        .value_kind:     hidden_group_size_y
      - .offset:         80
        .size:           2
        .value_kind:     hidden_group_size_z
      - .offset:         82
        .size:           2
        .value_kind:     hidden_remainder_x
      - .offset:         84
        .size:           2
        .value_kind:     hidden_remainder_y
      - .offset:         86
        .size:           2
        .value_kind:     hidden_remainder_z
      - .offset:         104
        .size:           8
        .value_kind:     hidden_global_offset_x
      - .offset:         112
        .size:           8
        .value_kind:     hidden_global_offset_y
      - .offset:         120
        .size:           8
        .value_kind:     hidden_global_offset_z
      - .offset:         128
        .size:           2
        .value_kind:     hidden_grid_dims
      - .offset:         184
        .size:           4
        .value_kind:     hidden_dynamic_lds_size
    .group_segment_fixed_size: 0
    .kernarg_segment_align: 8
    .kernarg_segment_size: 320
    .language:       OpenCL C
    .language_version:
      - 2
      - 0
    .max_flat_workgroup_size: 512
    .name:           _ZN2at6native12_GLOBAL__N_135GammaBetaBackwardCUDAKernelTemplateIN3c104HalfEfLj64ELj8ELj64ELb0ELb0ELb0EEEvllPKT_S7_PKT0_SA_PS5_SB_
    .private_segment_fixed_size: 0
    .sgpr_count:     48
    .sgpr_spill_count: 0
    .symbol:         _ZN2at6native12_GLOBAL__N_135GammaBetaBackwardCUDAKernelTemplateIN3c104HalfEfLj64ELj8ELj64ELb0ELb0ELb0EEEvllPKT_S7_PKT0_SA_PS5_SB_.kd
    .uniform_work_group_size: 1
    .uses_dynamic_stack: false
    .vgpr_count:     100
    .vgpr_spill_count: 0
    .wavefront_size: 64
  - .agpr_count:     0
    .args:
      - .offset:         0
        .size:           8
        .value_kind:     by_value
      - .offset:         8
        .size:           8
        .value_kind:     by_value
      - .actual_access:  read_only
        .address_space:  global
        .offset:         16
        .size:           8
        .value_kind:     global_buffer
      - .actual_access:  read_only
        .address_space:  global
        .offset:         24
        .size:           8
        .value_kind:     global_buffer
      - .actual_access:  read_only
        .address_space:  global
        .offset:         32
        .size:           8
        .value_kind:     global_buffer
      - .actual_access:  read_only
        .address_space:  global
        .offset:         40
        .size:           8
        .value_kind:     global_buffer
      - .actual_access:  write_only
        .address_space:  global
        .offset:         48
        .size:           8
        .value_kind:     global_buffer
      - .actual_access:  write_only
        .address_space:  global
        .offset:         56
        .size:           8
        .value_kind:     global_buffer
      - .offset:         64
        .size:           4
        .value_kind:     hidden_block_count_x
      - .offset:         68
        .size:           4
        .value_kind:     hidden_block_count_y
      - .offset:         72
        .size:           4
        .value_kind:     hidden_block_count_z
      - .offset:         76
        .size:           2
        .value_kind:     hidden_group_size_x
      - .offset:         78
        .size:           2
        .value_kind:     hidden_group_size_y
      - .offset:         80
        .size:           2
        .value_kind:     hidden_group_size_z
      - .offset:         82
        .size:           2
        .value_kind:     hidden_remainder_x
      - .offset:         84
        .size:           2
        .value_kind:     hidden_remainder_y
      - .offset:         86
        .size:           2
        .value_kind:     hidden_remainder_z
      - .offset:         104
        .size:           8
        .value_kind:     hidden_global_offset_x
      - .offset:         112
        .size:           8
        .value_kind:     hidden_global_offset_y
      - .offset:         120
        .size:           8
        .value_kind:     hidden_global_offset_z
      - .offset:         128
        .size:           2
        .value_kind:     hidden_grid_dims
      - .offset:         184
        .size:           4
        .value_kind:     hidden_dynamic_lds_size
    .group_segment_fixed_size: 0
    .kernarg_segment_align: 8
    .kernarg_segment_size: 320
    .language:       OpenCL C
    .language_version:
      - 2
      - 0
    .max_flat_workgroup_size: 1024
    .name:           _ZN2at6native12_GLOBAL__N_135GammaBetaBackwardCUDAKernelTemplateIN3c104HalfEfLj64ELj16ELj128ELb0ELb1ELb0EEEvllPKT_S7_PKT0_SA_PS5_SB_
    .private_segment_fixed_size: 0
    .sgpr_count:     36
    .sgpr_spill_count: 0
    .symbol:         _ZN2at6native12_GLOBAL__N_135GammaBetaBackwardCUDAKernelTemplateIN3c104HalfEfLj64ELj16ELj128ELb0ELb1ELb0EEEvllPKT_S7_PKT0_SA_PS5_SB_.kd
    .uniform_work_group_size: 1
    .uses_dynamic_stack: false
    .vgpr_count:     48
    .vgpr_spill_count: 0
    .wavefront_size: 64
  - .agpr_count:     0
    .args:
      - .offset:         0
        .size:           8
        .value_kind:     by_value
      - .offset:         8
        .size:           8
        .value_kind:     by_value
      - .actual_access:  read_only
        .address_space:  global
        .offset:         16
        .size:           8
        .value_kind:     global_buffer
      - .actual_access:  read_only
        .address_space:  global
        .offset:         24
        .size:           8
        .value_kind:     global_buffer
      - .actual_access:  read_only
        .address_space:  global
        .offset:         32
        .size:           8
        .value_kind:     global_buffer
      - .actual_access:  read_only
        .address_space:  global
        .offset:         40
        .size:           8
        .value_kind:     global_buffer
      - .actual_access:  write_only
        .address_space:  global
        .offset:         48
        .size:           8
        .value_kind:     global_buffer
      - .actual_access:  write_only
        .address_space:  global
        .offset:         56
        .size:           8
        .value_kind:     global_buffer
      - .offset:         64
        .size:           4
        .value_kind:     hidden_block_count_x
      - .offset:         68
        .size:           4
        .value_kind:     hidden_block_count_y
      - .offset:         72
        .size:           4
        .value_kind:     hidden_block_count_z
      - .offset:         76
        .size:           2
        .value_kind:     hidden_group_size_x
      - .offset:         78
        .size:           2
        .value_kind:     hidden_group_size_y
      - .offset:         80
        .size:           2
        .value_kind:     hidden_group_size_z
      - .offset:         82
        .size:           2
        .value_kind:     hidden_remainder_x
      - .offset:         84
        .size:           2
        .value_kind:     hidden_remainder_y
      - .offset:         86
        .size:           2
        .value_kind:     hidden_remainder_z
      - .offset:         104
        .size:           8
        .value_kind:     hidden_global_offset_x
      - .offset:         112
        .size:           8
        .value_kind:     hidden_global_offset_y
      - .offset:         120
        .size:           8
        .value_kind:     hidden_global_offset_z
      - .offset:         128
        .size:           2
        .value_kind:     hidden_grid_dims
      - .offset:         184
        .size:           4
        .value_kind:     hidden_dynamic_lds_size
    .group_segment_fixed_size: 0
    .kernarg_segment_align: 8
    .kernarg_segment_size: 320
    .language:       OpenCL C
    .language_version:
      - 2
      - 0
    .max_flat_workgroup_size: 1024
    .name:           _ZN2at6native12_GLOBAL__N_135GammaBetaBackwardCUDAKernelTemplateIN3c104HalfEfLj64ELj16ELj128ELb0ELb0ELb0EEEvllPKT_S7_PKT0_SA_PS5_SB_
    .private_segment_fixed_size: 0
    .sgpr_count:     48
    .sgpr_spill_count: 0
    .symbol:         _ZN2at6native12_GLOBAL__N_135GammaBetaBackwardCUDAKernelTemplateIN3c104HalfEfLj64ELj16ELj128ELb0ELb0ELb0EEEvllPKT_S7_PKT0_SA_PS5_SB_.kd
    .uniform_work_group_size: 1
    .uses_dynamic_stack: false
    .vgpr_count:     100
    .vgpr_spill_count: 0
    .wavefront_size: 64
  - .agpr_count:     0
    .args:
      - .offset:         0
        .size:           8
        .value_kind:     by_value
      - .offset:         8
        .size:           8
        .value_kind:     by_value
      - .actual_access:  read_only
        .address_space:  global
        .offset:         16
        .size:           8
        .value_kind:     global_buffer
      - .actual_access:  read_only
        .address_space:  global
        .offset:         24
        .size:           8
        .value_kind:     global_buffer
      - .actual_access:  read_only
        .address_space:  global
        .offset:         32
        .size:           8
        .value_kind:     global_buffer
      - .actual_access:  read_only
        .address_space:  global
        .offset:         40
        .size:           8
        .value_kind:     global_buffer
      - .actual_access:  write_only
        .address_space:  global
        .offset:         48
        .size:           8
        .value_kind:     global_buffer
      - .actual_access:  write_only
        .address_space:  global
        .offset:         56
        .size:           8
        .value_kind:     global_buffer
      - .offset:         64
        .size:           4
        .value_kind:     hidden_block_count_x
      - .offset:         68
        .size:           4
        .value_kind:     hidden_block_count_y
      - .offset:         72
        .size:           4
        .value_kind:     hidden_block_count_z
      - .offset:         76
        .size:           2
        .value_kind:     hidden_group_size_x
      - .offset:         78
        .size:           2
        .value_kind:     hidden_group_size_y
      - .offset:         80
        .size:           2
        .value_kind:     hidden_group_size_z
      - .offset:         82
        .size:           2
        .value_kind:     hidden_remainder_x
      - .offset:         84
        .size:           2
        .value_kind:     hidden_remainder_y
      - .offset:         86
        .size:           2
        .value_kind:     hidden_remainder_z
      - .offset:         104
        .size:           8
        .value_kind:     hidden_global_offset_x
      - .offset:         112
        .size:           8
        .value_kind:     hidden_global_offset_y
      - .offset:         120
        .size:           8
        .value_kind:     hidden_global_offset_z
      - .offset:         128
        .size:           2
        .value_kind:     hidden_grid_dims
      - .offset:         184
        .size:           4
        .value_kind:     hidden_dynamic_lds_size
    .group_segment_fixed_size: 0
    .kernarg_segment_align: 8
    .kernarg_segment_size: 320
    .language:       OpenCL C
    .language_version:
      - 2
      - 0
    .max_flat_workgroup_size: 1024
    .name:           _ZN2at6native12_GLOBAL__N_135GammaBetaBackwardCUDAKernelTemplateIN3c104HalfEfLj64ELj16ELj256ELb0ELb1ELb0EEEvllPKT_S7_PKT0_SA_PS5_SB_
    .private_segment_fixed_size: 0
    .sgpr_count:     36
    .sgpr_spill_count: 0
    .symbol:         _ZN2at6native12_GLOBAL__N_135GammaBetaBackwardCUDAKernelTemplateIN3c104HalfEfLj64ELj16ELj256ELb0ELb1ELb0EEEvllPKT_S7_PKT0_SA_PS5_SB_.kd
    .uniform_work_group_size: 1
    .uses_dynamic_stack: false
    .vgpr_count:     68
    .vgpr_spill_count: 0
    .wavefront_size: 64
  - .agpr_count:     0
    .args:
      - .offset:         0
        .size:           8
        .value_kind:     by_value
      - .offset:         8
        .size:           8
        .value_kind:     by_value
      - .actual_access:  read_only
        .address_space:  global
        .offset:         16
        .size:           8
        .value_kind:     global_buffer
      - .actual_access:  read_only
        .address_space:  global
        .offset:         24
        .size:           8
        .value_kind:     global_buffer
      - .actual_access:  read_only
        .address_space:  global
        .offset:         32
        .size:           8
        .value_kind:     global_buffer
      - .actual_access:  read_only
        .address_space:  global
        .offset:         40
        .size:           8
        .value_kind:     global_buffer
      - .actual_access:  write_only
        .address_space:  global
        .offset:         48
        .size:           8
        .value_kind:     global_buffer
      - .actual_access:  write_only
        .address_space:  global
        .offset:         56
        .size:           8
        .value_kind:     global_buffer
      - .offset:         64
        .size:           4
        .value_kind:     hidden_block_count_x
      - .offset:         68
        .size:           4
        .value_kind:     hidden_block_count_y
      - .offset:         72
        .size:           4
        .value_kind:     hidden_block_count_z
      - .offset:         76
        .size:           2
        .value_kind:     hidden_group_size_x
      - .offset:         78
        .size:           2
        .value_kind:     hidden_group_size_y
      - .offset:         80
        .size:           2
        .value_kind:     hidden_group_size_z
      - .offset:         82
        .size:           2
        .value_kind:     hidden_remainder_x
      - .offset:         84
        .size:           2
        .value_kind:     hidden_remainder_y
      - .offset:         86
        .size:           2
        .value_kind:     hidden_remainder_z
      - .offset:         104
        .size:           8
        .value_kind:     hidden_global_offset_x
      - .offset:         112
        .size:           8
        .value_kind:     hidden_global_offset_y
      - .offset:         120
        .size:           8
        .value_kind:     hidden_global_offset_z
      - .offset:         128
        .size:           2
        .value_kind:     hidden_grid_dims
      - .offset:         184
        .size:           4
        .value_kind:     hidden_dynamic_lds_size
    .group_segment_fixed_size: 0
    .kernarg_segment_align: 8
    .kernarg_segment_size: 320
    .language:       OpenCL C
    .language_version:
      - 2
      - 0
    .max_flat_workgroup_size: 1024
    .name:           _ZN2at6native12_GLOBAL__N_135GammaBetaBackwardCUDAKernelTemplateIN3c104HalfEfLj64ELj16ELj256ELb0ELb0ELb0EEEvllPKT_S7_PKT0_SA_PS5_SB_
    .private_segment_fixed_size: 448
    .sgpr_count:     60
    .sgpr_spill_count: 0
    .symbol:         _ZN2at6native12_GLOBAL__N_135GammaBetaBackwardCUDAKernelTemplateIN3c104HalfEfLj64ELj16ELj256ELb0ELb0ELb0EEEvllPKT_S7_PKT0_SA_PS5_SB_.kd
    .uniform_work_group_size: 1
    .uses_dynamic_stack: false
    .vgpr_count:     128
    .vgpr_spill_count: 217
    .wavefront_size: 64
  - .agpr_count:     0
    .args:
      - .offset:         0
        .size:           8
        .value_kind:     by_value
      - .offset:         8
        .size:           8
        .value_kind:     by_value
      - .actual_access:  read_only
        .address_space:  global
        .offset:         16
        .size:           8
        .value_kind:     global_buffer
      - .actual_access:  read_only
        .address_space:  global
        .offset:         24
        .size:           8
        .value_kind:     global_buffer
      - .actual_access:  read_only
        .address_space:  global
        .offset:         32
        .size:           8
        .value_kind:     global_buffer
      - .actual_access:  read_only
        .address_space:  global
        .offset:         40
        .size:           8
        .value_kind:     global_buffer
      - .actual_access:  write_only
        .address_space:  global
        .offset:         48
        .size:           8
        .value_kind:     global_buffer
      - .actual_access:  write_only
        .address_space:  global
        .offset:         56
        .size:           8
        .value_kind:     global_buffer
      - .offset:         64
        .size:           4
        .value_kind:     hidden_block_count_x
      - .offset:         68
        .size:           4
        .value_kind:     hidden_block_count_y
      - .offset:         72
        .size:           4
        .value_kind:     hidden_block_count_z
      - .offset:         76
        .size:           2
        .value_kind:     hidden_group_size_x
      - .offset:         78
        .size:           2
        .value_kind:     hidden_group_size_y
      - .offset:         80
        .size:           2
        .value_kind:     hidden_group_size_z
      - .offset:         82
        .size:           2
        .value_kind:     hidden_remainder_x
      - .offset:         84
        .size:           2
        .value_kind:     hidden_remainder_y
      - .offset:         86
        .size:           2
        .value_kind:     hidden_remainder_z
      - .offset:         104
        .size:           8
        .value_kind:     hidden_global_offset_x
      - .offset:         112
        .size:           8
        .value_kind:     hidden_global_offset_y
      - .offset:         120
        .size:           8
        .value_kind:     hidden_global_offset_z
      - .offset:         128
        .size:           2
        .value_kind:     hidden_grid_dims
    .group_segment_fixed_size: 0
    .kernarg_segment_align: 8
    .kernarg_segment_size: 320
    .language:       OpenCL C
    .language_version:
      - 2
      - 0
    .max_flat_workgroup_size: 32
    .name:           _ZN2at6native12_GLOBAL__N_135GammaBetaBackwardCUDAKernelTemplateIN3c104HalfEfLj32ELj1ELj32ELb1ELb1ELb0EEEvllPKT_S7_PKT0_SA_PS5_SB_
    .private_segment_fixed_size: 0
    .sgpr_count:     44
    .sgpr_spill_count: 0
    .symbol:         _ZN2at6native12_GLOBAL__N_135GammaBetaBackwardCUDAKernelTemplateIN3c104HalfEfLj32ELj1ELj32ELb1ELb1ELb0EEEvllPKT_S7_PKT0_SA_PS5_SB_.kd
    .uniform_work_group_size: 1
    .uses_dynamic_stack: false
    .vgpr_count:     83
    .vgpr_spill_count: 0
    .wavefront_size: 64
  - .agpr_count:     88
    .args:
      - .offset:         0
        .size:           8
        .value_kind:     by_value
      - .offset:         8
        .size:           8
        .value_kind:     by_value
      - .actual_access:  read_only
        .address_space:  global
        .offset:         16
        .size:           8
        .value_kind:     global_buffer
      - .actual_access:  read_only
        .address_space:  global
        .offset:         24
        .size:           8
        .value_kind:     global_buffer
      - .actual_access:  read_only
        .address_space:  global
        .offset:         32
        .size:           8
        .value_kind:     global_buffer
      - .actual_access:  read_only
        .address_space:  global
        .offset:         40
        .size:           8
        .value_kind:     global_buffer
      - .actual_access:  write_only
        .address_space:  global
        .offset:         48
        .size:           8
        .value_kind:     global_buffer
      - .actual_access:  write_only
        .address_space:  global
        .offset:         56
        .size:           8
        .value_kind:     global_buffer
      - .offset:         64
        .size:           4
        .value_kind:     hidden_block_count_x
      - .offset:         68
        .size:           4
        .value_kind:     hidden_block_count_y
      - .offset:         72
        .size:           4
        .value_kind:     hidden_block_count_z
      - .offset:         76
        .size:           2
        .value_kind:     hidden_group_size_x
      - .offset:         78
        .size:           2
        .value_kind:     hidden_group_size_y
      - .offset:         80
        .size:           2
        .value_kind:     hidden_group_size_z
      - .offset:         82
        .size:           2
        .value_kind:     hidden_remainder_x
      - .offset:         84
        .size:           2
        .value_kind:     hidden_remainder_y
      - .offset:         86
        .size:           2
        .value_kind:     hidden_remainder_z
      - .offset:         104
        .size:           8
        .value_kind:     hidden_global_offset_x
      - .offset:         112
        .size:           8
        .value_kind:     hidden_global_offset_y
      - .offset:         120
        .size:           8
        .value_kind:     hidden_global_offset_z
      - .offset:         128
        .size:           2
        .value_kind:     hidden_grid_dims
    .group_segment_fixed_size: 0
    .kernarg_segment_align: 8
    .kernarg_segment_size: 320
    .language:       OpenCL C
    .language_version:
      - 2
      - 0
    .max_flat_workgroup_size: 32
    .name:           _ZN2at6native12_GLOBAL__N_135GammaBetaBackwardCUDAKernelTemplateIN3c104HalfEfLj32ELj1ELj32ELb1ELb0ELb0EEEvllPKT_S7_PKT0_SA_PS5_SB_
    .private_segment_fixed_size: 0
    .sgpr_count:     42
    .sgpr_spill_count: 0
    .symbol:         _ZN2at6native12_GLOBAL__N_135GammaBetaBackwardCUDAKernelTemplateIN3c104HalfEfLj32ELj1ELj32ELb1ELb0ELb0EEEvllPKT_S7_PKT0_SA_PS5_SB_.kd
    .uniform_work_group_size: 1
    .uses_dynamic_stack: false
    .vgpr_count:     344
    .vgpr_spill_count: 0
    .wavefront_size: 64
  - .agpr_count:     0
    .args:
      - .offset:         0
        .size:           8
        .value_kind:     by_value
      - .offset:         8
        .size:           8
        .value_kind:     by_value
      - .actual_access:  read_only
        .address_space:  global
        .offset:         16
        .size:           8
        .value_kind:     global_buffer
      - .actual_access:  read_only
        .address_space:  global
        .offset:         24
        .size:           8
        .value_kind:     global_buffer
      - .actual_access:  read_only
        .address_space:  global
        .offset:         32
        .size:           8
        .value_kind:     global_buffer
      - .actual_access:  read_only
        .address_space:  global
        .offset:         40
        .size:           8
        .value_kind:     global_buffer
      - .actual_access:  write_only
        .address_space:  global
        .offset:         48
        .size:           8
        .value_kind:     global_buffer
      - .actual_access:  write_only
        .address_space:  global
        .offset:         56
        .size:           8
        .value_kind:     global_buffer
      - .offset:         64
        .size:           4
        .value_kind:     hidden_block_count_x
      - .offset:         68
        .size:           4
        .value_kind:     hidden_block_count_y
      - .offset:         72
        .size:           4
        .value_kind:     hidden_block_count_z
      - .offset:         76
        .size:           2
        .value_kind:     hidden_group_size_x
      - .offset:         78
        .size:           2
        .value_kind:     hidden_group_size_y
      - .offset:         80
        .size:           2
        .value_kind:     hidden_group_size_z
      - .offset:         82
        .size:           2
        .value_kind:     hidden_remainder_x
      - .offset:         84
        .size:           2
        .value_kind:     hidden_remainder_y
      - .offset:         86
        .size:           2
        .value_kind:     hidden_remainder_z
      - .offset:         104
        .size:           8
        .value_kind:     hidden_global_offset_x
      - .offset:         112
        .size:           8
        .value_kind:     hidden_global_offset_y
      - .offset:         120
        .size:           8
        .value_kind:     hidden_global_offset_z
      - .offset:         128
        .size:           2
        .value_kind:     hidden_grid_dims
    .group_segment_fixed_size: 0
    .kernarg_segment_align: 8
    .kernarg_segment_size: 320
    .language:       OpenCL C
    .language_version:
      - 2
      - 0
    .max_flat_workgroup_size: 32
    .name:           _ZN2at6native12_GLOBAL__N_135GammaBetaBackwardCUDAKernelTemplateIN3c104HalfEfLj32ELj1ELj8ELb1ELb1ELb0EEEvllPKT_S7_PKT0_SA_PS5_SB_
    .private_segment_fixed_size: 0
    .sgpr_count:     44
    .sgpr_spill_count: 0
    .symbol:         _ZN2at6native12_GLOBAL__N_135GammaBetaBackwardCUDAKernelTemplateIN3c104HalfEfLj32ELj1ELj8ELb1ELb1ELb0EEEvllPKT_S7_PKT0_SA_PS5_SB_.kd
    .uniform_work_group_size: 1
    .uses_dynamic_stack: false
    .vgpr_count:     47
    .vgpr_spill_count: 0
    .wavefront_size: 64
  - .agpr_count:     0
    .args:
      - .offset:         0
        .size:           8
        .value_kind:     by_value
      - .offset:         8
        .size:           8
        .value_kind:     by_value
      - .actual_access:  read_only
        .address_space:  global
        .offset:         16
        .size:           8
        .value_kind:     global_buffer
      - .actual_access:  read_only
        .address_space:  global
        .offset:         24
        .size:           8
        .value_kind:     global_buffer
      - .actual_access:  read_only
        .address_space:  global
        .offset:         32
        .size:           8
        .value_kind:     global_buffer
      - .actual_access:  read_only
        .address_space:  global
        .offset:         40
        .size:           8
        .value_kind:     global_buffer
      - .actual_access:  write_only
        .address_space:  global
        .offset:         48
        .size:           8
        .value_kind:     global_buffer
      - .actual_access:  write_only
        .address_space:  global
        .offset:         56
        .size:           8
        .value_kind:     global_buffer
      - .offset:         64
        .size:           4
        .value_kind:     hidden_block_count_x
      - .offset:         68
        .size:           4
        .value_kind:     hidden_block_count_y
      - .offset:         72
        .size:           4
        .value_kind:     hidden_block_count_z
      - .offset:         76
        .size:           2
        .value_kind:     hidden_group_size_x
      - .offset:         78
        .size:           2
        .value_kind:     hidden_group_size_y
      - .offset:         80
        .size:           2
        .value_kind:     hidden_group_size_z
      - .offset:         82
        .size:           2
        .value_kind:     hidden_remainder_x
      - .offset:         84
        .size:           2
        .value_kind:     hidden_remainder_y
      - .offset:         86
        .size:           2
        .value_kind:     hidden_remainder_z
      - .offset:         104
        .size:           8
        .value_kind:     hidden_global_offset_x
      - .offset:         112
        .size:           8
        .value_kind:     hidden_global_offset_y
      - .offset:         120
        .size:           8
        .value_kind:     hidden_global_offset_z
      - .offset:         128
        .size:           2
        .value_kind:     hidden_grid_dims
    .group_segment_fixed_size: 0
    .kernarg_segment_align: 8
    .kernarg_segment_size: 320
    .language:       OpenCL C
    .language_version:
      - 2
      - 0
    .max_flat_workgroup_size: 32
    .name:           _ZN2at6native12_GLOBAL__N_135GammaBetaBackwardCUDAKernelTemplateIN3c104HalfEfLj32ELj1ELj8ELb1ELb0ELb0EEEvllPKT_S7_PKT0_SA_PS5_SB_
    .private_segment_fixed_size: 0
    .sgpr_count:     50
    .sgpr_spill_count: 0
    .symbol:         _ZN2at6native12_GLOBAL__N_135GammaBetaBackwardCUDAKernelTemplateIN3c104HalfEfLj32ELj1ELj8ELb1ELb0ELb0EEEvllPKT_S7_PKT0_SA_PS5_SB_.kd
    .uniform_work_group_size: 1
    .uses_dynamic_stack: false
    .vgpr_count:     100
    .vgpr_spill_count: 0
    .wavefront_size: 64
  - .agpr_count:     0
    .args:
      - .offset:         0
        .size:           8
        .value_kind:     by_value
      - .offset:         8
        .size:           8
        .value_kind:     by_value
      - .actual_access:  read_only
        .address_space:  global
        .offset:         16
        .size:           8
        .value_kind:     global_buffer
      - .actual_access:  read_only
        .address_space:  global
        .offset:         24
        .size:           8
        .value_kind:     global_buffer
      - .actual_access:  read_only
        .address_space:  global
        .offset:         32
        .size:           8
        .value_kind:     global_buffer
      - .actual_access:  read_only
        .address_space:  global
        .offset:         40
        .size:           8
        .value_kind:     global_buffer
      - .actual_access:  write_only
        .address_space:  global
        .offset:         48
        .size:           8
        .value_kind:     global_buffer
      - .actual_access:  write_only
        .address_space:  global
        .offset:         56
        .size:           8
        .value_kind:     global_buffer
      - .offset:         64
        .size:           4
        .value_kind:     hidden_block_count_x
      - .offset:         68
        .size:           4
        .value_kind:     hidden_block_count_y
      - .offset:         72
        .size:           4
        .value_kind:     hidden_block_count_z
      - .offset:         76
        .size:           2
        .value_kind:     hidden_group_size_x
      - .offset:         78
        .size:           2
        .value_kind:     hidden_group_size_y
      - .offset:         80
        .size:           2
        .value_kind:     hidden_group_size_z
      - .offset:         82
        .size:           2
        .value_kind:     hidden_remainder_x
      - .offset:         84
        .size:           2
        .value_kind:     hidden_remainder_y
      - .offset:         86
        .size:           2
        .value_kind:     hidden_remainder_z
      - .offset:         104
        .size:           8
        .value_kind:     hidden_global_offset_x
      - .offset:         112
        .size:           8
        .value_kind:     hidden_global_offset_y
      - .offset:         120
        .size:           8
        .value_kind:     hidden_global_offset_z
      - .offset:         128
        .size:           2
        .value_kind:     hidden_grid_dims
      - .offset:         184
        .size:           4
        .value_kind:     hidden_dynamic_lds_size
    .group_segment_fixed_size: 0
    .kernarg_segment_align: 8
    .kernarg_segment_size: 320
    .language:       OpenCL C
    .language_version:
      - 2
      - 0
    .max_flat_workgroup_size: 256
    .name:           _ZN2at6native12_GLOBAL__N_135GammaBetaBackwardCUDAKernelTemplateIN3c104HalfEfLj32ELj8ELj64ELb0ELb1ELb0EEEvllPKT_S7_PKT0_SA_PS5_SB_
    .private_segment_fixed_size: 0
    .sgpr_count:     36
    .sgpr_spill_count: 0
    .symbol:         _ZN2at6native12_GLOBAL__N_135GammaBetaBackwardCUDAKernelTemplateIN3c104HalfEfLj32ELj8ELj64ELb0ELb1ELb0EEEvllPKT_S7_PKT0_SA_PS5_SB_.kd
    .uniform_work_group_size: 1
    .uses_dynamic_stack: false
    .vgpr_count:     48
    .vgpr_spill_count: 0
    .wavefront_size: 64
  - .agpr_count:     0
    .args:
      - .offset:         0
        .size:           8
        .value_kind:     by_value
      - .offset:         8
        .size:           8
        .value_kind:     by_value
      - .actual_access:  read_only
        .address_space:  global
        .offset:         16
        .size:           8
        .value_kind:     global_buffer
      - .actual_access:  read_only
        .address_space:  global
        .offset:         24
        .size:           8
        .value_kind:     global_buffer
      - .actual_access:  read_only
        .address_space:  global
        .offset:         32
        .size:           8
        .value_kind:     global_buffer
      - .actual_access:  read_only
        .address_space:  global
        .offset:         40
        .size:           8
        .value_kind:     global_buffer
      - .actual_access:  write_only
        .address_space:  global
        .offset:         48
        .size:           8
        .value_kind:     global_buffer
      - .actual_access:  write_only
        .address_space:  global
        .offset:         56
        .size:           8
        .value_kind:     global_buffer
      - .offset:         64
        .size:           4
        .value_kind:     hidden_block_count_x
      - .offset:         68
        .size:           4
        .value_kind:     hidden_block_count_y
      - .offset:         72
        .size:           4
        .value_kind:     hidden_block_count_z
      - .offset:         76
        .size:           2
        .value_kind:     hidden_group_size_x
      - .offset:         78
        .size:           2
        .value_kind:     hidden_group_size_y
      - .offset:         80
        .size:           2
        .value_kind:     hidden_group_size_z
      - .offset:         82
        .size:           2
        .value_kind:     hidden_remainder_x
      - .offset:         84
        .size:           2
        .value_kind:     hidden_remainder_y
      - .offset:         86
        .size:           2
        .value_kind:     hidden_remainder_z
      - .offset:         104
        .size:           8
        .value_kind:     hidden_global_offset_x
      - .offset:         112
        .size:           8
        .value_kind:     hidden_global_offset_y
      - .offset:         120
        .size:           8
        .value_kind:     hidden_global_offset_z
      - .offset:         128
        .size:           2
        .value_kind:     hidden_grid_dims
      - .offset:         184
        .size:           4
        .value_kind:     hidden_dynamic_lds_size
    .group_segment_fixed_size: 0
    .kernarg_segment_align: 8
    .kernarg_segment_size: 320
    .language:       OpenCL C
    .language_version:
      - 2
      - 0
    .max_flat_workgroup_size: 256
    .name:           _ZN2at6native12_GLOBAL__N_135GammaBetaBackwardCUDAKernelTemplateIN3c104HalfEfLj32ELj8ELj64ELb0ELb0ELb0EEEvllPKT_S7_PKT0_SA_PS5_SB_
    .private_segment_fixed_size: 0
    .sgpr_count:     48
    .sgpr_spill_count: 0
    .symbol:         _ZN2at6native12_GLOBAL__N_135GammaBetaBackwardCUDAKernelTemplateIN3c104HalfEfLj32ELj8ELj64ELb0ELb0ELb0EEEvllPKT_S7_PKT0_SA_PS5_SB_.kd
    .uniform_work_group_size: 1
    .uses_dynamic_stack: false
    .vgpr_count:     100
    .vgpr_spill_count: 0
    .wavefront_size: 64
  - .agpr_count:     0
    .args:
      - .offset:         0
        .size:           8
        .value_kind:     by_value
      - .offset:         8
        .size:           8
        .value_kind:     by_value
      - .actual_access:  read_only
        .address_space:  global
        .offset:         16
        .size:           8
        .value_kind:     global_buffer
      - .actual_access:  read_only
        .address_space:  global
        .offset:         24
        .size:           8
        .value_kind:     global_buffer
      - .actual_access:  read_only
        .address_space:  global
        .offset:         32
        .size:           8
        .value_kind:     global_buffer
      - .actual_access:  read_only
        .address_space:  global
        .offset:         40
        .size:           8
        .value_kind:     global_buffer
      - .actual_access:  write_only
        .address_space:  global
        .offset:         48
        .size:           8
        .value_kind:     global_buffer
      - .actual_access:  write_only
        .address_space:  global
        .offset:         56
        .size:           8
        .value_kind:     global_buffer
      - .offset:         64
        .size:           4
        .value_kind:     hidden_block_count_x
      - .offset:         68
        .size:           4
        .value_kind:     hidden_block_count_y
      - .offset:         72
        .size:           4
        .value_kind:     hidden_block_count_z
      - .offset:         76
        .size:           2
        .value_kind:     hidden_group_size_x
      - .offset:         78
        .size:           2
        .value_kind:     hidden_group_size_y
      - .offset:         80
        .size:           2
        .value_kind:     hidden_group_size_z
      - .offset:         82
        .size:           2
        .value_kind:     hidden_remainder_x
      - .offset:         84
        .size:           2
        .value_kind:     hidden_remainder_y
      - .offset:         86
        .size:           2
        .value_kind:     hidden_remainder_z
      - .offset:         104
        .size:           8
        .value_kind:     hidden_global_offset_x
      - .offset:         112
        .size:           8
        .value_kind:     hidden_global_offset_y
      - .offset:         120
        .size:           8
        .value_kind:     hidden_global_offset_z
      - .offset:         128
        .size:           2
        .value_kind:     hidden_grid_dims
      - .offset:         184
        .size:           4
        .value_kind:     hidden_dynamic_lds_size
    .group_segment_fixed_size: 0
    .kernarg_segment_align: 8
    .kernarg_segment_size: 320
    .language:       OpenCL C
    .language_version:
      - 2
      - 0
    .max_flat_workgroup_size: 512
    .name:           _ZN2at6native12_GLOBAL__N_135GammaBetaBackwardCUDAKernelTemplateIN3c104HalfEfLj32ELj16ELj128ELb0ELb1ELb0EEEvllPKT_S7_PKT0_SA_PS5_SB_
    .private_segment_fixed_size: 0
    .sgpr_count:     36
    .sgpr_spill_count: 0
    .symbol:         _ZN2at6native12_GLOBAL__N_135GammaBetaBackwardCUDAKernelTemplateIN3c104HalfEfLj32ELj16ELj128ELb0ELb1ELb0EEEvllPKT_S7_PKT0_SA_PS5_SB_.kd
    .uniform_work_group_size: 1
    .uses_dynamic_stack: false
    .vgpr_count:     48
    .vgpr_spill_count: 0
    .wavefront_size: 64
  - .agpr_count:     0
    .args:
      - .offset:         0
        .size:           8
        .value_kind:     by_value
      - .offset:         8
        .size:           8
        .value_kind:     by_value
      - .actual_access:  read_only
        .address_space:  global
        .offset:         16
        .size:           8
        .value_kind:     global_buffer
      - .actual_access:  read_only
        .address_space:  global
        .offset:         24
        .size:           8
        .value_kind:     global_buffer
      - .actual_access:  read_only
        .address_space:  global
        .offset:         32
        .size:           8
        .value_kind:     global_buffer
      - .actual_access:  read_only
        .address_space:  global
        .offset:         40
        .size:           8
        .value_kind:     global_buffer
      - .actual_access:  write_only
        .address_space:  global
        .offset:         48
        .size:           8
        .value_kind:     global_buffer
      - .actual_access:  write_only
        .address_space:  global
        .offset:         56
        .size:           8
        .value_kind:     global_buffer
      - .offset:         64
        .size:           4
        .value_kind:     hidden_block_count_x
      - .offset:         68
        .size:           4
        .value_kind:     hidden_block_count_y
      - .offset:         72
        .size:           4
        .value_kind:     hidden_block_count_z
      - .offset:         76
        .size:           2
        .value_kind:     hidden_group_size_x
      - .offset:         78
        .size:           2
        .value_kind:     hidden_group_size_y
      - .offset:         80
        .size:           2
        .value_kind:     hidden_group_size_z
      - .offset:         82
        .size:           2
        .value_kind:     hidden_remainder_x
      - .offset:         84
        .size:           2
        .value_kind:     hidden_remainder_y
      - .offset:         86
        .size:           2
        .value_kind:     hidden_remainder_z
      - .offset:         104
        .size:           8
        .value_kind:     hidden_global_offset_x
      - .offset:         112
        .size:           8
        .value_kind:     hidden_global_offset_y
      - .offset:         120
        .size:           8
        .value_kind:     hidden_global_offset_z
      - .offset:         128
        .size:           2
        .value_kind:     hidden_grid_dims
      - .offset:         184
        .size:           4
        .value_kind:     hidden_dynamic_lds_size
    .group_segment_fixed_size: 0
    .kernarg_segment_align: 8
    .kernarg_segment_size: 320
    .language:       OpenCL C
    .language_version:
      - 2
      - 0
    .max_flat_workgroup_size: 512
    .name:           _ZN2at6native12_GLOBAL__N_135GammaBetaBackwardCUDAKernelTemplateIN3c104HalfEfLj32ELj16ELj128ELb0ELb0ELb0EEEvllPKT_S7_PKT0_SA_PS5_SB_
    .private_segment_fixed_size: 0
    .sgpr_count:     48
    .sgpr_spill_count: 0
    .symbol:         _ZN2at6native12_GLOBAL__N_135GammaBetaBackwardCUDAKernelTemplateIN3c104HalfEfLj32ELj16ELj128ELb0ELb0ELb0EEEvllPKT_S7_PKT0_SA_PS5_SB_.kd
    .uniform_work_group_size: 1
    .uses_dynamic_stack: false
    .vgpr_count:     100
    .vgpr_spill_count: 0
    .wavefront_size: 64
  - .agpr_count:     0
    .args:
      - .offset:         0
        .size:           8
        .value_kind:     by_value
      - .offset:         8
        .size:           8
        .value_kind:     by_value
      - .actual_access:  read_only
        .address_space:  global
        .offset:         16
        .size:           8
        .value_kind:     global_buffer
      - .actual_access:  read_only
        .address_space:  global
        .offset:         24
        .size:           8
        .value_kind:     global_buffer
      - .actual_access:  read_only
        .address_space:  global
        .offset:         32
        .size:           8
        .value_kind:     global_buffer
      - .actual_access:  read_only
        .address_space:  global
        .offset:         40
        .size:           8
        .value_kind:     global_buffer
      - .actual_access:  write_only
        .address_space:  global
        .offset:         48
        .size:           8
        .value_kind:     global_buffer
      - .actual_access:  write_only
        .address_space:  global
        .offset:         56
        .size:           8
        .value_kind:     global_buffer
      - .offset:         64
        .size:           4
        .value_kind:     hidden_block_count_x
      - .offset:         68
        .size:           4
        .value_kind:     hidden_block_count_y
      - .offset:         72
        .size:           4
        .value_kind:     hidden_block_count_z
      - .offset:         76
        .size:           2
        .value_kind:     hidden_group_size_x
      - .offset:         78
        .size:           2
        .value_kind:     hidden_group_size_y
      - .offset:         80
        .size:           2
        .value_kind:     hidden_group_size_z
      - .offset:         82
        .size:           2
        .value_kind:     hidden_remainder_x
      - .offset:         84
        .size:           2
        .value_kind:     hidden_remainder_y
      - .offset:         86
        .size:           2
        .value_kind:     hidden_remainder_z
      - .offset:         104
        .size:           8
        .value_kind:     hidden_global_offset_x
      - .offset:         112
        .size:           8
        .value_kind:     hidden_global_offset_y
      - .offset:         120
        .size:           8
        .value_kind:     hidden_global_offset_z
      - .offset:         128
        .size:           2
        .value_kind:     hidden_grid_dims
      - .offset:         184
        .size:           4
        .value_kind:     hidden_dynamic_lds_size
    .group_segment_fixed_size: 0
    .kernarg_segment_align: 8
    .kernarg_segment_size: 320
    .language:       OpenCL C
    .language_version:
      - 2
      - 0
    .max_flat_workgroup_size: 1024
    .name:           _ZN2at6native12_GLOBAL__N_135GammaBetaBackwardCUDAKernelTemplateIN3c104HalfEfLj32ELj32ELj256ELb0ELb1ELb0EEEvllPKT_S7_PKT0_SA_PS5_SB_
    .private_segment_fixed_size: 0
    .sgpr_count:     36
    .sgpr_spill_count: 0
    .symbol:         _ZN2at6native12_GLOBAL__N_135GammaBetaBackwardCUDAKernelTemplateIN3c104HalfEfLj32ELj32ELj256ELb0ELb1ELb0EEEvllPKT_S7_PKT0_SA_PS5_SB_.kd
    .uniform_work_group_size: 1
    .uses_dynamic_stack: false
    .vgpr_count:     48
    .vgpr_spill_count: 0
    .wavefront_size: 64
  - .agpr_count:     0
    .args:
      - .offset:         0
        .size:           8
        .value_kind:     by_value
      - .offset:         8
        .size:           8
        .value_kind:     by_value
      - .actual_access:  read_only
        .address_space:  global
        .offset:         16
        .size:           8
        .value_kind:     global_buffer
      - .actual_access:  read_only
        .address_space:  global
        .offset:         24
        .size:           8
        .value_kind:     global_buffer
      - .actual_access:  read_only
        .address_space:  global
        .offset:         32
        .size:           8
        .value_kind:     global_buffer
      - .actual_access:  read_only
        .address_space:  global
        .offset:         40
        .size:           8
        .value_kind:     global_buffer
      - .actual_access:  write_only
        .address_space:  global
        .offset:         48
        .size:           8
        .value_kind:     global_buffer
      - .actual_access:  write_only
        .address_space:  global
        .offset:         56
        .size:           8
        .value_kind:     global_buffer
      - .offset:         64
        .size:           4
        .value_kind:     hidden_block_count_x
      - .offset:         68
        .size:           4
        .value_kind:     hidden_block_count_y
      - .offset:         72
        .size:           4
        .value_kind:     hidden_block_count_z
      - .offset:         76
        .size:           2
        .value_kind:     hidden_group_size_x
      - .offset:         78
        .size:           2
        .value_kind:     hidden_group_size_y
      - .offset:         80
        .size:           2
        .value_kind:     hidden_group_size_z
      - .offset:         82
        .size:           2
        .value_kind:     hidden_remainder_x
      - .offset:         84
        .size:           2
        .value_kind:     hidden_remainder_y
      - .offset:         86
        .size:           2
        .value_kind:     hidden_remainder_z
      - .offset:         104
        .size:           8
        .value_kind:     hidden_global_offset_x
      - .offset:         112
        .size:           8
        .value_kind:     hidden_global_offset_y
      - .offset:         120
        .size:           8
        .value_kind:     hidden_global_offset_z
      - .offset:         128
        .size:           2
        .value_kind:     hidden_grid_dims
      - .offset:         184
        .size:           4
        .value_kind:     hidden_dynamic_lds_size
    .group_segment_fixed_size: 0
    .kernarg_segment_align: 8
    .kernarg_segment_size: 320
    .language:       OpenCL C
    .language_version:
      - 2
      - 0
    .max_flat_workgroup_size: 1024
    .name:           _ZN2at6native12_GLOBAL__N_135GammaBetaBackwardCUDAKernelTemplateIN3c104HalfEfLj32ELj32ELj256ELb0ELb0ELb0EEEvllPKT_S7_PKT0_SA_PS5_SB_
    .private_segment_fixed_size: 0
    .sgpr_count:     48
    .sgpr_spill_count: 0
    .symbol:         _ZN2at6native12_GLOBAL__N_135GammaBetaBackwardCUDAKernelTemplateIN3c104HalfEfLj32ELj32ELj256ELb0ELb0ELb0EEEvllPKT_S7_PKT0_SA_PS5_SB_.kd
    .uniform_work_group_size: 1
    .uses_dynamic_stack: false
    .vgpr_count:     100
    .vgpr_spill_count: 0
    .wavefront_size: 64
  - .agpr_count:     0
    .args:
      - .actual_access:  read_only
        .address_space:  global
        .offset:         0
        .size:           8
        .value_kind:     global_buffer
      - .actual_access:  read_only
        .address_space:  global
        .offset:         8
        .size:           8
        .value_kind:     global_buffer
      - .offset:         16
        .size:           8
        .value_kind:     by_value
      - .offset:         24
        .size:           8
        .value_kind:     by_value
      - .actual_access:  read_only
        .address_space:  global
        .offset:         32
        .size:           8
        .value_kind:     global_buffer
      - .actual_access:  read_only
        .address_space:  global
        .offset:         40
        .size:           8
        .value_kind:     global_buffer
      - .address_space:  global
        .offset:         48
        .size:           8
        .value_kind:     global_buffer
      - .address_space:  global
        .offset:         56
        .size:           8
        .value_kind:     global_buffer
      - .offset:         64
        .size:           4
        .value_kind:     hidden_block_count_x
      - .offset:         68
        .size:           4
        .value_kind:     hidden_block_count_y
      - .offset:         72
        .size:           4
        .value_kind:     hidden_block_count_z
      - .offset:         76
        .size:           2
        .value_kind:     hidden_group_size_x
      - .offset:         78
        .size:           2
        .value_kind:     hidden_group_size_y
      - .offset:         80
        .size:           2
        .value_kind:     hidden_group_size_z
      - .offset:         82
        .size:           2
        .value_kind:     hidden_remainder_x
      - .offset:         84
        .size:           2
        .value_kind:     hidden_remainder_y
      - .offset:         86
        .size:           2
        .value_kind:     hidden_remainder_z
      - .offset:         104
        .size:           8
        .value_kind:     hidden_global_offset_x
      - .offset:         112
        .size:           8
        .value_kind:     hidden_global_offset_y
      - .offset:         120
        .size:           8
        .value_kind:     hidden_global_offset_z
      - .offset:         128
        .size:           2
        .value_kind:     hidden_grid_dims
      - .offset:         184
        .size:           4
        .value_kind:     hidden_dynamic_lds_size
    .group_segment_fixed_size: 0
    .kernarg_segment_align: 8
    .kernarg_segment_size: 320
    .language:       OpenCL C
    .language_version:
      - 2
      - 0
    .max_flat_workgroup_size: 1024
    .name:           _ZN2at6native12_GLOBAL__N_118cuComputeGradInputIN3c108BFloat16EfLb0EEEvPKT_S7_llPKT0_SA_S7_PS5_
    .private_segment_fixed_size: 0
    .sgpr_count:     57
    .sgpr_spill_count: 0
    .symbol:         _ZN2at6native12_GLOBAL__N_118cuComputeGradInputIN3c108BFloat16EfLb0EEEvPKT_S7_llPKT0_SA_S7_PS5_.kd
    .uniform_work_group_size: 1
    .uses_dynamic_stack: false
    .vgpr_count:     28
    .vgpr_spill_count: 0
    .wavefront_size: 64
  - .agpr_count:     0
    .args:
      - .actual_access:  read_only
        .address_space:  global
        .offset:         0
        .size:           8
        .value_kind:     global_buffer
      - .actual_access:  read_only
        .address_space:  global
        .offset:         8
        .size:           8
        .value_kind:     global_buffer
      - .actual_access:  read_only
        .address_space:  global
        .offset:         16
        .size:           8
        .value_kind:     global_buffer
      - .actual_access:  read_only
        .address_space:  global
        .offset:         24
        .size:           8
        .value_kind:     global_buffer
      - .actual_access:  read_only
        .address_space:  global
        .offset:         32
        .size:           8
        .value_kind:     global_buffer
      - .address_space:  global
        .offset:         40
        .size:           8
        .value_kind:     global_buffer
      - .offset:         48
        .size:           4
        .value_kind:     by_value
      - .offset:         56
        .size:           4
        .value_kind:     hidden_block_count_x
      - .offset:         60
        .size:           4
        .value_kind:     hidden_block_count_y
      - .offset:         64
        .size:           4
        .value_kind:     hidden_block_count_z
      - .offset:         68
        .size:           2
        .value_kind:     hidden_group_size_x
      - .offset:         70
        .size:           2
        .value_kind:     hidden_group_size_y
      - .offset:         72
        .size:           2
        .value_kind:     hidden_group_size_z
      - .offset:         74
        .size:           2
        .value_kind:     hidden_remainder_x
      - .offset:         76
        .size:           2
        .value_kind:     hidden_remainder_y
      - .offset:         78
        .size:           2
        .value_kind:     hidden_remainder_z
      - .offset:         96
        .size:           8
        .value_kind:     hidden_global_offset_x
      - .offset:         104
        .size:           8
        .value_kind:     hidden_global_offset_y
      - .offset:         112
        .size:           8
        .value_kind:     hidden_global_offset_z
      - .offset:         120
        .size:           2
        .value_kind:     hidden_grid_dims
      - .offset:         176
        .size:           4
        .value_kind:     hidden_dynamic_lds_size
    .group_segment_fixed_size: 0
    .kernarg_segment_align: 8
    .kernarg_segment_size: 312
    .language:       OpenCL C
    .language_version:
      - 2
      - 0
    .max_flat_workgroup_size: 1024
    .name:           _ZN2at6native12_GLOBAL__N_128layer_norm_grad_input_kernelIN3c108BFloat16EfLb0EEEvPKT_S7_PKT0_SA_S7_PS5_i
    .private_segment_fixed_size: 0
    .sgpr_count:     36
    .sgpr_spill_count: 0
    .symbol:         _ZN2at6native12_GLOBAL__N_128layer_norm_grad_input_kernelIN3c108BFloat16EfLb0EEEvPKT_S7_PKT0_SA_S7_PS5_i.kd
    .uniform_work_group_size: 1
    .uses_dynamic_stack: false
    .vgpr_count:     25
    .vgpr_spill_count: 0
    .wavefront_size: 64
  - .agpr_count:     0
    .args:
      - .offset:         0
        .size:           8
        .value_kind:     by_value
      - .offset:         8
        .size:           8
        .value_kind:     by_value
      - .address_space:  global
        .offset:         16
        .size:           8
        .value_kind:     global_buffer
      - .address_space:  global
        .offset:         24
        .size:           8
        .value_kind:     global_buffer
      - .address_space:  global
        .offset:         32
        .size:           8
        .value_kind:     global_buffer
      - .address_space:  global
        .offset:         40
        .size:           8
        .value_kind:     global_buffer
      - .address_space:  global
        .offset:         48
        .size:           8
        .value_kind:     global_buffer
      - .address_space:  global
        .offset:         56
        .size:           8
        .value_kind:     global_buffer
      - .offset:         64
        .size:           4
        .value_kind:     hidden_block_count_x
      - .offset:         68
        .size:           4
        .value_kind:     hidden_block_count_y
      - .offset:         72
        .size:           4
        .value_kind:     hidden_block_count_z
      - .offset:         76
        .size:           2
        .value_kind:     hidden_group_size_x
      - .offset:         78
        .size:           2
        .value_kind:     hidden_group_size_y
      - .offset:         80
        .size:           2
        .value_kind:     hidden_group_size_z
      - .offset:         82
        .size:           2
        .value_kind:     hidden_remainder_x
      - .offset:         84
        .size:           2
        .value_kind:     hidden_remainder_y
      - .offset:         86
        .size:           2
        .value_kind:     hidden_remainder_z
      - .offset:         104
        .size:           8
        .value_kind:     hidden_global_offset_x
      - .offset:         112
        .size:           8
        .value_kind:     hidden_global_offset_y
      - .offset:         120
        .size:           8
        .value_kind:     hidden_global_offset_z
      - .offset:         128
        .size:           2
        .value_kind:     hidden_grid_dims
    .group_segment_fixed_size: 0
    .kernarg_segment_align: 8
    .kernarg_segment_size: 320
    .language:       OpenCL C
    .language_version:
      - 2
      - 0
    .max_flat_workgroup_size: 1024
    .name:           _ZN2at6native12_GLOBAL__N_133GammaBetaBackwardSimpleCUDAKernelIN3c108BFloat16EfLb0EEEvllPKT_S7_PKT0_SA_PS5_SB_
    .private_segment_fixed_size: 0
    .sgpr_count:     28
    .sgpr_spill_count: 0
    .symbol:         _ZN2at6native12_GLOBAL__N_133GammaBetaBackwardSimpleCUDAKernelIN3c108BFloat16EfLb0EEEvllPKT_S7_PKT0_SA_PS5_SB_.kd
    .uniform_work_group_size: 1
    .uses_dynamic_stack: false
    .vgpr_count:     10
    .vgpr_spill_count: 0
    .wavefront_size: 64
  - .agpr_count:     0
    .args:
      - .offset:         0
        .size:           8
        .value_kind:     by_value
      - .offset:         8
        .size:           8
        .value_kind:     by_value
      - .actual_access:  read_only
        .address_space:  global
        .offset:         16
        .size:           8
        .value_kind:     global_buffer
      - .actual_access:  read_only
        .address_space:  global
        .offset:         24
        .size:           8
        .value_kind:     global_buffer
      - .actual_access:  read_only
        .address_space:  global
        .offset:         32
        .size:           8
        .value_kind:     global_buffer
      - .actual_access:  read_only
        .address_space:  global
        .offset:         40
        .size:           8
        .value_kind:     global_buffer
      - .actual_access:  write_only
        .address_space:  global
        .offset:         48
        .size:           8
        .value_kind:     global_buffer
      - .actual_access:  write_only
        .address_space:  global
        .offset:         56
        .size:           8
        .value_kind:     global_buffer
      - .offset:         64
        .size:           4
        .value_kind:     hidden_block_count_x
      - .offset:         68
        .size:           4
        .value_kind:     hidden_block_count_y
      - .offset:         72
        .size:           4
        .value_kind:     hidden_block_count_z
      - .offset:         76
        .size:           2
        .value_kind:     hidden_group_size_x
      - .offset:         78
        .size:           2
        .value_kind:     hidden_group_size_y
      - .offset:         80
        .size:           2
        .value_kind:     hidden_group_size_z
      - .offset:         82
        .size:           2
        .value_kind:     hidden_remainder_x
      - .offset:         84
        .size:           2
        .value_kind:     hidden_remainder_y
      - .offset:         86
        .size:           2
        .value_kind:     hidden_remainder_z
      - .offset:         104
        .size:           8
        .value_kind:     hidden_global_offset_x
      - .offset:         112
        .size:           8
        .value_kind:     hidden_global_offset_y
      - .offset:         120
        .size:           8
        .value_kind:     hidden_global_offset_z
      - .offset:         128
        .size:           2
        .value_kind:     hidden_grid_dims
    .group_segment_fixed_size: 0
    .kernarg_segment_align: 8
    .kernarg_segment_size: 320
    .language:       OpenCL C
    .language_version:
      - 2
      - 0
    .max_flat_workgroup_size: 64
    .name:           _ZN2at6native12_GLOBAL__N_135GammaBetaBackwardCUDAKernelTemplateIN3c108BFloat16EfLj64ELj1ELj32ELb1ELb1ELb0EEEvllPKT_S7_PKT0_SA_PS5_SB_
    .private_segment_fixed_size: 0
    .sgpr_count:     44
    .sgpr_spill_count: 0
    .symbol:         _ZN2at6native12_GLOBAL__N_135GammaBetaBackwardCUDAKernelTemplateIN3c108BFloat16EfLj64ELj1ELj32ELb1ELb1ELb0EEEvllPKT_S7_PKT0_SA_PS5_SB_.kd
    .uniform_work_group_size: 1
    .uses_dynamic_stack: false
    .vgpr_count:     82
    .vgpr_spill_count: 0
    .wavefront_size: 64
  - .agpr_count:     86
    .args:
      - .offset:         0
        .size:           8
        .value_kind:     by_value
      - .offset:         8
        .size:           8
        .value_kind:     by_value
      - .actual_access:  read_only
        .address_space:  global
        .offset:         16
        .size:           8
        .value_kind:     global_buffer
      - .actual_access:  read_only
        .address_space:  global
        .offset:         24
        .size:           8
        .value_kind:     global_buffer
      - .actual_access:  read_only
        .address_space:  global
        .offset:         32
        .size:           8
        .value_kind:     global_buffer
      - .actual_access:  read_only
        .address_space:  global
        .offset:         40
        .size:           8
        .value_kind:     global_buffer
      - .actual_access:  write_only
        .address_space:  global
        .offset:         48
        .size:           8
        .value_kind:     global_buffer
      - .actual_access:  write_only
        .address_space:  global
        .offset:         56
        .size:           8
        .value_kind:     global_buffer
      - .offset:         64
        .size:           4
        .value_kind:     hidden_block_count_x
      - .offset:         68
        .size:           4
        .value_kind:     hidden_block_count_y
      - .offset:         72
        .size:           4
        .value_kind:     hidden_block_count_z
      - .offset:         76
        .size:           2
        .value_kind:     hidden_group_size_x
      - .offset:         78
        .size:           2
        .value_kind:     hidden_group_size_y
      - .offset:         80
        .size:           2
        .value_kind:     hidden_group_size_z
      - .offset:         82
        .size:           2
        .value_kind:     hidden_remainder_x
      - .offset:         84
        .size:           2
        .value_kind:     hidden_remainder_y
      - .offset:         86
        .size:           2
        .value_kind:     hidden_remainder_z
      - .offset:         104
        .size:           8
        .value_kind:     hidden_global_offset_x
      - .offset:         112
        .size:           8
        .value_kind:     hidden_global_offset_y
      - .offset:         120
        .size:           8
        .value_kind:     hidden_global_offset_z
      - .offset:         128
        .size:           2
        .value_kind:     hidden_grid_dims
    .group_segment_fixed_size: 0
    .kernarg_segment_align: 8
    .kernarg_segment_size: 320
    .language:       OpenCL C
    .language_version:
      - 2
      - 0
    .max_flat_workgroup_size: 64
    .name:           _ZN2at6native12_GLOBAL__N_135GammaBetaBackwardCUDAKernelTemplateIN3c108BFloat16EfLj64ELj1ELj32ELb1ELb0ELb0EEEvllPKT_S7_PKT0_SA_PS5_SB_
    .private_segment_fixed_size: 0
    .sgpr_count:     42
    .sgpr_spill_count: 0
    .symbol:         _ZN2at6native12_GLOBAL__N_135GammaBetaBackwardCUDAKernelTemplateIN3c108BFloat16EfLj64ELj1ELj32ELb1ELb0ELb0EEEvllPKT_S7_PKT0_SA_PS5_SB_.kd
    .uniform_work_group_size: 1
    .uses_dynamic_stack: false
    .vgpr_count:     342
    .vgpr_spill_count: 0
    .wavefront_size: 64
  - .agpr_count:     0
    .args:
      - .offset:         0
        .size:           8
        .value_kind:     by_value
      - .offset:         8
        .size:           8
        .value_kind:     by_value
      - .actual_access:  read_only
        .address_space:  global
        .offset:         16
        .size:           8
        .value_kind:     global_buffer
      - .actual_access:  read_only
        .address_space:  global
        .offset:         24
        .size:           8
        .value_kind:     global_buffer
      - .actual_access:  read_only
        .address_space:  global
        .offset:         32
        .size:           8
        .value_kind:     global_buffer
      - .actual_access:  read_only
        .address_space:  global
        .offset:         40
        .size:           8
        .value_kind:     global_buffer
      - .actual_access:  write_only
        .address_space:  global
        .offset:         48
        .size:           8
        .value_kind:     global_buffer
      - .actual_access:  write_only
        .address_space:  global
        .offset:         56
        .size:           8
        .value_kind:     global_buffer
      - .offset:         64
        .size:           4
        .value_kind:     hidden_block_count_x
      - .offset:         68
        .size:           4
        .value_kind:     hidden_block_count_y
      - .offset:         72
        .size:           4
        .value_kind:     hidden_block_count_z
      - .offset:         76
        .size:           2
        .value_kind:     hidden_group_size_x
      - .offset:         78
        .size:           2
        .value_kind:     hidden_group_size_y
      - .offset:         80
        .size:           2
        .value_kind:     hidden_group_size_z
      - .offset:         82
        .size:           2
        .value_kind:     hidden_remainder_x
      - .offset:         84
        .size:           2
        .value_kind:     hidden_remainder_y
      - .offset:         86
        .size:           2
        .value_kind:     hidden_remainder_z
      - .offset:         104
        .size:           8
        .value_kind:     hidden_global_offset_x
      - .offset:         112
        .size:           8
        .value_kind:     hidden_global_offset_y
      - .offset:         120
        .size:           8
        .value_kind:     hidden_global_offset_z
      - .offset:         128
        .size:           2
        .value_kind:     hidden_grid_dims
    .group_segment_fixed_size: 0
    .kernarg_segment_align: 8
    .kernarg_segment_size: 320
    .language:       OpenCL C
    .language_version:
      - 2
      - 0
    .max_flat_workgroup_size: 64
    .name:           _ZN2at6native12_GLOBAL__N_135GammaBetaBackwardCUDAKernelTemplateIN3c108BFloat16EfLj64ELj1ELj8ELb1ELb1ELb0EEEvllPKT_S7_PKT0_SA_PS5_SB_
    .private_segment_fixed_size: 0
    .sgpr_count:     44
    .sgpr_spill_count: 0
    .symbol:         _ZN2at6native12_GLOBAL__N_135GammaBetaBackwardCUDAKernelTemplateIN3c108BFloat16EfLj64ELj1ELj8ELb1ELb1ELb0EEEvllPKT_S7_PKT0_SA_PS5_SB_.kd
    .uniform_work_group_size: 1
    .uses_dynamic_stack: false
    .vgpr_count:     47
    .vgpr_spill_count: 0
    .wavefront_size: 64
  - .agpr_count:     0
    .args:
      - .offset:         0
        .size:           8
        .value_kind:     by_value
      - .offset:         8
        .size:           8
        .value_kind:     by_value
      - .actual_access:  read_only
        .address_space:  global
        .offset:         16
        .size:           8
        .value_kind:     global_buffer
      - .actual_access:  read_only
        .address_space:  global
        .offset:         24
        .size:           8
        .value_kind:     global_buffer
      - .actual_access:  read_only
        .address_space:  global
        .offset:         32
        .size:           8
        .value_kind:     global_buffer
      - .actual_access:  read_only
        .address_space:  global
        .offset:         40
        .size:           8
        .value_kind:     global_buffer
      - .actual_access:  write_only
        .address_space:  global
        .offset:         48
        .size:           8
        .value_kind:     global_buffer
      - .actual_access:  write_only
        .address_space:  global
        .offset:         56
        .size:           8
        .value_kind:     global_buffer
      - .offset:         64
        .size:           4
        .value_kind:     hidden_block_count_x
      - .offset:         68
        .size:           4
        .value_kind:     hidden_block_count_y
      - .offset:         72
        .size:           4
        .value_kind:     hidden_block_count_z
      - .offset:         76
        .size:           2
        .value_kind:     hidden_group_size_x
      - .offset:         78
        .size:           2
        .value_kind:     hidden_group_size_y
      - .offset:         80
        .size:           2
        .value_kind:     hidden_group_size_z
      - .offset:         82
        .size:           2
        .value_kind:     hidden_remainder_x
      - .offset:         84
        .size:           2
        .value_kind:     hidden_remainder_y
      - .offset:         86
        .size:           2
        .value_kind:     hidden_remainder_z
      - .offset:         104
        .size:           8
        .value_kind:     hidden_global_offset_x
      - .offset:         112
        .size:           8
        .value_kind:     hidden_global_offset_y
      - .offset:         120
        .size:           8
        .value_kind:     hidden_global_offset_z
      - .offset:         128
        .size:           2
        .value_kind:     hidden_grid_dims
    .group_segment_fixed_size: 0
    .kernarg_segment_align: 8
    .kernarg_segment_size: 320
    .language:       OpenCL C
    .language_version:
      - 2
      - 0
    .max_flat_workgroup_size: 64
    .name:           _ZN2at6native12_GLOBAL__N_135GammaBetaBackwardCUDAKernelTemplateIN3c108BFloat16EfLj64ELj1ELj8ELb1ELb0ELb0EEEvllPKT_S7_PKT0_SA_PS5_SB_
    .private_segment_fixed_size: 0
    .sgpr_count:     50
    .sgpr_spill_count: 0
    .symbol:         _ZN2at6native12_GLOBAL__N_135GammaBetaBackwardCUDAKernelTemplateIN3c108BFloat16EfLj64ELj1ELj8ELb1ELb0ELb0EEEvllPKT_S7_PKT0_SA_PS5_SB_.kd
    .uniform_work_group_size: 1
    .uses_dynamic_stack: false
    .vgpr_count:     100
    .vgpr_spill_count: 0
    .wavefront_size: 64
  - .agpr_count:     0
    .args:
      - .offset:         0
        .size:           8
        .value_kind:     by_value
      - .offset:         8
        .size:           8
        .value_kind:     by_value
      - .actual_access:  read_only
        .address_space:  global
        .offset:         16
        .size:           8
        .value_kind:     global_buffer
      - .actual_access:  read_only
        .address_space:  global
        .offset:         24
        .size:           8
        .value_kind:     global_buffer
      - .actual_access:  read_only
        .address_space:  global
        .offset:         32
        .size:           8
        .value_kind:     global_buffer
      - .actual_access:  read_only
        .address_space:  global
        .offset:         40
        .size:           8
        .value_kind:     global_buffer
      - .actual_access:  write_only
        .address_space:  global
        .offset:         48
        .size:           8
        .value_kind:     global_buffer
      - .actual_access:  write_only
        .address_space:  global
        .offset:         56
        .size:           8
        .value_kind:     global_buffer
      - .offset:         64
        .size:           4
        .value_kind:     hidden_block_count_x
      - .offset:         68
        .size:           4
        .value_kind:     hidden_block_count_y
      - .offset:         72
        .size:           4
        .value_kind:     hidden_block_count_z
      - .offset:         76
        .size:           2
        .value_kind:     hidden_group_size_x
      - .offset:         78
        .size:           2
        .value_kind:     hidden_group_size_y
      - .offset:         80
        .size:           2
        .value_kind:     hidden_group_size_z
      - .offset:         82
        .size:           2
        .value_kind:     hidden_remainder_x
      - .offset:         84
        .size:           2
        .value_kind:     hidden_remainder_y
      - .offset:         86
        .size:           2
        .value_kind:     hidden_remainder_z
      - .offset:         104
        .size:           8
        .value_kind:     hidden_global_offset_x
      - .offset:         112
        .size:           8
        .value_kind:     hidden_global_offset_y
      - .offset:         120
        .size:           8
        .value_kind:     hidden_global_offset_z
      - .offset:         128
        .size:           2
        .value_kind:     hidden_grid_dims
      - .offset:         184
        .size:           4
        .value_kind:     hidden_dynamic_lds_size
    .group_segment_fixed_size: 0
    .kernarg_segment_align: 8
    .kernarg_segment_size: 320
    .language:       OpenCL C
    .language_version:
      - 2
      - 0
    .max_flat_workgroup_size: 512
    .name:           _ZN2at6native12_GLOBAL__N_135GammaBetaBackwardCUDAKernelTemplateIN3c108BFloat16EfLj64ELj8ELj64ELb0ELb1ELb0EEEvllPKT_S7_PKT0_SA_PS5_SB_
    .private_segment_fixed_size: 0
    .sgpr_count:     36
    .sgpr_spill_count: 0
    .symbol:         _ZN2at6native12_GLOBAL__N_135GammaBetaBackwardCUDAKernelTemplateIN3c108BFloat16EfLj64ELj8ELj64ELb0ELb1ELb0EEEvllPKT_S7_PKT0_SA_PS5_SB_.kd
    .uniform_work_group_size: 1
    .uses_dynamic_stack: false
    .vgpr_count:     48
    .vgpr_spill_count: 0
    .wavefront_size: 64
  - .agpr_count:     0
    .args:
      - .offset:         0
        .size:           8
        .value_kind:     by_value
      - .offset:         8
        .size:           8
        .value_kind:     by_value
      - .actual_access:  read_only
        .address_space:  global
        .offset:         16
        .size:           8
        .value_kind:     global_buffer
      - .actual_access:  read_only
        .address_space:  global
        .offset:         24
        .size:           8
        .value_kind:     global_buffer
      - .actual_access:  read_only
        .address_space:  global
        .offset:         32
        .size:           8
        .value_kind:     global_buffer
      - .actual_access:  read_only
        .address_space:  global
        .offset:         40
        .size:           8
        .value_kind:     global_buffer
      - .actual_access:  write_only
        .address_space:  global
        .offset:         48
        .size:           8
        .value_kind:     global_buffer
      - .actual_access:  write_only
        .address_space:  global
        .offset:         56
        .size:           8
        .value_kind:     global_buffer
      - .offset:         64
        .size:           4
        .value_kind:     hidden_block_count_x
      - .offset:         68
        .size:           4
        .value_kind:     hidden_block_count_y
      - .offset:         72
        .size:           4
        .value_kind:     hidden_block_count_z
      - .offset:         76
        .size:           2
        .value_kind:     hidden_group_size_x
      - .offset:         78
        .size:           2
        .value_kind:     hidden_group_size_y
      - .offset:         80
        .size:           2
        .value_kind:     hidden_group_size_z
      - .offset:         82
        .size:           2
        .value_kind:     hidden_remainder_x
      - .offset:         84
        .size:           2
        .value_kind:     hidden_remainder_y
      - .offset:         86
        .size:           2
        .value_kind:     hidden_remainder_z
      - .offset:         104
        .size:           8
        .value_kind:     hidden_global_offset_x
      - .offset:         112
        .size:           8
        .value_kind:     hidden_global_offset_y
      - .offset:         120
        .size:           8
        .value_kind:     hidden_global_offset_z
      - .offset:         128
        .size:           2
        .value_kind:     hidden_grid_dims
      - .offset:         184
        .size:           4
        .value_kind:     hidden_dynamic_lds_size
    .group_segment_fixed_size: 0
    .kernarg_segment_align: 8
    .kernarg_segment_size: 320
    .language:       OpenCL C
    .language_version:
      - 2
      - 0
    .max_flat_workgroup_size: 512
    .name:           _ZN2at6native12_GLOBAL__N_135GammaBetaBackwardCUDAKernelTemplateIN3c108BFloat16EfLj64ELj8ELj64ELb0ELb0ELb0EEEvllPKT_S7_PKT0_SA_PS5_SB_
    .private_segment_fixed_size: 0
    .sgpr_count:     48
    .sgpr_spill_count: 0
    .symbol:         _ZN2at6native12_GLOBAL__N_135GammaBetaBackwardCUDAKernelTemplateIN3c108BFloat16EfLj64ELj8ELj64ELb0ELb0ELb0EEEvllPKT_S7_PKT0_SA_PS5_SB_.kd
    .uniform_work_group_size: 1
    .uses_dynamic_stack: false
    .vgpr_count:     100
    .vgpr_spill_count: 0
    .wavefront_size: 64
  - .agpr_count:     0
    .args:
      - .offset:         0
        .size:           8
        .value_kind:     by_value
      - .offset:         8
        .size:           8
        .value_kind:     by_value
      - .actual_access:  read_only
        .address_space:  global
        .offset:         16
        .size:           8
        .value_kind:     global_buffer
      - .actual_access:  read_only
        .address_space:  global
        .offset:         24
        .size:           8
        .value_kind:     global_buffer
      - .actual_access:  read_only
        .address_space:  global
        .offset:         32
        .size:           8
        .value_kind:     global_buffer
      - .actual_access:  read_only
        .address_space:  global
        .offset:         40
        .size:           8
        .value_kind:     global_buffer
      - .actual_access:  write_only
        .address_space:  global
        .offset:         48
        .size:           8
        .value_kind:     global_buffer
      - .actual_access:  write_only
        .address_space:  global
        .offset:         56
        .size:           8
        .value_kind:     global_buffer
      - .offset:         64
        .size:           4
        .value_kind:     hidden_block_count_x
      - .offset:         68
        .size:           4
        .value_kind:     hidden_block_count_y
      - .offset:         72
        .size:           4
        .value_kind:     hidden_block_count_z
      - .offset:         76
        .size:           2
        .value_kind:     hidden_group_size_x
      - .offset:         78
        .size:           2
        .value_kind:     hidden_group_size_y
      - .offset:         80
        .size:           2
        .value_kind:     hidden_group_size_z
      - .offset:         82
        .size:           2
        .value_kind:     hidden_remainder_x
      - .offset:         84
        .size:           2
        .value_kind:     hidden_remainder_y
      - .offset:         86
        .size:           2
        .value_kind:     hidden_remainder_z
      - .offset:         104
        .size:           8
        .value_kind:     hidden_global_offset_x
      - .offset:         112
        .size:           8
        .value_kind:     hidden_global_offset_y
      - .offset:         120
        .size:           8
        .value_kind:     hidden_global_offset_z
      - .offset:         128
        .size:           2
        .value_kind:     hidden_grid_dims
      - .offset:         184
        .size:           4
        .value_kind:     hidden_dynamic_lds_size
    .group_segment_fixed_size: 0
    .kernarg_segment_align: 8
    .kernarg_segment_size: 320
    .language:       OpenCL C
    .language_version:
      - 2
      - 0
    .max_flat_workgroup_size: 1024
    .name:           _ZN2at6native12_GLOBAL__N_135GammaBetaBackwardCUDAKernelTemplateIN3c108BFloat16EfLj64ELj16ELj128ELb0ELb1ELb0EEEvllPKT_S7_PKT0_SA_PS5_SB_
    .private_segment_fixed_size: 0
    .sgpr_count:     36
    .sgpr_spill_count: 0
    .symbol:         _ZN2at6native12_GLOBAL__N_135GammaBetaBackwardCUDAKernelTemplateIN3c108BFloat16EfLj64ELj16ELj128ELb0ELb1ELb0EEEvllPKT_S7_PKT0_SA_PS5_SB_.kd
    .uniform_work_group_size: 1
    .uses_dynamic_stack: false
    .vgpr_count:     48
    .vgpr_spill_count: 0
    .wavefront_size: 64
  - .agpr_count:     0
    .args:
      - .offset:         0
        .size:           8
        .value_kind:     by_value
      - .offset:         8
        .size:           8
        .value_kind:     by_value
      - .actual_access:  read_only
        .address_space:  global
        .offset:         16
        .size:           8
        .value_kind:     global_buffer
      - .actual_access:  read_only
        .address_space:  global
        .offset:         24
        .size:           8
        .value_kind:     global_buffer
      - .actual_access:  read_only
        .address_space:  global
        .offset:         32
        .size:           8
        .value_kind:     global_buffer
      - .actual_access:  read_only
        .address_space:  global
        .offset:         40
        .size:           8
        .value_kind:     global_buffer
      - .actual_access:  write_only
        .address_space:  global
        .offset:         48
        .size:           8
        .value_kind:     global_buffer
      - .actual_access:  write_only
        .address_space:  global
        .offset:         56
        .size:           8
        .value_kind:     global_buffer
      - .offset:         64
        .size:           4
        .value_kind:     hidden_block_count_x
      - .offset:         68
        .size:           4
        .value_kind:     hidden_block_count_y
      - .offset:         72
        .size:           4
        .value_kind:     hidden_block_count_z
      - .offset:         76
        .size:           2
        .value_kind:     hidden_group_size_x
      - .offset:         78
        .size:           2
        .value_kind:     hidden_group_size_y
      - .offset:         80
        .size:           2
        .value_kind:     hidden_group_size_z
      - .offset:         82
        .size:           2
        .value_kind:     hidden_remainder_x
      - .offset:         84
        .size:           2
        .value_kind:     hidden_remainder_y
      - .offset:         86
        .size:           2
        .value_kind:     hidden_remainder_z
      - .offset:         104
        .size:           8
        .value_kind:     hidden_global_offset_x
      - .offset:         112
        .size:           8
        .value_kind:     hidden_global_offset_y
      - .offset:         120
        .size:           8
        .value_kind:     hidden_global_offset_z
      - .offset:         128
        .size:           2
        .value_kind:     hidden_grid_dims
      - .offset:         184
        .size:           4
        .value_kind:     hidden_dynamic_lds_size
    .group_segment_fixed_size: 0
    .kernarg_segment_align: 8
    .kernarg_segment_size: 320
    .language:       OpenCL C
    .language_version:
      - 2
      - 0
    .max_flat_workgroup_size: 1024
    .name:           _ZN2at6native12_GLOBAL__N_135GammaBetaBackwardCUDAKernelTemplateIN3c108BFloat16EfLj64ELj16ELj128ELb0ELb0ELb0EEEvllPKT_S7_PKT0_SA_PS5_SB_
    .private_segment_fixed_size: 0
    .sgpr_count:     48
    .sgpr_spill_count: 0
    .symbol:         _ZN2at6native12_GLOBAL__N_135GammaBetaBackwardCUDAKernelTemplateIN3c108BFloat16EfLj64ELj16ELj128ELb0ELb0ELb0EEEvllPKT_S7_PKT0_SA_PS5_SB_.kd
    .uniform_work_group_size: 1
    .uses_dynamic_stack: false
    .vgpr_count:     100
    .vgpr_spill_count: 0
    .wavefront_size: 64
  - .agpr_count:     0
    .args:
      - .offset:         0
        .size:           8
        .value_kind:     by_value
      - .offset:         8
        .size:           8
        .value_kind:     by_value
      - .actual_access:  read_only
        .address_space:  global
        .offset:         16
        .size:           8
        .value_kind:     global_buffer
      - .actual_access:  read_only
        .address_space:  global
        .offset:         24
        .size:           8
        .value_kind:     global_buffer
      - .actual_access:  read_only
        .address_space:  global
        .offset:         32
        .size:           8
        .value_kind:     global_buffer
      - .actual_access:  read_only
        .address_space:  global
        .offset:         40
        .size:           8
        .value_kind:     global_buffer
      - .actual_access:  write_only
        .address_space:  global
        .offset:         48
        .size:           8
        .value_kind:     global_buffer
      - .actual_access:  write_only
        .address_space:  global
        .offset:         56
        .size:           8
        .value_kind:     global_buffer
      - .offset:         64
        .size:           4
        .value_kind:     hidden_block_count_x
      - .offset:         68
        .size:           4
        .value_kind:     hidden_block_count_y
      - .offset:         72
        .size:           4
        .value_kind:     hidden_block_count_z
      - .offset:         76
        .size:           2
        .value_kind:     hidden_group_size_x
      - .offset:         78
        .size:           2
        .value_kind:     hidden_group_size_y
      - .offset:         80
        .size:           2
        .value_kind:     hidden_group_size_z
      - .offset:         82
        .size:           2
        .value_kind:     hidden_remainder_x
      - .offset:         84
        .size:           2
        .value_kind:     hidden_remainder_y
      - .offset:         86
        .size:           2
        .value_kind:     hidden_remainder_z
      - .offset:         104
        .size:           8
        .value_kind:     hidden_global_offset_x
      - .offset:         112
        .size:           8
        .value_kind:     hidden_global_offset_y
      - .offset:         120
        .size:           8
        .value_kind:     hidden_global_offset_z
      - .offset:         128
        .size:           2
        .value_kind:     hidden_grid_dims
      - .offset:         184
        .size:           4
        .value_kind:     hidden_dynamic_lds_size
    .group_segment_fixed_size: 0
    .kernarg_segment_align: 8
    .kernarg_segment_size: 320
    .language:       OpenCL C
    .language_version:
      - 2
      - 0
    .max_flat_workgroup_size: 1024
    .name:           _ZN2at6native12_GLOBAL__N_135GammaBetaBackwardCUDAKernelTemplateIN3c108BFloat16EfLj64ELj16ELj256ELb0ELb1ELb0EEEvllPKT_S7_PKT0_SA_PS5_SB_
    .private_segment_fixed_size: 0
    .sgpr_count:     36
    .sgpr_spill_count: 0
    .symbol:         _ZN2at6native12_GLOBAL__N_135GammaBetaBackwardCUDAKernelTemplateIN3c108BFloat16EfLj64ELj16ELj256ELb0ELb1ELb0EEEvllPKT_S7_PKT0_SA_PS5_SB_.kd
    .uniform_work_group_size: 1
    .uses_dynamic_stack: false
    .vgpr_count:     67
    .vgpr_spill_count: 0
    .wavefront_size: 64
  - .agpr_count:     0
    .args:
      - .offset:         0
        .size:           8
        .value_kind:     by_value
      - .offset:         8
        .size:           8
        .value_kind:     by_value
      - .actual_access:  read_only
        .address_space:  global
        .offset:         16
        .size:           8
        .value_kind:     global_buffer
      - .actual_access:  read_only
        .address_space:  global
        .offset:         24
        .size:           8
        .value_kind:     global_buffer
      - .actual_access:  read_only
        .address_space:  global
        .offset:         32
        .size:           8
        .value_kind:     global_buffer
      - .actual_access:  read_only
        .address_space:  global
        .offset:         40
        .size:           8
        .value_kind:     global_buffer
      - .actual_access:  write_only
        .address_space:  global
        .offset:         48
        .size:           8
        .value_kind:     global_buffer
      - .actual_access:  write_only
        .address_space:  global
        .offset:         56
        .size:           8
        .value_kind:     global_buffer
      - .offset:         64
        .size:           4
        .value_kind:     hidden_block_count_x
      - .offset:         68
        .size:           4
        .value_kind:     hidden_block_count_y
      - .offset:         72
        .size:           4
        .value_kind:     hidden_block_count_z
      - .offset:         76
        .size:           2
        .value_kind:     hidden_group_size_x
      - .offset:         78
        .size:           2
        .value_kind:     hidden_group_size_y
      - .offset:         80
        .size:           2
        .value_kind:     hidden_group_size_z
      - .offset:         82
        .size:           2
        .value_kind:     hidden_remainder_x
      - .offset:         84
        .size:           2
        .value_kind:     hidden_remainder_y
      - .offset:         86
        .size:           2
        .value_kind:     hidden_remainder_z
      - .offset:         104
        .size:           8
        .value_kind:     hidden_global_offset_x
      - .offset:         112
        .size:           8
        .value_kind:     hidden_global_offset_y
      - .offset:         120
        .size:           8
        .value_kind:     hidden_global_offset_z
      - .offset:         128
        .size:           2
        .value_kind:     hidden_grid_dims
      - .offset:         184
        .size:           4
        .value_kind:     hidden_dynamic_lds_size
    .group_segment_fixed_size: 0
    .kernarg_segment_align: 8
    .kernarg_segment_size: 320
    .language:       OpenCL C
    .language_version:
      - 2
      - 0
    .max_flat_workgroup_size: 1024
    .name:           _ZN2at6native12_GLOBAL__N_135GammaBetaBackwardCUDAKernelTemplateIN3c108BFloat16EfLj64ELj16ELj256ELb0ELb0ELb0EEEvllPKT_S7_PKT0_SA_PS5_SB_
    .private_segment_fixed_size: 448
    .sgpr_count:     60
    .sgpr_spill_count: 0
    .symbol:         _ZN2at6native12_GLOBAL__N_135GammaBetaBackwardCUDAKernelTemplateIN3c108BFloat16EfLj64ELj16ELj256ELb0ELb0ELb0EEEvllPKT_S7_PKT0_SA_PS5_SB_.kd
    .uniform_work_group_size: 1
    .uses_dynamic_stack: false
    .vgpr_count:     128
    .vgpr_spill_count: 217
    .wavefront_size: 64
  - .agpr_count:     0
    .args:
      - .offset:         0
        .size:           8
        .value_kind:     by_value
      - .offset:         8
        .size:           8
        .value_kind:     by_value
      - .actual_access:  read_only
        .address_space:  global
        .offset:         16
        .size:           8
        .value_kind:     global_buffer
      - .actual_access:  read_only
        .address_space:  global
        .offset:         24
        .size:           8
        .value_kind:     global_buffer
      - .actual_access:  read_only
        .address_space:  global
        .offset:         32
        .size:           8
        .value_kind:     global_buffer
      - .actual_access:  read_only
        .address_space:  global
        .offset:         40
        .size:           8
        .value_kind:     global_buffer
      - .actual_access:  write_only
        .address_space:  global
        .offset:         48
        .size:           8
        .value_kind:     global_buffer
      - .actual_access:  write_only
        .address_space:  global
        .offset:         56
        .size:           8
        .value_kind:     global_buffer
      - .offset:         64
        .size:           4
        .value_kind:     hidden_block_count_x
      - .offset:         68
        .size:           4
        .value_kind:     hidden_block_count_y
      - .offset:         72
        .size:           4
        .value_kind:     hidden_block_count_z
      - .offset:         76
        .size:           2
        .value_kind:     hidden_group_size_x
      - .offset:         78
        .size:           2
        .value_kind:     hidden_group_size_y
      - .offset:         80
        .size:           2
        .value_kind:     hidden_group_size_z
      - .offset:         82
        .size:           2
        .value_kind:     hidden_remainder_x
      - .offset:         84
        .size:           2
        .value_kind:     hidden_remainder_y
      - .offset:         86
        .size:           2
        .value_kind:     hidden_remainder_z
      - .offset:         104
        .size:           8
        .value_kind:     hidden_global_offset_x
      - .offset:         112
        .size:           8
        .value_kind:     hidden_global_offset_y
      - .offset:         120
        .size:           8
        .value_kind:     hidden_global_offset_z
      - .offset:         128
        .size:           2
        .value_kind:     hidden_grid_dims
    .group_segment_fixed_size: 0
    .kernarg_segment_align: 8
    .kernarg_segment_size: 320
    .language:       OpenCL C
    .language_version:
      - 2
      - 0
    .max_flat_workgroup_size: 32
    .name:           _ZN2at6native12_GLOBAL__N_135GammaBetaBackwardCUDAKernelTemplateIN3c108BFloat16EfLj32ELj1ELj32ELb1ELb1ELb0EEEvllPKT_S7_PKT0_SA_PS5_SB_
    .private_segment_fixed_size: 0
    .sgpr_count:     44
    .sgpr_spill_count: 0
    .symbol:         _ZN2at6native12_GLOBAL__N_135GammaBetaBackwardCUDAKernelTemplateIN3c108BFloat16EfLj32ELj1ELj32ELb1ELb1ELb0EEEvllPKT_S7_PKT0_SA_PS5_SB_.kd
    .uniform_work_group_size: 1
    .uses_dynamic_stack: false
    .vgpr_count:     82
    .vgpr_spill_count: 0
    .wavefront_size: 64
  - .agpr_count:     86
    .args:
      - .offset:         0
        .size:           8
        .value_kind:     by_value
      - .offset:         8
        .size:           8
        .value_kind:     by_value
      - .actual_access:  read_only
        .address_space:  global
        .offset:         16
        .size:           8
        .value_kind:     global_buffer
      - .actual_access:  read_only
        .address_space:  global
        .offset:         24
        .size:           8
        .value_kind:     global_buffer
      - .actual_access:  read_only
        .address_space:  global
        .offset:         32
        .size:           8
        .value_kind:     global_buffer
      - .actual_access:  read_only
        .address_space:  global
        .offset:         40
        .size:           8
        .value_kind:     global_buffer
      - .actual_access:  write_only
        .address_space:  global
        .offset:         48
        .size:           8
        .value_kind:     global_buffer
      - .actual_access:  write_only
        .address_space:  global
        .offset:         56
        .size:           8
        .value_kind:     global_buffer
      - .offset:         64
        .size:           4
        .value_kind:     hidden_block_count_x
      - .offset:         68
        .size:           4
        .value_kind:     hidden_block_count_y
      - .offset:         72
        .size:           4
        .value_kind:     hidden_block_count_z
      - .offset:         76
        .size:           2
        .value_kind:     hidden_group_size_x
      - .offset:         78
        .size:           2
        .value_kind:     hidden_group_size_y
      - .offset:         80
        .size:           2
        .value_kind:     hidden_group_size_z
      - .offset:         82
        .size:           2
        .value_kind:     hidden_remainder_x
      - .offset:         84
        .size:           2
        .value_kind:     hidden_remainder_y
      - .offset:         86
        .size:           2
        .value_kind:     hidden_remainder_z
      - .offset:         104
        .size:           8
        .value_kind:     hidden_global_offset_x
      - .offset:         112
        .size:           8
        .value_kind:     hidden_global_offset_y
      - .offset:         120
        .size:           8
        .value_kind:     hidden_global_offset_z
      - .offset:         128
        .size:           2
        .value_kind:     hidden_grid_dims
    .group_segment_fixed_size: 0
    .kernarg_segment_align: 8
    .kernarg_segment_size: 320
    .language:       OpenCL C
    .language_version:
      - 2
      - 0
    .max_flat_workgroup_size: 32
    .name:           _ZN2at6native12_GLOBAL__N_135GammaBetaBackwardCUDAKernelTemplateIN3c108BFloat16EfLj32ELj1ELj32ELb1ELb0ELb0EEEvllPKT_S7_PKT0_SA_PS5_SB_
    .private_segment_fixed_size: 0
    .sgpr_count:     42
    .sgpr_spill_count: 0
    .symbol:         _ZN2at6native12_GLOBAL__N_135GammaBetaBackwardCUDAKernelTemplateIN3c108BFloat16EfLj32ELj1ELj32ELb1ELb0ELb0EEEvllPKT_S7_PKT0_SA_PS5_SB_.kd
    .uniform_work_group_size: 1
    .uses_dynamic_stack: false
    .vgpr_count:     342
    .vgpr_spill_count: 0
    .wavefront_size: 64
  - .agpr_count:     0
    .args:
      - .offset:         0
        .size:           8
        .value_kind:     by_value
      - .offset:         8
        .size:           8
        .value_kind:     by_value
      - .actual_access:  read_only
        .address_space:  global
        .offset:         16
        .size:           8
        .value_kind:     global_buffer
      - .actual_access:  read_only
        .address_space:  global
        .offset:         24
        .size:           8
        .value_kind:     global_buffer
      - .actual_access:  read_only
        .address_space:  global
        .offset:         32
        .size:           8
        .value_kind:     global_buffer
      - .actual_access:  read_only
        .address_space:  global
        .offset:         40
        .size:           8
        .value_kind:     global_buffer
      - .actual_access:  write_only
        .address_space:  global
        .offset:         48
        .size:           8
        .value_kind:     global_buffer
      - .actual_access:  write_only
        .address_space:  global
        .offset:         56
        .size:           8
        .value_kind:     global_buffer
      - .offset:         64
        .size:           4
        .value_kind:     hidden_block_count_x
      - .offset:         68
        .size:           4
        .value_kind:     hidden_block_count_y
      - .offset:         72
        .size:           4
        .value_kind:     hidden_block_count_z
      - .offset:         76
        .size:           2
        .value_kind:     hidden_group_size_x
      - .offset:         78
        .size:           2
        .value_kind:     hidden_group_size_y
      - .offset:         80
        .size:           2
        .value_kind:     hidden_group_size_z
      - .offset:         82
        .size:           2
        .value_kind:     hidden_remainder_x
      - .offset:         84
        .size:           2
        .value_kind:     hidden_remainder_y
      - .offset:         86
        .size:           2
        .value_kind:     hidden_remainder_z
      - .offset:         104
        .size:           8
        .value_kind:     hidden_global_offset_x
      - .offset:         112
        .size:           8
        .value_kind:     hidden_global_offset_y
      - .offset:         120
        .size:           8
        .value_kind:     hidden_global_offset_z
      - .offset:         128
        .size:           2
        .value_kind:     hidden_grid_dims
    .group_segment_fixed_size: 0
    .kernarg_segment_align: 8
    .kernarg_segment_size: 320
    .language:       OpenCL C
    .language_version:
      - 2
      - 0
    .max_flat_workgroup_size: 32
    .name:           _ZN2at6native12_GLOBAL__N_135GammaBetaBackwardCUDAKernelTemplateIN3c108BFloat16EfLj32ELj1ELj8ELb1ELb1ELb0EEEvllPKT_S7_PKT0_SA_PS5_SB_
    .private_segment_fixed_size: 0
    .sgpr_count:     44
    .sgpr_spill_count: 0
    .symbol:         _ZN2at6native12_GLOBAL__N_135GammaBetaBackwardCUDAKernelTemplateIN3c108BFloat16EfLj32ELj1ELj8ELb1ELb1ELb0EEEvllPKT_S7_PKT0_SA_PS5_SB_.kd
    .uniform_work_group_size: 1
    .uses_dynamic_stack: false
    .vgpr_count:     47
    .vgpr_spill_count: 0
    .wavefront_size: 64
  - .agpr_count:     0
    .args:
      - .offset:         0
        .size:           8
        .value_kind:     by_value
      - .offset:         8
        .size:           8
        .value_kind:     by_value
      - .actual_access:  read_only
        .address_space:  global
        .offset:         16
        .size:           8
        .value_kind:     global_buffer
      - .actual_access:  read_only
        .address_space:  global
        .offset:         24
        .size:           8
        .value_kind:     global_buffer
      - .actual_access:  read_only
        .address_space:  global
        .offset:         32
        .size:           8
        .value_kind:     global_buffer
      - .actual_access:  read_only
        .address_space:  global
        .offset:         40
        .size:           8
        .value_kind:     global_buffer
      - .actual_access:  write_only
        .address_space:  global
        .offset:         48
        .size:           8
        .value_kind:     global_buffer
      - .actual_access:  write_only
        .address_space:  global
        .offset:         56
        .size:           8
        .value_kind:     global_buffer
      - .offset:         64
        .size:           4
        .value_kind:     hidden_block_count_x
      - .offset:         68
        .size:           4
        .value_kind:     hidden_block_count_y
      - .offset:         72
        .size:           4
        .value_kind:     hidden_block_count_z
      - .offset:         76
        .size:           2
        .value_kind:     hidden_group_size_x
      - .offset:         78
        .size:           2
        .value_kind:     hidden_group_size_y
      - .offset:         80
        .size:           2
        .value_kind:     hidden_group_size_z
      - .offset:         82
        .size:           2
        .value_kind:     hidden_remainder_x
      - .offset:         84
        .size:           2
        .value_kind:     hidden_remainder_y
      - .offset:         86
        .size:           2
        .value_kind:     hidden_remainder_z
      - .offset:         104
        .size:           8
        .value_kind:     hidden_global_offset_x
      - .offset:         112
        .size:           8
        .value_kind:     hidden_global_offset_y
      - .offset:         120
        .size:           8
        .value_kind:     hidden_global_offset_z
      - .offset:         128
        .size:           2
        .value_kind:     hidden_grid_dims
    .group_segment_fixed_size: 0
    .kernarg_segment_align: 8
    .kernarg_segment_size: 320
    .language:       OpenCL C
    .language_version:
      - 2
      - 0
    .max_flat_workgroup_size: 32
    .name:           _ZN2at6native12_GLOBAL__N_135GammaBetaBackwardCUDAKernelTemplateIN3c108BFloat16EfLj32ELj1ELj8ELb1ELb0ELb0EEEvllPKT_S7_PKT0_SA_PS5_SB_
    .private_segment_fixed_size: 0
    .sgpr_count:     50
    .sgpr_spill_count: 0
    .symbol:         _ZN2at6native12_GLOBAL__N_135GammaBetaBackwardCUDAKernelTemplateIN3c108BFloat16EfLj32ELj1ELj8ELb1ELb0ELb0EEEvllPKT_S7_PKT0_SA_PS5_SB_.kd
    .uniform_work_group_size: 1
    .uses_dynamic_stack: false
    .vgpr_count:     100
    .vgpr_spill_count: 0
    .wavefront_size: 64
  - .agpr_count:     0
    .args:
      - .offset:         0
        .size:           8
        .value_kind:     by_value
      - .offset:         8
        .size:           8
        .value_kind:     by_value
      - .actual_access:  read_only
        .address_space:  global
        .offset:         16
        .size:           8
        .value_kind:     global_buffer
      - .actual_access:  read_only
        .address_space:  global
        .offset:         24
        .size:           8
        .value_kind:     global_buffer
      - .actual_access:  read_only
        .address_space:  global
        .offset:         32
        .size:           8
        .value_kind:     global_buffer
      - .actual_access:  read_only
        .address_space:  global
        .offset:         40
        .size:           8
        .value_kind:     global_buffer
      - .actual_access:  write_only
        .address_space:  global
        .offset:         48
        .size:           8
        .value_kind:     global_buffer
      - .actual_access:  write_only
        .address_space:  global
        .offset:         56
        .size:           8
        .value_kind:     global_buffer
      - .offset:         64
        .size:           4
        .value_kind:     hidden_block_count_x
      - .offset:         68
        .size:           4
        .value_kind:     hidden_block_count_y
      - .offset:         72
        .size:           4
        .value_kind:     hidden_block_count_z
      - .offset:         76
        .size:           2
        .value_kind:     hidden_group_size_x
      - .offset:         78
        .size:           2
        .value_kind:     hidden_group_size_y
      - .offset:         80
        .size:           2
        .value_kind:     hidden_group_size_z
      - .offset:         82
        .size:           2
        .value_kind:     hidden_remainder_x
      - .offset:         84
        .size:           2
        .value_kind:     hidden_remainder_y
      - .offset:         86
        .size:           2
        .value_kind:     hidden_remainder_z
      - .offset:         104
        .size:           8
        .value_kind:     hidden_global_offset_x
      - .offset:         112
        .size:           8
        .value_kind:     hidden_global_offset_y
      - .offset:         120
        .size:           8
        .value_kind:     hidden_global_offset_z
      - .offset:         128
        .size:           2
        .value_kind:     hidden_grid_dims
      - .offset:         184
        .size:           4
        .value_kind:     hidden_dynamic_lds_size
    .group_segment_fixed_size: 0
    .kernarg_segment_align: 8
    .kernarg_segment_size: 320
    .language:       OpenCL C
    .language_version:
      - 2
      - 0
    .max_flat_workgroup_size: 256
    .name:           _ZN2at6native12_GLOBAL__N_135GammaBetaBackwardCUDAKernelTemplateIN3c108BFloat16EfLj32ELj8ELj64ELb0ELb1ELb0EEEvllPKT_S7_PKT0_SA_PS5_SB_
    .private_segment_fixed_size: 0
    .sgpr_count:     36
    .sgpr_spill_count: 0
    .symbol:         _ZN2at6native12_GLOBAL__N_135GammaBetaBackwardCUDAKernelTemplateIN3c108BFloat16EfLj32ELj8ELj64ELb0ELb1ELb0EEEvllPKT_S7_PKT0_SA_PS5_SB_.kd
    .uniform_work_group_size: 1
    .uses_dynamic_stack: false
    .vgpr_count:     48
    .vgpr_spill_count: 0
    .wavefront_size: 64
  - .agpr_count:     0
    .args:
      - .offset:         0
        .size:           8
        .value_kind:     by_value
      - .offset:         8
        .size:           8
        .value_kind:     by_value
      - .actual_access:  read_only
        .address_space:  global
        .offset:         16
        .size:           8
        .value_kind:     global_buffer
      - .actual_access:  read_only
        .address_space:  global
        .offset:         24
        .size:           8
        .value_kind:     global_buffer
      - .actual_access:  read_only
        .address_space:  global
        .offset:         32
        .size:           8
        .value_kind:     global_buffer
      - .actual_access:  read_only
        .address_space:  global
        .offset:         40
        .size:           8
        .value_kind:     global_buffer
      - .actual_access:  write_only
        .address_space:  global
        .offset:         48
        .size:           8
        .value_kind:     global_buffer
      - .actual_access:  write_only
        .address_space:  global
        .offset:         56
        .size:           8
        .value_kind:     global_buffer
      - .offset:         64
        .size:           4
        .value_kind:     hidden_block_count_x
      - .offset:         68
        .size:           4
        .value_kind:     hidden_block_count_y
      - .offset:         72
        .size:           4
        .value_kind:     hidden_block_count_z
      - .offset:         76
        .size:           2
        .value_kind:     hidden_group_size_x
      - .offset:         78
        .size:           2
        .value_kind:     hidden_group_size_y
      - .offset:         80
        .size:           2
        .value_kind:     hidden_group_size_z
      - .offset:         82
        .size:           2
        .value_kind:     hidden_remainder_x
      - .offset:         84
        .size:           2
        .value_kind:     hidden_remainder_y
      - .offset:         86
        .size:           2
        .value_kind:     hidden_remainder_z
      - .offset:         104
        .size:           8
        .value_kind:     hidden_global_offset_x
      - .offset:         112
        .size:           8
        .value_kind:     hidden_global_offset_y
      - .offset:         120
        .size:           8
        .value_kind:     hidden_global_offset_z
      - .offset:         128
        .size:           2
        .value_kind:     hidden_grid_dims
      - .offset:         184
        .size:           4
        .value_kind:     hidden_dynamic_lds_size
    .group_segment_fixed_size: 0
    .kernarg_segment_align: 8
    .kernarg_segment_size: 320
    .language:       OpenCL C
    .language_version:
      - 2
      - 0
    .max_flat_workgroup_size: 256
    .name:           _ZN2at6native12_GLOBAL__N_135GammaBetaBackwardCUDAKernelTemplateIN3c108BFloat16EfLj32ELj8ELj64ELb0ELb0ELb0EEEvllPKT_S7_PKT0_SA_PS5_SB_
    .private_segment_fixed_size: 0
    .sgpr_count:     48
    .sgpr_spill_count: 0
    .symbol:         _ZN2at6native12_GLOBAL__N_135GammaBetaBackwardCUDAKernelTemplateIN3c108BFloat16EfLj32ELj8ELj64ELb0ELb0ELb0EEEvllPKT_S7_PKT0_SA_PS5_SB_.kd
    .uniform_work_group_size: 1
    .uses_dynamic_stack: false
    .vgpr_count:     100
    .vgpr_spill_count: 0
    .wavefront_size: 64
  - .agpr_count:     0
    .args:
      - .offset:         0
        .size:           8
        .value_kind:     by_value
      - .offset:         8
        .size:           8
        .value_kind:     by_value
      - .actual_access:  read_only
        .address_space:  global
        .offset:         16
        .size:           8
        .value_kind:     global_buffer
      - .actual_access:  read_only
        .address_space:  global
        .offset:         24
        .size:           8
        .value_kind:     global_buffer
      - .actual_access:  read_only
        .address_space:  global
        .offset:         32
        .size:           8
        .value_kind:     global_buffer
      - .actual_access:  read_only
        .address_space:  global
        .offset:         40
        .size:           8
        .value_kind:     global_buffer
      - .actual_access:  write_only
        .address_space:  global
        .offset:         48
        .size:           8
        .value_kind:     global_buffer
      - .actual_access:  write_only
        .address_space:  global
        .offset:         56
        .size:           8
        .value_kind:     global_buffer
      - .offset:         64
        .size:           4
        .value_kind:     hidden_block_count_x
      - .offset:         68
        .size:           4
        .value_kind:     hidden_block_count_y
      - .offset:         72
        .size:           4
        .value_kind:     hidden_block_count_z
      - .offset:         76
        .size:           2
        .value_kind:     hidden_group_size_x
      - .offset:         78
        .size:           2
        .value_kind:     hidden_group_size_y
      - .offset:         80
        .size:           2
        .value_kind:     hidden_group_size_z
      - .offset:         82
        .size:           2
        .value_kind:     hidden_remainder_x
      - .offset:         84
        .size:           2
        .value_kind:     hidden_remainder_y
      - .offset:         86
        .size:           2
        .value_kind:     hidden_remainder_z
      - .offset:         104
        .size:           8
        .value_kind:     hidden_global_offset_x
      - .offset:         112
        .size:           8
        .value_kind:     hidden_global_offset_y
      - .offset:         120
        .size:           8
        .value_kind:     hidden_global_offset_z
      - .offset:         128
        .size:           2
        .value_kind:     hidden_grid_dims
      - .offset:         184
        .size:           4
        .value_kind:     hidden_dynamic_lds_size
    .group_segment_fixed_size: 0
    .kernarg_segment_align: 8
    .kernarg_segment_size: 320
    .language:       OpenCL C
    .language_version:
      - 2
      - 0
    .max_flat_workgroup_size: 512
    .name:           _ZN2at6native12_GLOBAL__N_135GammaBetaBackwardCUDAKernelTemplateIN3c108BFloat16EfLj32ELj16ELj128ELb0ELb1ELb0EEEvllPKT_S7_PKT0_SA_PS5_SB_
    .private_segment_fixed_size: 0
    .sgpr_count:     36
    .sgpr_spill_count: 0
    .symbol:         _ZN2at6native12_GLOBAL__N_135GammaBetaBackwardCUDAKernelTemplateIN3c108BFloat16EfLj32ELj16ELj128ELb0ELb1ELb0EEEvllPKT_S7_PKT0_SA_PS5_SB_.kd
    .uniform_work_group_size: 1
    .uses_dynamic_stack: false
    .vgpr_count:     48
    .vgpr_spill_count: 0
    .wavefront_size: 64
  - .agpr_count:     0
    .args:
      - .offset:         0
        .size:           8
        .value_kind:     by_value
      - .offset:         8
        .size:           8
        .value_kind:     by_value
      - .actual_access:  read_only
        .address_space:  global
        .offset:         16
        .size:           8
        .value_kind:     global_buffer
      - .actual_access:  read_only
        .address_space:  global
        .offset:         24
        .size:           8
        .value_kind:     global_buffer
      - .actual_access:  read_only
        .address_space:  global
        .offset:         32
        .size:           8
        .value_kind:     global_buffer
      - .actual_access:  read_only
        .address_space:  global
        .offset:         40
        .size:           8
        .value_kind:     global_buffer
      - .actual_access:  write_only
        .address_space:  global
        .offset:         48
        .size:           8
        .value_kind:     global_buffer
      - .actual_access:  write_only
        .address_space:  global
        .offset:         56
        .size:           8
        .value_kind:     global_buffer
      - .offset:         64
        .size:           4
        .value_kind:     hidden_block_count_x
      - .offset:         68
        .size:           4
        .value_kind:     hidden_block_count_y
      - .offset:         72
        .size:           4
        .value_kind:     hidden_block_count_z
      - .offset:         76
        .size:           2
        .value_kind:     hidden_group_size_x
      - .offset:         78
        .size:           2
        .value_kind:     hidden_group_size_y
      - .offset:         80
        .size:           2
        .value_kind:     hidden_group_size_z
      - .offset:         82
        .size:           2
        .value_kind:     hidden_remainder_x
      - .offset:         84
        .size:           2
        .value_kind:     hidden_remainder_y
      - .offset:         86
        .size:           2
        .value_kind:     hidden_remainder_z
      - .offset:         104
        .size:           8
        .value_kind:     hidden_global_offset_x
      - .offset:         112
        .size:           8
        .value_kind:     hidden_global_offset_y
      - .offset:         120
        .size:           8
        .value_kind:     hidden_global_offset_z
      - .offset:         128
        .size:           2
        .value_kind:     hidden_grid_dims
      - .offset:         184
        .size:           4
        .value_kind:     hidden_dynamic_lds_size
    .group_segment_fixed_size: 0
    .kernarg_segment_align: 8
    .kernarg_segment_size: 320
    .language:       OpenCL C
    .language_version:
      - 2
      - 0
    .max_flat_workgroup_size: 512
    .name:           _ZN2at6native12_GLOBAL__N_135GammaBetaBackwardCUDAKernelTemplateIN3c108BFloat16EfLj32ELj16ELj128ELb0ELb0ELb0EEEvllPKT_S7_PKT0_SA_PS5_SB_
    .private_segment_fixed_size: 0
    .sgpr_count:     48
    .sgpr_spill_count: 0
    .symbol:         _ZN2at6native12_GLOBAL__N_135GammaBetaBackwardCUDAKernelTemplateIN3c108BFloat16EfLj32ELj16ELj128ELb0ELb0ELb0EEEvllPKT_S7_PKT0_SA_PS5_SB_.kd
    .uniform_work_group_size: 1
    .uses_dynamic_stack: false
    .vgpr_count:     100
    .vgpr_spill_count: 0
    .wavefront_size: 64
  - .agpr_count:     0
    .args:
      - .offset:         0
        .size:           8
        .value_kind:     by_value
      - .offset:         8
        .size:           8
        .value_kind:     by_value
      - .actual_access:  read_only
        .address_space:  global
        .offset:         16
        .size:           8
        .value_kind:     global_buffer
      - .actual_access:  read_only
        .address_space:  global
        .offset:         24
        .size:           8
        .value_kind:     global_buffer
      - .actual_access:  read_only
        .address_space:  global
        .offset:         32
        .size:           8
        .value_kind:     global_buffer
      - .actual_access:  read_only
        .address_space:  global
        .offset:         40
        .size:           8
        .value_kind:     global_buffer
      - .actual_access:  write_only
        .address_space:  global
        .offset:         48
        .size:           8
        .value_kind:     global_buffer
      - .actual_access:  write_only
        .address_space:  global
        .offset:         56
        .size:           8
        .value_kind:     global_buffer
      - .offset:         64
        .size:           4
        .value_kind:     hidden_block_count_x
      - .offset:         68
        .size:           4
        .value_kind:     hidden_block_count_y
      - .offset:         72
        .size:           4
        .value_kind:     hidden_block_count_z
      - .offset:         76
        .size:           2
        .value_kind:     hidden_group_size_x
      - .offset:         78
        .size:           2
        .value_kind:     hidden_group_size_y
      - .offset:         80
        .size:           2
        .value_kind:     hidden_group_size_z
      - .offset:         82
        .size:           2
        .value_kind:     hidden_remainder_x
      - .offset:         84
        .size:           2
        .value_kind:     hidden_remainder_y
      - .offset:         86
        .size:           2
        .value_kind:     hidden_remainder_z
      - .offset:         104
        .size:           8
        .value_kind:     hidden_global_offset_x
      - .offset:         112
        .size:           8
        .value_kind:     hidden_global_offset_y
      - .offset:         120
        .size:           8
        .value_kind:     hidden_global_offset_z
      - .offset:         128
        .size:           2
        .value_kind:     hidden_grid_dims
      - .offset:         184
        .size:           4
        .value_kind:     hidden_dynamic_lds_size
    .group_segment_fixed_size: 0
    .kernarg_segment_align: 8
    .kernarg_segment_size: 320
    .language:       OpenCL C
    .language_version:
      - 2
      - 0
    .max_flat_workgroup_size: 1024
    .name:           _ZN2at6native12_GLOBAL__N_135GammaBetaBackwardCUDAKernelTemplateIN3c108BFloat16EfLj32ELj32ELj256ELb0ELb1ELb0EEEvllPKT_S7_PKT0_SA_PS5_SB_
    .private_segment_fixed_size: 0
    .sgpr_count:     36
    .sgpr_spill_count: 0
    .symbol:         _ZN2at6native12_GLOBAL__N_135GammaBetaBackwardCUDAKernelTemplateIN3c108BFloat16EfLj32ELj32ELj256ELb0ELb1ELb0EEEvllPKT_S7_PKT0_SA_PS5_SB_.kd
    .uniform_work_group_size: 1
    .uses_dynamic_stack: false
    .vgpr_count:     48
    .vgpr_spill_count: 0
    .wavefront_size: 64
  - .agpr_count:     0
    .args:
      - .offset:         0
        .size:           8
        .value_kind:     by_value
      - .offset:         8
        .size:           8
        .value_kind:     by_value
      - .actual_access:  read_only
        .address_space:  global
        .offset:         16
        .size:           8
        .value_kind:     global_buffer
      - .actual_access:  read_only
        .address_space:  global
        .offset:         24
        .size:           8
        .value_kind:     global_buffer
      - .actual_access:  read_only
        .address_space:  global
        .offset:         32
        .size:           8
        .value_kind:     global_buffer
      - .actual_access:  read_only
        .address_space:  global
        .offset:         40
        .size:           8
        .value_kind:     global_buffer
      - .actual_access:  write_only
        .address_space:  global
        .offset:         48
        .size:           8
        .value_kind:     global_buffer
      - .actual_access:  write_only
        .address_space:  global
        .offset:         56
        .size:           8
        .value_kind:     global_buffer
      - .offset:         64
        .size:           4
        .value_kind:     hidden_block_count_x
      - .offset:         68
        .size:           4
        .value_kind:     hidden_block_count_y
      - .offset:         72
        .size:           4
        .value_kind:     hidden_block_count_z
      - .offset:         76
        .size:           2
        .value_kind:     hidden_group_size_x
      - .offset:         78
        .size:           2
        .value_kind:     hidden_group_size_y
      - .offset:         80
        .size:           2
        .value_kind:     hidden_group_size_z
      - .offset:         82
        .size:           2
        .value_kind:     hidden_remainder_x
      - .offset:         84
        .size:           2
        .value_kind:     hidden_remainder_y
      - .offset:         86
        .size:           2
        .value_kind:     hidden_remainder_z
      - .offset:         104
        .size:           8
        .value_kind:     hidden_global_offset_x
      - .offset:         112
        .size:           8
        .value_kind:     hidden_global_offset_y
      - .offset:         120
        .size:           8
        .value_kind:     hidden_global_offset_z
      - .offset:         128
        .size:           2
        .value_kind:     hidden_grid_dims
      - .offset:         184
        .size:           4
        .value_kind:     hidden_dynamic_lds_size
    .group_segment_fixed_size: 0
    .kernarg_segment_align: 8
    .kernarg_segment_size: 320
    .language:       OpenCL C
    .language_version:
      - 2
      - 0
    .max_flat_workgroup_size: 1024
    .name:           _ZN2at6native12_GLOBAL__N_135GammaBetaBackwardCUDAKernelTemplateIN3c108BFloat16EfLj32ELj32ELj256ELb0ELb0ELb0EEEvllPKT_S7_PKT0_SA_PS5_SB_
    .private_segment_fixed_size: 0
    .sgpr_count:     48
    .sgpr_spill_count: 0
    .symbol:         _ZN2at6native12_GLOBAL__N_135GammaBetaBackwardCUDAKernelTemplateIN3c108BFloat16EfLj32ELj32ELj256ELb0ELb0ELb0EEEvllPKT_S7_PKT0_SA_PS5_SB_.kd
    .uniform_work_group_size: 1
    .uses_dynamic_stack: false
    .vgpr_count:     100
    .vgpr_spill_count: 0
    .wavefront_size: 64
  - .agpr_count:     0
    .args:
      - .actual_access:  read_only
        .address_space:  global
        .offset:         0
        .size:           8
        .value_kind:     global_buffer
      - .actual_access:  read_only
        .address_space:  global
        .offset:         8
        .size:           8
        .value_kind:     global_buffer
      - .offset:         16
        .size:           8
        .value_kind:     by_value
      - .offset:         24
        .size:           8
        .value_kind:     by_value
      - .actual_access:  read_only
        .address_space:  global
        .offset:         32
        .size:           8
        .value_kind:     global_buffer
      - .actual_access:  read_only
        .address_space:  global
        .offset:         40
        .size:           8
        .value_kind:     global_buffer
      - .address_space:  global
        .offset:         48
        .size:           8
        .value_kind:     global_buffer
      - .address_space:  global
        .offset:         56
        .size:           8
        .value_kind:     global_buffer
      - .offset:         64
        .size:           4
        .value_kind:     hidden_block_count_x
      - .offset:         68
        .size:           4
        .value_kind:     hidden_block_count_y
      - .offset:         72
        .size:           4
        .value_kind:     hidden_block_count_z
      - .offset:         76
        .size:           2
        .value_kind:     hidden_group_size_x
      - .offset:         78
        .size:           2
        .value_kind:     hidden_group_size_y
      - .offset:         80
        .size:           2
        .value_kind:     hidden_group_size_z
      - .offset:         82
        .size:           2
        .value_kind:     hidden_remainder_x
      - .offset:         84
        .size:           2
        .value_kind:     hidden_remainder_y
      - .offset:         86
        .size:           2
        .value_kind:     hidden_remainder_z
      - .offset:         104
        .size:           8
        .value_kind:     hidden_global_offset_x
      - .offset:         112
        .size:           8
        .value_kind:     hidden_global_offset_y
      - .offset:         120
        .size:           8
        .value_kind:     hidden_global_offset_z
      - .offset:         128
        .size:           2
        .value_kind:     hidden_grid_dims
      - .offset:         184
        .size:           4
        .value_kind:     hidden_dynamic_lds_size
    .group_segment_fixed_size: 0
    .kernarg_segment_align: 8
    .kernarg_segment_size: 320
    .language:       OpenCL C
    .language_version:
      - 2
      - 0
    .max_flat_workgroup_size: 1024
    .name:           _ZN2at6native12_GLOBAL__N_118cuComputeGradInputIddLb1EEEvPKT_S5_llPKT0_S8_S5_PS3_
    .private_segment_fixed_size: 0
    .sgpr_count:     53
    .sgpr_spill_count: 0
    .symbol:         _ZN2at6native12_GLOBAL__N_118cuComputeGradInputIddLb1EEEvPKT_S5_llPKT0_S8_S5_PS3_.kd
    .uniform_work_group_size: 1
    .uses_dynamic_stack: false
    .vgpr_count:     36
    .vgpr_spill_count: 0
    .wavefront_size: 64
  - .agpr_count:     0
    .args:
      - .actual_access:  read_only
        .address_space:  global
        .offset:         0
        .size:           8
        .value_kind:     global_buffer
      - .actual_access:  read_only
        .address_space:  global
        .offset:         8
        .size:           8
        .value_kind:     global_buffer
      - .actual_access:  read_only
        .address_space:  global
        .offset:         16
        .size:           8
        .value_kind:     global_buffer
      - .actual_access:  read_only
        .address_space:  global
        .offset:         24
        .size:           8
        .value_kind:     global_buffer
      - .actual_access:  read_only
        .address_space:  global
        .offset:         32
        .size:           8
        .value_kind:     global_buffer
      - .address_space:  global
        .offset:         40
        .size:           8
        .value_kind:     global_buffer
      - .offset:         48
        .size:           4
        .value_kind:     by_value
      - .offset:         56
        .size:           4
        .value_kind:     hidden_block_count_x
      - .offset:         60
        .size:           4
        .value_kind:     hidden_block_count_y
      - .offset:         64
        .size:           4
        .value_kind:     hidden_block_count_z
      - .offset:         68
        .size:           2
        .value_kind:     hidden_group_size_x
      - .offset:         70
        .size:           2
        .value_kind:     hidden_group_size_y
      - .offset:         72
        .size:           2
        .value_kind:     hidden_group_size_z
      - .offset:         74
        .size:           2
        .value_kind:     hidden_remainder_x
      - .offset:         76
        .size:           2
        .value_kind:     hidden_remainder_y
      - .offset:         78
        .size:           2
        .value_kind:     hidden_remainder_z
      - .offset:         96
        .size:           8
        .value_kind:     hidden_global_offset_x
      - .offset:         104
        .size:           8
        .value_kind:     hidden_global_offset_y
      - .offset:         112
        .size:           8
        .value_kind:     hidden_global_offset_z
      - .offset:         120
        .size:           2
        .value_kind:     hidden_grid_dims
      - .offset:         176
        .size:           4
        .value_kind:     hidden_dynamic_lds_size
    .group_segment_fixed_size: 0
    .kernarg_segment_align: 8
    .kernarg_segment_size: 312
    .language:       OpenCL C
    .language_version:
      - 2
      - 0
    .max_flat_workgroup_size: 1024
    .name:           _ZN2at6native12_GLOBAL__N_128layer_norm_grad_input_kernelIddLb1EEEvPKT_S5_PKT0_S8_S5_PS3_i
    .private_segment_fixed_size: 0
    .sgpr_count:     36
    .sgpr_spill_count: 0
    .symbol:         _ZN2at6native12_GLOBAL__N_128layer_norm_grad_input_kernelIddLb1EEEvPKT_S5_PKT0_S8_S5_PS3_i.kd
    .uniform_work_group_size: 1
    .uses_dynamic_stack: false
    .vgpr_count:     36
    .vgpr_spill_count: 0
    .wavefront_size: 64
  - .agpr_count:     0
    .args:
      - .offset:         0
        .size:           8
        .value_kind:     by_value
      - .offset:         8
        .size:           8
        .value_kind:     by_value
      - .address_space:  global
        .offset:         16
        .size:           8
        .value_kind:     global_buffer
      - .address_space:  global
        .offset:         24
        .size:           8
        .value_kind:     global_buffer
      - .address_space:  global
        .offset:         32
        .size:           8
        .value_kind:     global_buffer
      - .address_space:  global
        .offset:         40
        .size:           8
        .value_kind:     global_buffer
      - .address_space:  global
        .offset:         48
        .size:           8
        .value_kind:     global_buffer
      - .address_space:  global
        .offset:         56
        .size:           8
        .value_kind:     global_buffer
      - .offset:         64
        .size:           4
        .value_kind:     hidden_block_count_x
      - .offset:         68
        .size:           4
        .value_kind:     hidden_block_count_y
      - .offset:         72
        .size:           4
        .value_kind:     hidden_block_count_z
      - .offset:         76
        .size:           2
        .value_kind:     hidden_group_size_x
      - .offset:         78
        .size:           2
        .value_kind:     hidden_group_size_y
      - .offset:         80
        .size:           2
        .value_kind:     hidden_group_size_z
      - .offset:         82
        .size:           2
        .value_kind:     hidden_remainder_x
      - .offset:         84
        .size:           2
        .value_kind:     hidden_remainder_y
      - .offset:         86
        .size:           2
        .value_kind:     hidden_remainder_z
      - .offset:         104
        .size:           8
        .value_kind:     hidden_global_offset_x
      - .offset:         112
        .size:           8
        .value_kind:     hidden_global_offset_y
      - .offset:         120
        .size:           8
        .value_kind:     hidden_global_offset_z
      - .offset:         128
        .size:           2
        .value_kind:     hidden_grid_dims
    .group_segment_fixed_size: 0
    .kernarg_segment_align: 8
    .kernarg_segment_size: 320
    .language:       OpenCL C
    .language_version:
      - 2
      - 0
    .max_flat_workgroup_size: 1024
    .name:           _ZN2at6native12_GLOBAL__N_133GammaBetaBackwardSimpleCUDAKernelIddLb1EEEvllPKT_S5_PKT0_S8_PS3_S9_
    .private_segment_fixed_size: 0
    .sgpr_count:     20
    .sgpr_spill_count: 0
    .symbol:         _ZN2at6native12_GLOBAL__N_133GammaBetaBackwardSimpleCUDAKernelIddLb1EEEvllPKT_S5_PKT0_S8_PS3_S9_.kd
    .uniform_work_group_size: 1
    .uses_dynamic_stack: false
    .vgpr_count:     14
    .vgpr_spill_count: 0
    .wavefront_size: 64
  - .agpr_count:     0
    .args:
      - .offset:         0
        .size:           8
        .value_kind:     by_value
      - .offset:         8
        .size:           8
        .value_kind:     by_value
      - .actual_access:  read_only
        .address_space:  global
        .offset:         16
        .size:           8
        .value_kind:     global_buffer
      - .actual_access:  read_only
        .address_space:  global
        .offset:         24
        .size:           8
        .value_kind:     global_buffer
      - .actual_access:  read_only
        .address_space:  global
        .offset:         32
        .size:           8
        .value_kind:     global_buffer
      - .actual_access:  read_only
        .address_space:  global
        .offset:         40
        .size:           8
        .value_kind:     global_buffer
      - .actual_access:  write_only
        .address_space:  global
        .offset:         48
        .size:           8
        .value_kind:     global_buffer
      - .actual_access:  read_only
        .address_space:  global
        .offset:         56
        .size:           8
        .value_kind:     global_buffer
      - .offset:         64
        .size:           4
        .value_kind:     hidden_block_count_x
      - .offset:         68
        .size:           4
        .value_kind:     hidden_block_count_y
      - .offset:         72
        .size:           4
        .value_kind:     hidden_block_count_z
      - .offset:         76
        .size:           2
        .value_kind:     hidden_group_size_x
      - .offset:         78
        .size:           2
        .value_kind:     hidden_group_size_y
      - .offset:         80
        .size:           2
        .value_kind:     hidden_group_size_z
      - .offset:         82
        .size:           2
        .value_kind:     hidden_remainder_x
      - .offset:         84
        .size:           2
        .value_kind:     hidden_remainder_y
      - .offset:         86
        .size:           2
        .value_kind:     hidden_remainder_z
      - .offset:         104
        .size:           8
        .value_kind:     hidden_global_offset_x
      - .offset:         112
        .size:           8
        .value_kind:     hidden_global_offset_y
      - .offset:         120
        .size:           8
        .value_kind:     hidden_global_offset_z
      - .offset:         128
        .size:           2
        .value_kind:     hidden_grid_dims
    .group_segment_fixed_size: 0
    .kernarg_segment_align: 8
    .kernarg_segment_size: 320
    .language:       OpenCL C
    .language_version:
      - 2
      - 0
    .max_flat_workgroup_size: 64
    .name:           _ZN2at6native12_GLOBAL__N_135GammaBetaBackwardCUDAKernelTemplateIddLj64ELj1ELj32ELb1ELb1ELb1EEEvllPKT_S5_PKT0_S8_PS3_S9_
    .private_segment_fixed_size: 0
    .sgpr_count:     36
    .sgpr_spill_count: 0
    .symbol:         _ZN2at6native12_GLOBAL__N_135GammaBetaBackwardCUDAKernelTemplateIddLj64ELj1ELj32ELb1ELb1ELb1EEEvllPKT_S5_PKT0_S8_PS3_S9_.kd
    .uniform_work_group_size: 1
    .uses_dynamic_stack: false
    .vgpr_count:     64
    .vgpr_spill_count: 0
    .wavefront_size: 64
  - .agpr_count:     142
    .args:
      - .offset:         0
        .size:           8
        .value_kind:     by_value
      - .offset:         8
        .size:           8
        .value_kind:     by_value
      - .actual_access:  read_only
        .address_space:  global
        .offset:         16
        .size:           8
        .value_kind:     global_buffer
      - .actual_access:  read_only
        .address_space:  global
        .offset:         24
        .size:           8
        .value_kind:     global_buffer
      - .actual_access:  read_only
        .address_space:  global
        .offset:         32
        .size:           8
        .value_kind:     global_buffer
      - .actual_access:  read_only
        .address_space:  global
        .offset:         40
        .size:           8
        .value_kind:     global_buffer
      - .actual_access:  write_only
        .address_space:  global
        .offset:         48
        .size:           8
        .value_kind:     global_buffer
      - .actual_access:  read_only
        .address_space:  global
        .offset:         56
        .size:           8
        .value_kind:     global_buffer
      - .offset:         64
        .size:           4
        .value_kind:     hidden_block_count_x
      - .offset:         68
        .size:           4
        .value_kind:     hidden_block_count_y
      - .offset:         72
        .size:           4
        .value_kind:     hidden_block_count_z
      - .offset:         76
        .size:           2
        .value_kind:     hidden_group_size_x
      - .offset:         78
        .size:           2
        .value_kind:     hidden_group_size_y
      - .offset:         80
        .size:           2
        .value_kind:     hidden_group_size_z
      - .offset:         82
        .size:           2
        .value_kind:     hidden_remainder_x
      - .offset:         84
        .size:           2
        .value_kind:     hidden_remainder_y
      - .offset:         86
        .size:           2
        .value_kind:     hidden_remainder_z
      - .offset:         104
        .size:           8
        .value_kind:     hidden_global_offset_x
      - .offset:         112
        .size:           8
        .value_kind:     hidden_global_offset_y
      - .offset:         120
        .size:           8
        .value_kind:     hidden_global_offset_z
      - .offset:         128
        .size:           2
        .value_kind:     hidden_grid_dims
    .group_segment_fixed_size: 0
    .kernarg_segment_align: 8
    .kernarg_segment_size: 320
    .language:       OpenCL C
    .language_version:
      - 2
      - 0
    .max_flat_workgroup_size: 64
    .name:           _ZN2at6native12_GLOBAL__N_135GammaBetaBackwardCUDAKernelTemplateIddLj64ELj1ELj32ELb1ELb0ELb1EEEvllPKT_S5_PKT0_S8_PS3_S9_
    .private_segment_fixed_size: 0
    .sgpr_count:     40
    .sgpr_spill_count: 0
    .symbol:         _ZN2at6native12_GLOBAL__N_135GammaBetaBackwardCUDAKernelTemplateIddLj64ELj1ELj32ELb1ELb0ELb1EEEvllPKT_S5_PKT0_S8_PS3_S9_.kd
    .uniform_work_group_size: 1
    .uses_dynamic_stack: false
    .vgpr_count:     398
    .vgpr_spill_count: 0
    .wavefront_size: 64
  - .agpr_count:     0
    .args:
      - .offset:         0
        .size:           8
        .value_kind:     by_value
      - .offset:         8
        .size:           8
        .value_kind:     by_value
      - .actual_access:  read_only
        .address_space:  global
        .offset:         16
        .size:           8
        .value_kind:     global_buffer
      - .actual_access:  read_only
        .address_space:  global
        .offset:         24
        .size:           8
        .value_kind:     global_buffer
      - .actual_access:  read_only
        .address_space:  global
        .offset:         32
        .size:           8
        .value_kind:     global_buffer
      - .actual_access:  read_only
        .address_space:  global
        .offset:         40
        .size:           8
        .value_kind:     global_buffer
      - .actual_access:  write_only
        .address_space:  global
        .offset:         48
        .size:           8
        .value_kind:     global_buffer
      - .actual_access:  read_only
        .address_space:  global
        .offset:         56
        .size:           8
        .value_kind:     global_buffer
      - .offset:         64
        .size:           4
        .value_kind:     hidden_block_count_x
      - .offset:         68
        .size:           4
        .value_kind:     hidden_block_count_y
      - .offset:         72
        .size:           4
        .value_kind:     hidden_block_count_z
      - .offset:         76
        .size:           2
        .value_kind:     hidden_group_size_x
      - .offset:         78
        .size:           2
        .value_kind:     hidden_group_size_y
      - .offset:         80
        .size:           2
        .value_kind:     hidden_group_size_z
      - .offset:         82
        .size:           2
        .value_kind:     hidden_remainder_x
      - .offset:         84
        .size:           2
        .value_kind:     hidden_remainder_y
      - .offset:         86
        .size:           2
        .value_kind:     hidden_remainder_z
      - .offset:         104
        .size:           8
        .value_kind:     hidden_global_offset_x
      - .offset:         112
        .size:           8
        .value_kind:     hidden_global_offset_y
      - .offset:         120
        .size:           8
        .value_kind:     hidden_global_offset_z
      - .offset:         128
        .size:           2
        .value_kind:     hidden_grid_dims
    .group_segment_fixed_size: 0
    .kernarg_segment_align: 8
    .kernarg_segment_size: 320
    .language:       OpenCL C
    .language_version:
      - 2
      - 0
    .max_flat_workgroup_size: 64
    .name:           _ZN2at6native12_GLOBAL__N_135GammaBetaBackwardCUDAKernelTemplateIddLj64ELj1ELj8ELb1ELb1ELb1EEEvllPKT_S5_PKT0_S8_PS3_S9_
    .private_segment_fixed_size: 0
    .sgpr_count:     36
    .sgpr_spill_count: 0
    .symbol:         _ZN2at6native12_GLOBAL__N_135GammaBetaBackwardCUDAKernelTemplateIddLj64ELj1ELj8ELb1ELb1ELb1EEEvllPKT_S5_PKT0_S8_PS3_S9_.kd
    .uniform_work_group_size: 1
    .uses_dynamic_stack: false
    .vgpr_count:     62
    .vgpr_spill_count: 0
    .wavefront_size: 64
  - .agpr_count:     0
    .args:
      - .offset:         0
        .size:           8
        .value_kind:     by_value
      - .offset:         8
        .size:           8
        .value_kind:     by_value
      - .actual_access:  read_only
        .address_space:  global
        .offset:         16
        .size:           8
        .value_kind:     global_buffer
      - .actual_access:  read_only
        .address_space:  global
        .offset:         24
        .size:           8
        .value_kind:     global_buffer
      - .actual_access:  read_only
        .address_space:  global
        .offset:         32
        .size:           8
        .value_kind:     global_buffer
      - .actual_access:  read_only
        .address_space:  global
        .offset:         40
        .size:           8
        .value_kind:     global_buffer
      - .actual_access:  write_only
        .address_space:  global
        .offset:         48
        .size:           8
        .value_kind:     global_buffer
      - .actual_access:  read_only
        .address_space:  global
        .offset:         56
        .size:           8
        .value_kind:     global_buffer
      - .offset:         64
        .size:           4
        .value_kind:     hidden_block_count_x
      - .offset:         68
        .size:           4
        .value_kind:     hidden_block_count_y
      - .offset:         72
        .size:           4
        .value_kind:     hidden_block_count_z
      - .offset:         76
        .size:           2
        .value_kind:     hidden_group_size_x
      - .offset:         78
        .size:           2
        .value_kind:     hidden_group_size_y
      - .offset:         80
        .size:           2
        .value_kind:     hidden_group_size_z
      - .offset:         82
        .size:           2
        .value_kind:     hidden_remainder_x
      - .offset:         84
        .size:           2
        .value_kind:     hidden_remainder_y
      - .offset:         86
        .size:           2
        .value_kind:     hidden_remainder_z
      - .offset:         104
        .size:           8
        .value_kind:     hidden_global_offset_x
      - .offset:         112
        .size:           8
        .value_kind:     hidden_global_offset_y
      - .offset:         120
        .size:           8
        .value_kind:     hidden_global_offset_z
      - .offset:         128
        .size:           2
        .value_kind:     hidden_grid_dims
    .group_segment_fixed_size: 0
    .kernarg_segment_align: 8
    .kernarg_segment_size: 320
    .language:       OpenCL C
    .language_version:
      - 2
      - 0
    .max_flat_workgroup_size: 64
    .name:           _ZN2at6native12_GLOBAL__N_135GammaBetaBackwardCUDAKernelTemplateIddLj64ELj1ELj8ELb1ELb0ELb1EEEvllPKT_S5_PKT0_S8_PS3_S9_
    .private_segment_fixed_size: 0
    .sgpr_count:     56
    .sgpr_spill_count: 0
    .symbol:         _ZN2at6native12_GLOBAL__N_135GammaBetaBackwardCUDAKernelTemplateIddLj64ELj1ELj8ELb1ELb0ELb1EEEvllPKT_S5_PKT0_S8_PS3_S9_.kd
    .uniform_work_group_size: 1
    .uses_dynamic_stack: false
    .vgpr_count:     122
    .vgpr_spill_count: 0
    .wavefront_size: 64
  - .agpr_count:     0
    .args:
      - .offset:         0
        .size:           8
        .value_kind:     by_value
      - .offset:         8
        .size:           8
        .value_kind:     by_value
      - .actual_access:  read_only
        .address_space:  global
        .offset:         16
        .size:           8
        .value_kind:     global_buffer
      - .actual_access:  read_only
        .address_space:  global
        .offset:         24
        .size:           8
        .value_kind:     global_buffer
      - .actual_access:  read_only
        .address_space:  global
        .offset:         32
        .size:           8
        .value_kind:     global_buffer
      - .actual_access:  read_only
        .address_space:  global
        .offset:         40
        .size:           8
        .value_kind:     global_buffer
      - .actual_access:  write_only
        .address_space:  global
        .offset:         48
        .size:           8
        .value_kind:     global_buffer
      - .actual_access:  read_only
        .address_space:  global
        .offset:         56
        .size:           8
        .value_kind:     global_buffer
      - .offset:         64
        .size:           4
        .value_kind:     hidden_block_count_x
      - .offset:         68
        .size:           4
        .value_kind:     hidden_block_count_y
      - .offset:         72
        .size:           4
        .value_kind:     hidden_block_count_z
      - .offset:         76
        .size:           2
        .value_kind:     hidden_group_size_x
      - .offset:         78
        .size:           2
        .value_kind:     hidden_group_size_y
      - .offset:         80
        .size:           2
        .value_kind:     hidden_group_size_z
      - .offset:         82
        .size:           2
        .value_kind:     hidden_remainder_x
      - .offset:         84
        .size:           2
        .value_kind:     hidden_remainder_y
      - .offset:         86
        .size:           2
        .value_kind:     hidden_remainder_z
      - .offset:         104
        .size:           8
        .value_kind:     hidden_global_offset_x
      - .offset:         112
        .size:           8
        .value_kind:     hidden_global_offset_y
      - .offset:         120
        .size:           8
        .value_kind:     hidden_global_offset_z
      - .offset:         128
        .size:           2
        .value_kind:     hidden_grid_dims
      - .offset:         184
        .size:           4
        .value_kind:     hidden_dynamic_lds_size
    .group_segment_fixed_size: 0
    .kernarg_segment_align: 8
    .kernarg_segment_size: 320
    .language:       OpenCL C
    .language_version:
      - 2
      - 0
    .max_flat_workgroup_size: 512
    .name:           _ZN2at6native12_GLOBAL__N_135GammaBetaBackwardCUDAKernelTemplateIddLj64ELj8ELj64ELb0ELb1ELb1EEEvllPKT_S5_PKT0_S8_PS3_S9_
    .private_segment_fixed_size: 0
    .sgpr_count:     30
    .sgpr_spill_count: 0
    .symbol:         _ZN2at6native12_GLOBAL__N_135GammaBetaBackwardCUDAKernelTemplateIddLj64ELj8ELj64ELb0ELb1ELb1EEEvllPKT_S5_PKT0_S8_PS3_S9_.kd
    .uniform_work_group_size: 1
    .uses_dynamic_stack: false
    .vgpr_count:     64
    .vgpr_spill_count: 0
    .wavefront_size: 64
  - .agpr_count:     0
    .args:
      - .offset:         0
        .size:           8
        .value_kind:     by_value
      - .offset:         8
        .size:           8
        .value_kind:     by_value
      - .actual_access:  read_only
        .address_space:  global
        .offset:         16
        .size:           8
        .value_kind:     global_buffer
      - .actual_access:  read_only
        .address_space:  global
        .offset:         24
        .size:           8
        .value_kind:     global_buffer
      - .actual_access:  read_only
        .address_space:  global
        .offset:         32
        .size:           8
        .value_kind:     global_buffer
      - .actual_access:  read_only
        .address_space:  global
        .offset:         40
        .size:           8
        .value_kind:     global_buffer
      - .actual_access:  write_only
        .address_space:  global
        .offset:         48
        .size:           8
        .value_kind:     global_buffer
      - .actual_access:  read_only
        .address_space:  global
        .offset:         56
        .size:           8
        .value_kind:     global_buffer
      - .offset:         64
        .size:           4
        .value_kind:     hidden_block_count_x
      - .offset:         68
        .size:           4
        .value_kind:     hidden_block_count_y
      - .offset:         72
        .size:           4
        .value_kind:     hidden_block_count_z
      - .offset:         76
        .size:           2
        .value_kind:     hidden_group_size_x
      - .offset:         78
        .size:           2
        .value_kind:     hidden_group_size_y
      - .offset:         80
        .size:           2
        .value_kind:     hidden_group_size_z
      - .offset:         82
        .size:           2
        .value_kind:     hidden_remainder_x
      - .offset:         84
        .size:           2
        .value_kind:     hidden_remainder_y
      - .offset:         86
        .size:           2
        .value_kind:     hidden_remainder_z
      - .offset:         104
        .size:           8
        .value_kind:     hidden_global_offset_x
      - .offset:         112
        .size:           8
        .value_kind:     hidden_global_offset_y
      - .offset:         120
        .size:           8
        .value_kind:     hidden_global_offset_z
      - .offset:         128
        .size:           2
        .value_kind:     hidden_grid_dims
      - .offset:         184
        .size:           4
        .value_kind:     hidden_dynamic_lds_size
    .group_segment_fixed_size: 0
    .kernarg_segment_align: 8
    .kernarg_segment_size: 320
    .language:       OpenCL C
    .language_version:
      - 2
      - 0
    .max_flat_workgroup_size: 512
    .name:           _ZN2at6native12_GLOBAL__N_135GammaBetaBackwardCUDAKernelTemplateIddLj64ELj8ELj64ELb0ELb0ELb1EEEvllPKT_S5_PKT0_S8_PS3_S9_
    .private_segment_fixed_size: 0
    .sgpr_count:     54
    .sgpr_spill_count: 0
    .symbol:         _ZN2at6native12_GLOBAL__N_135GammaBetaBackwardCUDAKernelTemplateIddLj64ELj8ELj64ELb0ELb0ELb1EEEvllPKT_S5_PKT0_S8_PS3_S9_.kd
    .uniform_work_group_size: 1
    .uses_dynamic_stack: false
    .vgpr_count:     121
    .vgpr_spill_count: 0
    .wavefront_size: 64
  - .agpr_count:     0
    .args:
      - .offset:         0
        .size:           8
        .value_kind:     by_value
      - .offset:         8
        .size:           8
        .value_kind:     by_value
      - .actual_access:  read_only
        .address_space:  global
        .offset:         16
        .size:           8
        .value_kind:     global_buffer
      - .actual_access:  read_only
        .address_space:  global
        .offset:         24
        .size:           8
        .value_kind:     global_buffer
      - .actual_access:  read_only
        .address_space:  global
        .offset:         32
        .size:           8
        .value_kind:     global_buffer
      - .actual_access:  read_only
        .address_space:  global
        .offset:         40
        .size:           8
        .value_kind:     global_buffer
      - .actual_access:  write_only
        .address_space:  global
        .offset:         48
        .size:           8
        .value_kind:     global_buffer
      - .actual_access:  read_only
        .address_space:  global
        .offset:         56
        .size:           8
        .value_kind:     global_buffer
      - .offset:         64
        .size:           4
        .value_kind:     hidden_block_count_x
      - .offset:         68
        .size:           4
        .value_kind:     hidden_block_count_y
      - .offset:         72
        .size:           4
        .value_kind:     hidden_block_count_z
      - .offset:         76
        .size:           2
        .value_kind:     hidden_group_size_x
      - .offset:         78
        .size:           2
        .value_kind:     hidden_group_size_y
      - .offset:         80
        .size:           2
        .value_kind:     hidden_group_size_z
      - .offset:         82
        .size:           2
        .value_kind:     hidden_remainder_x
      - .offset:         84
        .size:           2
        .value_kind:     hidden_remainder_y
      - .offset:         86
        .size:           2
        .value_kind:     hidden_remainder_z
      - .offset:         104
        .size:           8
        .value_kind:     hidden_global_offset_x
      - .offset:         112
        .size:           8
        .value_kind:     hidden_global_offset_y
      - .offset:         120
        .size:           8
        .value_kind:     hidden_global_offset_z
      - .offset:         128
        .size:           2
        .value_kind:     hidden_grid_dims
      - .offset:         184
        .size:           4
        .value_kind:     hidden_dynamic_lds_size
    .group_segment_fixed_size: 0
    .kernarg_segment_align: 8
    .kernarg_segment_size: 320
    .language:       OpenCL C
    .language_version:
      - 2
      - 0
    .max_flat_workgroup_size: 1024
    .name:           _ZN2at6native12_GLOBAL__N_135GammaBetaBackwardCUDAKernelTemplateIddLj64ELj16ELj128ELb0ELb1ELb1EEEvllPKT_S5_PKT0_S8_PS3_S9_
    .private_segment_fixed_size: 0
    .sgpr_count:     30
    .sgpr_spill_count: 0
    .symbol:         _ZN2at6native12_GLOBAL__N_135GammaBetaBackwardCUDAKernelTemplateIddLj64ELj16ELj128ELb0ELb1ELb1EEEvllPKT_S5_PKT0_S8_PS3_S9_.kd
    .uniform_work_group_size: 1
    .uses_dynamic_stack: false
    .vgpr_count:     66
    .vgpr_spill_count: 0
    .wavefront_size: 64
  - .agpr_count:     0
    .args:
      - .offset:         0
        .size:           8
        .value_kind:     by_value
      - .offset:         8
        .size:           8
        .value_kind:     by_value
      - .actual_access:  read_only
        .address_space:  global
        .offset:         16
        .size:           8
        .value_kind:     global_buffer
      - .actual_access:  read_only
        .address_space:  global
        .offset:         24
        .size:           8
        .value_kind:     global_buffer
      - .actual_access:  read_only
        .address_space:  global
        .offset:         32
        .size:           8
        .value_kind:     global_buffer
      - .actual_access:  read_only
        .address_space:  global
        .offset:         40
        .size:           8
        .value_kind:     global_buffer
      - .actual_access:  write_only
        .address_space:  global
        .offset:         48
        .size:           8
        .value_kind:     global_buffer
      - .actual_access:  read_only
        .address_space:  global
        .offset:         56
        .size:           8
        .value_kind:     global_buffer
      - .offset:         64
        .size:           4
        .value_kind:     hidden_block_count_x
      - .offset:         68
        .size:           4
        .value_kind:     hidden_block_count_y
      - .offset:         72
        .size:           4
        .value_kind:     hidden_block_count_z
      - .offset:         76
        .size:           2
        .value_kind:     hidden_group_size_x
      - .offset:         78
        .size:           2
        .value_kind:     hidden_group_size_y
      - .offset:         80
        .size:           2
        .value_kind:     hidden_group_size_z
      - .offset:         82
        .size:           2
        .value_kind:     hidden_remainder_x
      - .offset:         84
        .size:           2
        .value_kind:     hidden_remainder_y
      - .offset:         86
        .size:           2
        .value_kind:     hidden_remainder_z
      - .offset:         104
        .size:           8
        .value_kind:     hidden_global_offset_x
      - .offset:         112
        .size:           8
        .value_kind:     hidden_global_offset_y
      - .offset:         120
        .size:           8
        .value_kind:     hidden_global_offset_z
      - .offset:         128
        .size:           2
        .value_kind:     hidden_grid_dims
      - .offset:         184
        .size:           4
        .value_kind:     hidden_dynamic_lds_size
    .group_segment_fixed_size: 0
    .kernarg_segment_align: 8
    .kernarg_segment_size: 320
    .language:       OpenCL C
    .language_version:
      - 2
      - 0
    .max_flat_workgroup_size: 1024
    .name:           _ZN2at6native12_GLOBAL__N_135GammaBetaBackwardCUDAKernelTemplateIddLj64ELj16ELj128ELb0ELb0ELb1EEEvllPKT_S5_PKT0_S8_PS3_S9_
    .private_segment_fixed_size: 0
    .sgpr_count:     54
    .sgpr_spill_count: 0
    .symbol:         _ZN2at6native12_GLOBAL__N_135GammaBetaBackwardCUDAKernelTemplateIddLj64ELj16ELj128ELb0ELb0ELb1EEEvllPKT_S5_PKT0_S8_PS3_S9_.kd
    .uniform_work_group_size: 1
    .uses_dynamic_stack: false
    .vgpr_count:     121
    .vgpr_spill_count: 0
    .wavefront_size: 64
  - .agpr_count:     0
    .args:
      - .offset:         0
        .size:           8
        .value_kind:     by_value
      - .offset:         8
        .size:           8
        .value_kind:     by_value
      - .actual_access:  read_only
        .address_space:  global
        .offset:         16
        .size:           8
        .value_kind:     global_buffer
      - .actual_access:  read_only
        .address_space:  global
        .offset:         24
        .size:           8
        .value_kind:     global_buffer
      - .actual_access:  read_only
        .address_space:  global
        .offset:         32
        .size:           8
        .value_kind:     global_buffer
      - .actual_access:  read_only
        .address_space:  global
        .offset:         40
        .size:           8
        .value_kind:     global_buffer
      - .actual_access:  write_only
        .address_space:  global
        .offset:         48
        .size:           8
        .value_kind:     global_buffer
      - .actual_access:  read_only
        .address_space:  global
        .offset:         56
        .size:           8
        .value_kind:     global_buffer
      - .offset:         64
        .size:           4
        .value_kind:     hidden_block_count_x
      - .offset:         68
        .size:           4
        .value_kind:     hidden_block_count_y
      - .offset:         72
        .size:           4
        .value_kind:     hidden_block_count_z
      - .offset:         76
        .size:           2
        .value_kind:     hidden_group_size_x
      - .offset:         78
        .size:           2
        .value_kind:     hidden_group_size_y
      - .offset:         80
        .size:           2
        .value_kind:     hidden_group_size_z
      - .offset:         82
        .size:           2
        .value_kind:     hidden_remainder_x
      - .offset:         84
        .size:           2
        .value_kind:     hidden_remainder_y
      - .offset:         86
        .size:           2
        .value_kind:     hidden_remainder_z
      - .offset:         104
        .size:           8
        .value_kind:     hidden_global_offset_x
      - .offset:         112
        .size:           8
        .value_kind:     hidden_global_offset_y
      - .offset:         120
        .size:           8
        .value_kind:     hidden_global_offset_z
      - .offset:         128
        .size:           2
        .value_kind:     hidden_grid_dims
      - .offset:         184
        .size:           4
        .value_kind:     hidden_dynamic_lds_size
    .group_segment_fixed_size: 0
    .kernarg_segment_align: 8
    .kernarg_segment_size: 320
    .language:       OpenCL C
    .language_version:
      - 2
      - 0
    .max_flat_workgroup_size: 1024
    .name:           _ZN2at6native12_GLOBAL__N_135GammaBetaBackwardCUDAKernelTemplateIddLj64ELj16ELj256ELb0ELb1ELb1EEEvllPKT_S5_PKT0_S8_PS3_S9_
    .private_segment_fixed_size: 0
    .sgpr_count:     30
    .sgpr_spill_count: 0
    .symbol:         _ZN2at6native12_GLOBAL__N_135GammaBetaBackwardCUDAKernelTemplateIddLj64ELj16ELj256ELb0ELb1ELb1EEEvllPKT_S5_PKT0_S8_PS3_S9_.kd
    .uniform_work_group_size: 1
    .uses_dynamic_stack: false
    .vgpr_count:     62
    .vgpr_spill_count: 0
    .wavefront_size: 64
  - .agpr_count:     0
    .args:
      - .offset:         0
        .size:           8
        .value_kind:     by_value
      - .offset:         8
        .size:           8
        .value_kind:     by_value
      - .actual_access:  read_only
        .address_space:  global
        .offset:         16
        .size:           8
        .value_kind:     global_buffer
      - .actual_access:  read_only
        .address_space:  global
        .offset:         24
        .size:           8
        .value_kind:     global_buffer
      - .actual_access:  read_only
        .address_space:  global
        .offset:         32
        .size:           8
        .value_kind:     global_buffer
      - .actual_access:  read_only
        .address_space:  global
        .offset:         40
        .size:           8
        .value_kind:     global_buffer
      - .actual_access:  write_only
        .address_space:  global
        .offset:         48
        .size:           8
        .value_kind:     global_buffer
      - .actual_access:  read_only
        .address_space:  global
        .offset:         56
        .size:           8
        .value_kind:     global_buffer
      - .offset:         64
        .size:           4
        .value_kind:     hidden_block_count_x
      - .offset:         68
        .size:           4
        .value_kind:     hidden_block_count_y
      - .offset:         72
        .size:           4
        .value_kind:     hidden_block_count_z
      - .offset:         76
        .size:           2
        .value_kind:     hidden_group_size_x
      - .offset:         78
        .size:           2
        .value_kind:     hidden_group_size_y
      - .offset:         80
        .size:           2
        .value_kind:     hidden_group_size_z
      - .offset:         82
        .size:           2
        .value_kind:     hidden_remainder_x
      - .offset:         84
        .size:           2
        .value_kind:     hidden_remainder_y
      - .offset:         86
        .size:           2
        .value_kind:     hidden_remainder_z
      - .offset:         104
        .size:           8
        .value_kind:     hidden_global_offset_x
      - .offset:         112
        .size:           8
        .value_kind:     hidden_global_offset_y
      - .offset:         120
        .size:           8
        .value_kind:     hidden_global_offset_z
      - .offset:         128
        .size:           2
        .value_kind:     hidden_grid_dims
      - .offset:         184
        .size:           4
        .value_kind:     hidden_dynamic_lds_size
    .group_segment_fixed_size: 0
    .kernarg_segment_align: 8
    .kernarg_segment_size: 320
    .language:       OpenCL C
    .language_version:
      - 2
      - 0
    .max_flat_workgroup_size: 1024
    .name:           _ZN2at6native12_GLOBAL__N_135GammaBetaBackwardCUDAKernelTemplateIddLj64ELj16ELj256ELb0ELb0ELb1EEEvllPKT_S5_PKT0_S8_PS3_S9_
    .private_segment_fixed_size: 576
    .sgpr_count:     76
    .sgpr_spill_count: 0
    .symbol:         _ZN2at6native12_GLOBAL__N_135GammaBetaBackwardCUDAKernelTemplateIddLj64ELj16ELj256ELb0ELb0ELb1EEEvllPKT_S5_PKT0_S8_PS3_S9_.kd
    .uniform_work_group_size: 1
    .uses_dynamic_stack: false
    .vgpr_count:     128
    .vgpr_spill_count: 344
    .wavefront_size: 64
  - .agpr_count:     0
    .args:
      - .offset:         0
        .size:           8
        .value_kind:     by_value
      - .offset:         8
        .size:           8
        .value_kind:     by_value
      - .actual_access:  read_only
        .address_space:  global
        .offset:         16
        .size:           8
        .value_kind:     global_buffer
      - .actual_access:  read_only
        .address_space:  global
        .offset:         24
        .size:           8
        .value_kind:     global_buffer
      - .actual_access:  read_only
        .address_space:  global
        .offset:         32
        .size:           8
        .value_kind:     global_buffer
      - .actual_access:  read_only
        .address_space:  global
        .offset:         40
        .size:           8
        .value_kind:     global_buffer
      - .actual_access:  write_only
        .address_space:  global
        .offset:         48
        .size:           8
        .value_kind:     global_buffer
      - .actual_access:  read_only
        .address_space:  global
        .offset:         56
        .size:           8
        .value_kind:     global_buffer
      - .offset:         64
        .size:           4
        .value_kind:     hidden_block_count_x
      - .offset:         68
        .size:           4
        .value_kind:     hidden_block_count_y
      - .offset:         72
        .size:           4
        .value_kind:     hidden_block_count_z
      - .offset:         76
        .size:           2
        .value_kind:     hidden_group_size_x
      - .offset:         78
        .size:           2
        .value_kind:     hidden_group_size_y
      - .offset:         80
        .size:           2
        .value_kind:     hidden_group_size_z
      - .offset:         82
        .size:           2
        .value_kind:     hidden_remainder_x
      - .offset:         84
        .size:           2
        .value_kind:     hidden_remainder_y
      - .offset:         86
        .size:           2
        .value_kind:     hidden_remainder_z
      - .offset:         104
        .size:           8
        .value_kind:     hidden_global_offset_x
      - .offset:         112
        .size:           8
        .value_kind:     hidden_global_offset_y
      - .offset:         120
        .size:           8
        .value_kind:     hidden_global_offset_z
      - .offset:         128
        .size:           2
        .value_kind:     hidden_grid_dims
    .group_segment_fixed_size: 0
    .kernarg_segment_align: 8
    .kernarg_segment_size: 320
    .language:       OpenCL C
    .language_version:
      - 2
      - 0
    .max_flat_workgroup_size: 32
    .name:           _ZN2at6native12_GLOBAL__N_135GammaBetaBackwardCUDAKernelTemplateIddLj32ELj1ELj32ELb1ELb1ELb1EEEvllPKT_S5_PKT0_S8_PS3_S9_
    .private_segment_fixed_size: 0
    .sgpr_count:     36
    .sgpr_spill_count: 0
    .symbol:         _ZN2at6native12_GLOBAL__N_135GammaBetaBackwardCUDAKernelTemplateIddLj32ELj1ELj32ELb1ELb1ELb1EEEvllPKT_S5_PKT0_S8_PS3_S9_.kd
    .uniform_work_group_size: 1
    .uses_dynamic_stack: false
    .vgpr_count:     64
    .vgpr_spill_count: 0
    .wavefront_size: 64
  - .agpr_count:     142
    .args:
      - .offset:         0
        .size:           8
        .value_kind:     by_value
      - .offset:         8
        .size:           8
        .value_kind:     by_value
      - .actual_access:  read_only
        .address_space:  global
        .offset:         16
        .size:           8
        .value_kind:     global_buffer
      - .actual_access:  read_only
        .address_space:  global
        .offset:         24
        .size:           8
        .value_kind:     global_buffer
      - .actual_access:  read_only
        .address_space:  global
        .offset:         32
        .size:           8
        .value_kind:     global_buffer
      - .actual_access:  read_only
        .address_space:  global
        .offset:         40
        .size:           8
        .value_kind:     global_buffer
      - .actual_access:  write_only
        .address_space:  global
        .offset:         48
        .size:           8
        .value_kind:     global_buffer
      - .actual_access:  read_only
        .address_space:  global
        .offset:         56
        .size:           8
        .value_kind:     global_buffer
      - .offset:         64
        .size:           4
        .value_kind:     hidden_block_count_x
      - .offset:         68
        .size:           4
        .value_kind:     hidden_block_count_y
      - .offset:         72
        .size:           4
        .value_kind:     hidden_block_count_z
      - .offset:         76
        .size:           2
        .value_kind:     hidden_group_size_x
      - .offset:         78
        .size:           2
        .value_kind:     hidden_group_size_y
      - .offset:         80
        .size:           2
        .value_kind:     hidden_group_size_z
      - .offset:         82
        .size:           2
        .value_kind:     hidden_remainder_x
      - .offset:         84
        .size:           2
        .value_kind:     hidden_remainder_y
      - .offset:         86
        .size:           2
        .value_kind:     hidden_remainder_z
      - .offset:         104
        .size:           8
        .value_kind:     hidden_global_offset_x
      - .offset:         112
        .size:           8
        .value_kind:     hidden_global_offset_y
      - .offset:         120
        .size:           8
        .value_kind:     hidden_global_offset_z
      - .offset:         128
        .size:           2
        .value_kind:     hidden_grid_dims
    .group_segment_fixed_size: 0
    .kernarg_segment_align: 8
    .kernarg_segment_size: 320
    .language:       OpenCL C
    .language_version:
      - 2
      - 0
    .max_flat_workgroup_size: 32
    .name:           _ZN2at6native12_GLOBAL__N_135GammaBetaBackwardCUDAKernelTemplateIddLj32ELj1ELj32ELb1ELb0ELb1EEEvllPKT_S5_PKT0_S8_PS3_S9_
    .private_segment_fixed_size: 0
    .sgpr_count:     40
    .sgpr_spill_count: 0
    .symbol:         _ZN2at6native12_GLOBAL__N_135GammaBetaBackwardCUDAKernelTemplateIddLj32ELj1ELj32ELb1ELb0ELb1EEEvllPKT_S5_PKT0_S8_PS3_S9_.kd
    .uniform_work_group_size: 1
    .uses_dynamic_stack: false
    .vgpr_count:     398
    .vgpr_spill_count: 0
    .wavefront_size: 64
  - .agpr_count:     0
    .args:
      - .offset:         0
        .size:           8
        .value_kind:     by_value
      - .offset:         8
        .size:           8
        .value_kind:     by_value
      - .actual_access:  read_only
        .address_space:  global
        .offset:         16
        .size:           8
        .value_kind:     global_buffer
      - .actual_access:  read_only
        .address_space:  global
        .offset:         24
        .size:           8
        .value_kind:     global_buffer
      - .actual_access:  read_only
        .address_space:  global
        .offset:         32
        .size:           8
        .value_kind:     global_buffer
      - .actual_access:  read_only
        .address_space:  global
        .offset:         40
        .size:           8
        .value_kind:     global_buffer
      - .actual_access:  write_only
        .address_space:  global
        .offset:         48
        .size:           8
        .value_kind:     global_buffer
      - .actual_access:  read_only
        .address_space:  global
        .offset:         56
        .size:           8
        .value_kind:     global_buffer
      - .offset:         64
        .size:           4
        .value_kind:     hidden_block_count_x
      - .offset:         68
        .size:           4
        .value_kind:     hidden_block_count_y
      - .offset:         72
        .size:           4
        .value_kind:     hidden_block_count_z
      - .offset:         76
        .size:           2
        .value_kind:     hidden_group_size_x
      - .offset:         78
        .size:           2
        .value_kind:     hidden_group_size_y
      - .offset:         80
        .size:           2
        .value_kind:     hidden_group_size_z
      - .offset:         82
        .size:           2
        .value_kind:     hidden_remainder_x
      - .offset:         84
        .size:           2
        .value_kind:     hidden_remainder_y
      - .offset:         86
        .size:           2
        .value_kind:     hidden_remainder_z
      - .offset:         104
        .size:           8
        .value_kind:     hidden_global_offset_x
      - .offset:         112
        .size:           8
        .value_kind:     hidden_global_offset_y
      - .offset:         120
        .size:           8
        .value_kind:     hidden_global_offset_z
      - .offset:         128
        .size:           2
        .value_kind:     hidden_grid_dims
    .group_segment_fixed_size: 0
    .kernarg_segment_align: 8
    .kernarg_segment_size: 320
    .language:       OpenCL C
    .language_version:
      - 2
      - 0
    .max_flat_workgroup_size: 32
    .name:           _ZN2at6native12_GLOBAL__N_135GammaBetaBackwardCUDAKernelTemplateIddLj32ELj1ELj8ELb1ELb1ELb1EEEvllPKT_S5_PKT0_S8_PS3_S9_
    .private_segment_fixed_size: 0
    .sgpr_count:     36
    .sgpr_spill_count: 0
    .symbol:         _ZN2at6native12_GLOBAL__N_135GammaBetaBackwardCUDAKernelTemplateIddLj32ELj1ELj8ELb1ELb1ELb1EEEvllPKT_S5_PKT0_S8_PS3_S9_.kd
    .uniform_work_group_size: 1
    .uses_dynamic_stack: false
    .vgpr_count:     62
    .vgpr_spill_count: 0
    .wavefront_size: 64
  - .agpr_count:     0
    .args:
      - .offset:         0
        .size:           8
        .value_kind:     by_value
      - .offset:         8
        .size:           8
        .value_kind:     by_value
      - .actual_access:  read_only
        .address_space:  global
        .offset:         16
        .size:           8
        .value_kind:     global_buffer
      - .actual_access:  read_only
        .address_space:  global
        .offset:         24
        .size:           8
        .value_kind:     global_buffer
      - .actual_access:  read_only
        .address_space:  global
        .offset:         32
        .size:           8
        .value_kind:     global_buffer
      - .actual_access:  read_only
        .address_space:  global
        .offset:         40
        .size:           8
        .value_kind:     global_buffer
      - .actual_access:  write_only
        .address_space:  global
        .offset:         48
        .size:           8
        .value_kind:     global_buffer
      - .actual_access:  read_only
        .address_space:  global
        .offset:         56
        .size:           8
        .value_kind:     global_buffer
      - .offset:         64
        .size:           4
        .value_kind:     hidden_block_count_x
      - .offset:         68
        .size:           4
        .value_kind:     hidden_block_count_y
      - .offset:         72
        .size:           4
        .value_kind:     hidden_block_count_z
      - .offset:         76
        .size:           2
        .value_kind:     hidden_group_size_x
      - .offset:         78
        .size:           2
        .value_kind:     hidden_group_size_y
      - .offset:         80
        .size:           2
        .value_kind:     hidden_group_size_z
      - .offset:         82
        .size:           2
        .value_kind:     hidden_remainder_x
      - .offset:         84
        .size:           2
        .value_kind:     hidden_remainder_y
      - .offset:         86
        .size:           2
        .value_kind:     hidden_remainder_z
      - .offset:         104
        .size:           8
        .value_kind:     hidden_global_offset_x
      - .offset:         112
        .size:           8
        .value_kind:     hidden_global_offset_y
      - .offset:         120
        .size:           8
        .value_kind:     hidden_global_offset_z
      - .offset:         128
        .size:           2
        .value_kind:     hidden_grid_dims
    .group_segment_fixed_size: 0
    .kernarg_segment_align: 8
    .kernarg_segment_size: 320
    .language:       OpenCL C
    .language_version:
      - 2
      - 0
    .max_flat_workgroup_size: 32
    .name:           _ZN2at6native12_GLOBAL__N_135GammaBetaBackwardCUDAKernelTemplateIddLj32ELj1ELj8ELb1ELb0ELb1EEEvllPKT_S5_PKT0_S8_PS3_S9_
    .private_segment_fixed_size: 0
    .sgpr_count:     56
    .sgpr_spill_count: 0
    .symbol:         _ZN2at6native12_GLOBAL__N_135GammaBetaBackwardCUDAKernelTemplateIddLj32ELj1ELj8ELb1ELb0ELb1EEEvllPKT_S5_PKT0_S8_PS3_S9_.kd
    .uniform_work_group_size: 1
    .uses_dynamic_stack: false
    .vgpr_count:     122
    .vgpr_spill_count: 0
    .wavefront_size: 64
  - .agpr_count:     0
    .args:
      - .offset:         0
        .size:           8
        .value_kind:     by_value
      - .offset:         8
        .size:           8
        .value_kind:     by_value
      - .actual_access:  read_only
        .address_space:  global
        .offset:         16
        .size:           8
        .value_kind:     global_buffer
      - .actual_access:  read_only
        .address_space:  global
        .offset:         24
        .size:           8
        .value_kind:     global_buffer
      - .actual_access:  read_only
        .address_space:  global
        .offset:         32
        .size:           8
        .value_kind:     global_buffer
      - .actual_access:  read_only
        .address_space:  global
        .offset:         40
        .size:           8
        .value_kind:     global_buffer
      - .actual_access:  write_only
        .address_space:  global
        .offset:         48
        .size:           8
        .value_kind:     global_buffer
      - .actual_access:  read_only
        .address_space:  global
        .offset:         56
        .size:           8
        .value_kind:     global_buffer
      - .offset:         64
        .size:           4
        .value_kind:     hidden_block_count_x
      - .offset:         68
        .size:           4
        .value_kind:     hidden_block_count_y
      - .offset:         72
        .size:           4
        .value_kind:     hidden_block_count_z
      - .offset:         76
        .size:           2
        .value_kind:     hidden_group_size_x
      - .offset:         78
        .size:           2
        .value_kind:     hidden_group_size_y
      - .offset:         80
        .size:           2
        .value_kind:     hidden_group_size_z
      - .offset:         82
        .size:           2
        .value_kind:     hidden_remainder_x
      - .offset:         84
        .size:           2
        .value_kind:     hidden_remainder_y
      - .offset:         86
        .size:           2
        .value_kind:     hidden_remainder_z
      - .offset:         104
        .size:           8
        .value_kind:     hidden_global_offset_x
      - .offset:         112
        .size:           8
        .value_kind:     hidden_global_offset_y
      - .offset:         120
        .size:           8
        .value_kind:     hidden_global_offset_z
      - .offset:         128
        .size:           2
        .value_kind:     hidden_grid_dims
      - .offset:         184
        .size:           4
        .value_kind:     hidden_dynamic_lds_size
    .group_segment_fixed_size: 0
    .kernarg_segment_align: 8
    .kernarg_segment_size: 320
    .language:       OpenCL C
    .language_version:
      - 2
      - 0
    .max_flat_workgroup_size: 256
    .name:           _ZN2at6native12_GLOBAL__N_135GammaBetaBackwardCUDAKernelTemplateIddLj32ELj8ELj64ELb0ELb1ELb1EEEvllPKT_S5_PKT0_S8_PS3_S9_
    .private_segment_fixed_size: 0
    .sgpr_count:     30
    .sgpr_spill_count: 0
    .symbol:         _ZN2at6native12_GLOBAL__N_135GammaBetaBackwardCUDAKernelTemplateIddLj32ELj8ELj64ELb0ELb1ELb1EEEvllPKT_S5_PKT0_S8_PS3_S9_.kd
    .uniform_work_group_size: 1
    .uses_dynamic_stack: false
    .vgpr_count:     64
    .vgpr_spill_count: 0
    .wavefront_size: 64
  - .agpr_count:     0
    .args:
      - .offset:         0
        .size:           8
        .value_kind:     by_value
      - .offset:         8
        .size:           8
        .value_kind:     by_value
      - .actual_access:  read_only
        .address_space:  global
        .offset:         16
        .size:           8
        .value_kind:     global_buffer
      - .actual_access:  read_only
        .address_space:  global
        .offset:         24
        .size:           8
        .value_kind:     global_buffer
      - .actual_access:  read_only
        .address_space:  global
        .offset:         32
        .size:           8
        .value_kind:     global_buffer
      - .actual_access:  read_only
        .address_space:  global
        .offset:         40
        .size:           8
        .value_kind:     global_buffer
      - .actual_access:  write_only
        .address_space:  global
        .offset:         48
        .size:           8
        .value_kind:     global_buffer
      - .actual_access:  read_only
        .address_space:  global
        .offset:         56
        .size:           8
        .value_kind:     global_buffer
      - .offset:         64
        .size:           4
        .value_kind:     hidden_block_count_x
      - .offset:         68
        .size:           4
        .value_kind:     hidden_block_count_y
      - .offset:         72
        .size:           4
        .value_kind:     hidden_block_count_z
      - .offset:         76
        .size:           2
        .value_kind:     hidden_group_size_x
      - .offset:         78
        .size:           2
        .value_kind:     hidden_group_size_y
      - .offset:         80
        .size:           2
        .value_kind:     hidden_group_size_z
      - .offset:         82
        .size:           2
        .value_kind:     hidden_remainder_x
      - .offset:         84
        .size:           2
        .value_kind:     hidden_remainder_y
      - .offset:         86
        .size:           2
        .value_kind:     hidden_remainder_z
      - .offset:         104
        .size:           8
        .value_kind:     hidden_global_offset_x
      - .offset:         112
        .size:           8
        .value_kind:     hidden_global_offset_y
      - .offset:         120
        .size:           8
        .value_kind:     hidden_global_offset_z
      - .offset:         128
        .size:           2
        .value_kind:     hidden_grid_dims
      - .offset:         184
        .size:           4
        .value_kind:     hidden_dynamic_lds_size
    .group_segment_fixed_size: 0
    .kernarg_segment_align: 8
    .kernarg_segment_size: 320
    .language:       OpenCL C
    .language_version:
      - 2
      - 0
    .max_flat_workgroup_size: 256
    .name:           _ZN2at6native12_GLOBAL__N_135GammaBetaBackwardCUDAKernelTemplateIddLj32ELj8ELj64ELb0ELb0ELb1EEEvllPKT_S5_PKT0_S8_PS3_S9_
    .private_segment_fixed_size: 0
    .sgpr_count:     54
    .sgpr_spill_count: 0
    .symbol:         _ZN2at6native12_GLOBAL__N_135GammaBetaBackwardCUDAKernelTemplateIddLj32ELj8ELj64ELb0ELb0ELb1EEEvllPKT_S5_PKT0_S8_PS3_S9_.kd
    .uniform_work_group_size: 1
    .uses_dynamic_stack: false
    .vgpr_count:     121
    .vgpr_spill_count: 0
    .wavefront_size: 64
  - .agpr_count:     0
    .args:
      - .offset:         0
        .size:           8
        .value_kind:     by_value
      - .offset:         8
        .size:           8
        .value_kind:     by_value
      - .actual_access:  read_only
        .address_space:  global
        .offset:         16
        .size:           8
        .value_kind:     global_buffer
      - .actual_access:  read_only
        .address_space:  global
        .offset:         24
        .size:           8
        .value_kind:     global_buffer
      - .actual_access:  read_only
        .address_space:  global
        .offset:         32
        .size:           8
        .value_kind:     global_buffer
      - .actual_access:  read_only
        .address_space:  global
        .offset:         40
        .size:           8
        .value_kind:     global_buffer
      - .actual_access:  write_only
        .address_space:  global
        .offset:         48
        .size:           8
        .value_kind:     global_buffer
      - .actual_access:  read_only
        .address_space:  global
        .offset:         56
        .size:           8
        .value_kind:     global_buffer
      - .offset:         64
        .size:           4
        .value_kind:     hidden_block_count_x
      - .offset:         68
        .size:           4
        .value_kind:     hidden_block_count_y
      - .offset:         72
        .size:           4
        .value_kind:     hidden_block_count_z
      - .offset:         76
        .size:           2
        .value_kind:     hidden_group_size_x
      - .offset:         78
        .size:           2
        .value_kind:     hidden_group_size_y
      - .offset:         80
        .size:           2
        .value_kind:     hidden_group_size_z
      - .offset:         82
        .size:           2
        .value_kind:     hidden_remainder_x
      - .offset:         84
        .size:           2
        .value_kind:     hidden_remainder_y
      - .offset:         86
        .size:           2
        .value_kind:     hidden_remainder_z
      - .offset:         104
        .size:           8
        .value_kind:     hidden_global_offset_x
      - .offset:         112
        .size:           8
        .value_kind:     hidden_global_offset_y
      - .offset:         120
        .size:           8
        .value_kind:     hidden_global_offset_z
      - .offset:         128
        .size:           2
        .value_kind:     hidden_grid_dims
      - .offset:         184
        .size:           4
        .value_kind:     hidden_dynamic_lds_size
    .group_segment_fixed_size: 0
    .kernarg_segment_align: 8
    .kernarg_segment_size: 320
    .language:       OpenCL C
    .language_version:
      - 2
      - 0
    .max_flat_workgroup_size: 512
    .name:           _ZN2at6native12_GLOBAL__N_135GammaBetaBackwardCUDAKernelTemplateIddLj32ELj16ELj128ELb0ELb1ELb1EEEvllPKT_S5_PKT0_S8_PS3_S9_
    .private_segment_fixed_size: 0
    .sgpr_count:     30
    .sgpr_spill_count: 0
    .symbol:         _ZN2at6native12_GLOBAL__N_135GammaBetaBackwardCUDAKernelTemplateIddLj32ELj16ELj128ELb0ELb1ELb1EEEvllPKT_S5_PKT0_S8_PS3_S9_.kd
    .uniform_work_group_size: 1
    .uses_dynamic_stack: false
    .vgpr_count:     64
    .vgpr_spill_count: 0
    .wavefront_size: 64
  - .agpr_count:     0
    .args:
      - .offset:         0
        .size:           8
        .value_kind:     by_value
      - .offset:         8
        .size:           8
        .value_kind:     by_value
      - .actual_access:  read_only
        .address_space:  global
        .offset:         16
        .size:           8
        .value_kind:     global_buffer
      - .actual_access:  read_only
        .address_space:  global
        .offset:         24
        .size:           8
        .value_kind:     global_buffer
      - .actual_access:  read_only
        .address_space:  global
        .offset:         32
        .size:           8
        .value_kind:     global_buffer
      - .actual_access:  read_only
        .address_space:  global
        .offset:         40
        .size:           8
        .value_kind:     global_buffer
      - .actual_access:  write_only
        .address_space:  global
        .offset:         48
        .size:           8
        .value_kind:     global_buffer
      - .actual_access:  read_only
        .address_space:  global
        .offset:         56
        .size:           8
        .value_kind:     global_buffer
      - .offset:         64
        .size:           4
        .value_kind:     hidden_block_count_x
      - .offset:         68
        .size:           4
        .value_kind:     hidden_block_count_y
      - .offset:         72
        .size:           4
        .value_kind:     hidden_block_count_z
      - .offset:         76
        .size:           2
        .value_kind:     hidden_group_size_x
      - .offset:         78
        .size:           2
        .value_kind:     hidden_group_size_y
      - .offset:         80
        .size:           2
        .value_kind:     hidden_group_size_z
      - .offset:         82
        .size:           2
        .value_kind:     hidden_remainder_x
      - .offset:         84
        .size:           2
        .value_kind:     hidden_remainder_y
      - .offset:         86
        .size:           2
        .value_kind:     hidden_remainder_z
      - .offset:         104
        .size:           8
        .value_kind:     hidden_global_offset_x
      - .offset:         112
        .size:           8
        .value_kind:     hidden_global_offset_y
      - .offset:         120
        .size:           8
        .value_kind:     hidden_global_offset_z
      - .offset:         128
        .size:           2
        .value_kind:     hidden_grid_dims
      - .offset:         184
        .size:           4
        .value_kind:     hidden_dynamic_lds_size
    .group_segment_fixed_size: 0
    .kernarg_segment_align: 8
    .kernarg_segment_size: 320
    .language:       OpenCL C
    .language_version:
      - 2
      - 0
    .max_flat_workgroup_size: 512
    .name:           _ZN2at6native12_GLOBAL__N_135GammaBetaBackwardCUDAKernelTemplateIddLj32ELj16ELj128ELb0ELb0ELb1EEEvllPKT_S5_PKT0_S8_PS3_S9_
    .private_segment_fixed_size: 0
    .sgpr_count:     54
    .sgpr_spill_count: 0
    .symbol:         _ZN2at6native12_GLOBAL__N_135GammaBetaBackwardCUDAKernelTemplateIddLj32ELj16ELj128ELb0ELb0ELb1EEEvllPKT_S5_PKT0_S8_PS3_S9_.kd
    .uniform_work_group_size: 1
    .uses_dynamic_stack: false
    .vgpr_count:     121
    .vgpr_spill_count: 0
    .wavefront_size: 64
  - .agpr_count:     0
    .args:
      - .offset:         0
        .size:           8
        .value_kind:     by_value
      - .offset:         8
        .size:           8
        .value_kind:     by_value
      - .actual_access:  read_only
        .address_space:  global
        .offset:         16
        .size:           8
        .value_kind:     global_buffer
      - .actual_access:  read_only
        .address_space:  global
        .offset:         24
        .size:           8
        .value_kind:     global_buffer
      - .actual_access:  read_only
        .address_space:  global
        .offset:         32
        .size:           8
        .value_kind:     global_buffer
      - .actual_access:  read_only
        .address_space:  global
        .offset:         40
        .size:           8
        .value_kind:     global_buffer
      - .actual_access:  write_only
        .address_space:  global
        .offset:         48
        .size:           8
        .value_kind:     global_buffer
      - .actual_access:  read_only
        .address_space:  global
        .offset:         56
        .size:           8
        .value_kind:     global_buffer
      - .offset:         64
        .size:           4
        .value_kind:     hidden_block_count_x
      - .offset:         68
        .size:           4
        .value_kind:     hidden_block_count_y
      - .offset:         72
        .size:           4
        .value_kind:     hidden_block_count_z
      - .offset:         76
        .size:           2
        .value_kind:     hidden_group_size_x
      - .offset:         78
        .size:           2
        .value_kind:     hidden_group_size_y
      - .offset:         80
        .size:           2
        .value_kind:     hidden_group_size_z
      - .offset:         82
        .size:           2
        .value_kind:     hidden_remainder_x
      - .offset:         84
        .size:           2
        .value_kind:     hidden_remainder_y
      - .offset:         86
        .size:           2
        .value_kind:     hidden_remainder_z
      - .offset:         104
        .size:           8
        .value_kind:     hidden_global_offset_x
      - .offset:         112
        .size:           8
        .value_kind:     hidden_global_offset_y
      - .offset:         120
        .size:           8
        .value_kind:     hidden_global_offset_z
      - .offset:         128
        .size:           2
        .value_kind:     hidden_grid_dims
      - .offset:         184
        .size:           4
        .value_kind:     hidden_dynamic_lds_size
    .group_segment_fixed_size: 0
    .kernarg_segment_align: 8
    .kernarg_segment_size: 320
    .language:       OpenCL C
    .language_version:
      - 2
      - 0
    .max_flat_workgroup_size: 1024
    .name:           _ZN2at6native12_GLOBAL__N_135GammaBetaBackwardCUDAKernelTemplateIddLj32ELj32ELj256ELb0ELb1ELb1EEEvllPKT_S5_PKT0_S8_PS3_S9_
    .private_segment_fixed_size: 0
    .sgpr_count:     30
    .sgpr_spill_count: 0
    .symbol:         _ZN2at6native12_GLOBAL__N_135GammaBetaBackwardCUDAKernelTemplateIddLj32ELj32ELj256ELb0ELb1ELb1EEEvllPKT_S5_PKT0_S8_PS3_S9_.kd
    .uniform_work_group_size: 1
    .uses_dynamic_stack: false
    .vgpr_count:     66
    .vgpr_spill_count: 0
    .wavefront_size: 64
  - .agpr_count:     0
    .args:
      - .offset:         0
        .size:           8
        .value_kind:     by_value
      - .offset:         8
        .size:           8
        .value_kind:     by_value
      - .actual_access:  read_only
        .address_space:  global
        .offset:         16
        .size:           8
        .value_kind:     global_buffer
      - .actual_access:  read_only
        .address_space:  global
        .offset:         24
        .size:           8
        .value_kind:     global_buffer
      - .actual_access:  read_only
        .address_space:  global
        .offset:         32
        .size:           8
        .value_kind:     global_buffer
      - .actual_access:  read_only
        .address_space:  global
        .offset:         40
        .size:           8
        .value_kind:     global_buffer
      - .actual_access:  write_only
        .address_space:  global
        .offset:         48
        .size:           8
        .value_kind:     global_buffer
      - .actual_access:  read_only
        .address_space:  global
        .offset:         56
        .size:           8
        .value_kind:     global_buffer
      - .offset:         64
        .size:           4
        .value_kind:     hidden_block_count_x
      - .offset:         68
        .size:           4
        .value_kind:     hidden_block_count_y
      - .offset:         72
        .size:           4
        .value_kind:     hidden_block_count_z
      - .offset:         76
        .size:           2
        .value_kind:     hidden_group_size_x
      - .offset:         78
        .size:           2
        .value_kind:     hidden_group_size_y
      - .offset:         80
        .size:           2
        .value_kind:     hidden_group_size_z
      - .offset:         82
        .size:           2
        .value_kind:     hidden_remainder_x
      - .offset:         84
        .size:           2
        .value_kind:     hidden_remainder_y
      - .offset:         86
        .size:           2
        .value_kind:     hidden_remainder_z
      - .offset:         104
        .size:           8
        .value_kind:     hidden_global_offset_x
      - .offset:         112
        .size:           8
        .value_kind:     hidden_global_offset_y
      - .offset:         120
        .size:           8
        .value_kind:     hidden_global_offset_z
      - .offset:         128
        .size:           2
        .value_kind:     hidden_grid_dims
      - .offset:         184
        .size:           4
        .value_kind:     hidden_dynamic_lds_size
    .group_segment_fixed_size: 0
    .kernarg_segment_align: 8
    .kernarg_segment_size: 320
    .language:       OpenCL C
    .language_version:
      - 2
      - 0
    .max_flat_workgroup_size: 1024
    .name:           _ZN2at6native12_GLOBAL__N_135GammaBetaBackwardCUDAKernelTemplateIddLj32ELj32ELj256ELb0ELb0ELb1EEEvllPKT_S5_PKT0_S8_PS3_S9_
    .private_segment_fixed_size: 0
    .sgpr_count:     54
    .sgpr_spill_count: 0
    .symbol:         _ZN2at6native12_GLOBAL__N_135GammaBetaBackwardCUDAKernelTemplateIddLj32ELj32ELj256ELb0ELb0ELb1EEEvllPKT_S5_PKT0_S8_PS3_S9_.kd
    .uniform_work_group_size: 1
    .uses_dynamic_stack: false
    .vgpr_count:     121
    .vgpr_spill_count: 0
    .wavefront_size: 64
  - .agpr_count:     0
    .args:
      - .actual_access:  read_only
        .address_space:  global
        .offset:         0
        .size:           8
        .value_kind:     global_buffer
      - .actual_access:  read_only
        .address_space:  global
        .offset:         8
        .size:           8
        .value_kind:     global_buffer
      - .offset:         16
        .size:           8
        .value_kind:     by_value
      - .offset:         24
        .size:           8
        .value_kind:     by_value
      - .actual_access:  read_only
        .address_space:  global
        .offset:         32
        .size:           8
        .value_kind:     global_buffer
      - .actual_access:  read_only
        .address_space:  global
        .offset:         40
        .size:           8
        .value_kind:     global_buffer
      - .address_space:  global
        .offset:         48
        .size:           8
        .value_kind:     global_buffer
      - .address_space:  global
        .offset:         56
        .size:           8
        .value_kind:     global_buffer
      - .offset:         64
        .size:           4
        .value_kind:     hidden_block_count_x
      - .offset:         68
        .size:           4
        .value_kind:     hidden_block_count_y
      - .offset:         72
        .size:           4
        .value_kind:     hidden_block_count_z
      - .offset:         76
        .size:           2
        .value_kind:     hidden_group_size_x
      - .offset:         78
        .size:           2
        .value_kind:     hidden_group_size_y
      - .offset:         80
        .size:           2
        .value_kind:     hidden_group_size_z
      - .offset:         82
        .size:           2
        .value_kind:     hidden_remainder_x
      - .offset:         84
        .size:           2
        .value_kind:     hidden_remainder_y
      - .offset:         86
        .size:           2
        .value_kind:     hidden_remainder_z
      - .offset:         104
        .size:           8
        .value_kind:     hidden_global_offset_x
      - .offset:         112
        .size:           8
        .value_kind:     hidden_global_offset_y
      - .offset:         120
        .size:           8
        .value_kind:     hidden_global_offset_z
      - .offset:         128
        .size:           2
        .value_kind:     hidden_grid_dims
      - .offset:         184
        .size:           4
        .value_kind:     hidden_dynamic_lds_size
    .group_segment_fixed_size: 0
    .kernarg_segment_align: 8
    .kernarg_segment_size: 320
    .language:       OpenCL C
    .language_version:
      - 2
      - 0
    .max_flat_workgroup_size: 1024
    .name:           _ZN2at6native12_GLOBAL__N_118cuComputeGradInputIffLb1EEEvPKT_S5_llPKT0_S8_S5_PS3_
    .private_segment_fixed_size: 0
    .sgpr_count:     52
    .sgpr_spill_count: 0
    .symbol:         _ZN2at6native12_GLOBAL__N_118cuComputeGradInputIffLb1EEEvPKT_S5_llPKT0_S8_S5_PS3_.kd
    .uniform_work_group_size: 1
    .uses_dynamic_stack: false
    .vgpr_count:     31
    .vgpr_spill_count: 0
    .wavefront_size: 64
  - .agpr_count:     0
    .args:
      - .actual_access:  read_only
        .address_space:  global
        .offset:         0
        .size:           8
        .value_kind:     global_buffer
      - .actual_access:  read_only
        .address_space:  global
        .offset:         8
        .size:           8
        .value_kind:     global_buffer
      - .actual_access:  read_only
        .address_space:  global
        .offset:         16
        .size:           8
        .value_kind:     global_buffer
      - .actual_access:  read_only
        .address_space:  global
        .offset:         24
        .size:           8
        .value_kind:     global_buffer
      - .actual_access:  read_only
        .address_space:  global
        .offset:         32
        .size:           8
        .value_kind:     global_buffer
      - .address_space:  global
        .offset:         40
        .size:           8
        .value_kind:     global_buffer
      - .offset:         48
        .size:           4
        .value_kind:     by_value
      - .offset:         56
        .size:           4
        .value_kind:     hidden_block_count_x
      - .offset:         60
        .size:           4
        .value_kind:     hidden_block_count_y
      - .offset:         64
        .size:           4
        .value_kind:     hidden_block_count_z
      - .offset:         68
        .size:           2
        .value_kind:     hidden_group_size_x
      - .offset:         70
        .size:           2
        .value_kind:     hidden_group_size_y
      - .offset:         72
        .size:           2
        .value_kind:     hidden_group_size_z
      - .offset:         74
        .size:           2
        .value_kind:     hidden_remainder_x
      - .offset:         76
        .size:           2
        .value_kind:     hidden_remainder_y
      - .offset:         78
        .size:           2
        .value_kind:     hidden_remainder_z
      - .offset:         96
        .size:           8
        .value_kind:     hidden_global_offset_x
      - .offset:         104
        .size:           8
        .value_kind:     hidden_global_offset_y
      - .offset:         112
        .size:           8
        .value_kind:     hidden_global_offset_z
      - .offset:         120
        .size:           2
        .value_kind:     hidden_grid_dims
      - .offset:         176
        .size:           4
        .value_kind:     hidden_dynamic_lds_size
    .group_segment_fixed_size: 0
    .kernarg_segment_align: 8
    .kernarg_segment_size: 312
    .language:       OpenCL C
    .language_version:
      - 2
      - 0
    .max_flat_workgroup_size: 1024
    .name:           _ZN2at6native12_GLOBAL__N_128layer_norm_grad_input_kernelIffLb1EEEvPKT_S5_PKT0_S8_S5_PS3_i
    .private_segment_fixed_size: 0
    .sgpr_count:     35
    .sgpr_spill_count: 0
    .symbol:         _ZN2at6native12_GLOBAL__N_128layer_norm_grad_input_kernelIffLb1EEEvPKT_S5_PKT0_S8_S5_PS3_i.kd
    .uniform_work_group_size: 1
    .uses_dynamic_stack: false
    .vgpr_count:     22
    .vgpr_spill_count: 0
    .wavefront_size: 64
  - .agpr_count:     0
    .args:
      - .offset:         0
        .size:           8
        .value_kind:     by_value
      - .offset:         8
        .size:           8
        .value_kind:     by_value
      - .address_space:  global
        .offset:         16
        .size:           8
        .value_kind:     global_buffer
      - .address_space:  global
        .offset:         24
        .size:           8
        .value_kind:     global_buffer
      - .address_space:  global
        .offset:         32
        .size:           8
        .value_kind:     global_buffer
      - .address_space:  global
        .offset:         40
        .size:           8
        .value_kind:     global_buffer
      - .address_space:  global
        .offset:         48
        .size:           8
        .value_kind:     global_buffer
      - .address_space:  global
        .offset:         56
        .size:           8
        .value_kind:     global_buffer
      - .offset:         64
        .size:           4
        .value_kind:     hidden_block_count_x
      - .offset:         68
        .size:           4
        .value_kind:     hidden_block_count_y
      - .offset:         72
        .size:           4
        .value_kind:     hidden_block_count_z
      - .offset:         76
        .size:           2
        .value_kind:     hidden_group_size_x
      - .offset:         78
        .size:           2
        .value_kind:     hidden_group_size_y
      - .offset:         80
        .size:           2
        .value_kind:     hidden_group_size_z
      - .offset:         82
        .size:           2
        .value_kind:     hidden_remainder_x
      - .offset:         84
        .size:           2
        .value_kind:     hidden_remainder_y
      - .offset:         86
        .size:           2
        .value_kind:     hidden_remainder_z
      - .offset:         104
        .size:           8
        .value_kind:     hidden_global_offset_x
      - .offset:         112
        .size:           8
        .value_kind:     hidden_global_offset_y
      - .offset:         120
        .size:           8
        .value_kind:     hidden_global_offset_z
      - .offset:         128
        .size:           2
        .value_kind:     hidden_grid_dims
    .group_segment_fixed_size: 0
    .kernarg_segment_align: 8
    .kernarg_segment_size: 320
    .language:       OpenCL C
    .language_version:
      - 2
      - 0
    .max_flat_workgroup_size: 1024
    .name:           _ZN2at6native12_GLOBAL__N_133GammaBetaBackwardSimpleCUDAKernelIffLb1EEEvllPKT_S5_PKT0_S8_PS3_S9_
    .private_segment_fixed_size: 0
    .sgpr_count:     20
    .sgpr_spill_count: 0
    .symbol:         _ZN2at6native12_GLOBAL__N_133GammaBetaBackwardSimpleCUDAKernelIffLb1EEEvllPKT_S5_PKT0_S8_PS3_S9_.kd
    .uniform_work_group_size: 1
    .uses_dynamic_stack: false
    .vgpr_count:     9
    .vgpr_spill_count: 0
    .wavefront_size: 64
  - .agpr_count:     0
    .args:
      - .offset:         0
        .size:           8
        .value_kind:     by_value
      - .offset:         8
        .size:           8
        .value_kind:     by_value
      - .actual_access:  read_only
        .address_space:  global
        .offset:         16
        .size:           8
        .value_kind:     global_buffer
      - .actual_access:  read_only
        .address_space:  global
        .offset:         24
        .size:           8
        .value_kind:     global_buffer
      - .actual_access:  read_only
        .address_space:  global
        .offset:         32
        .size:           8
        .value_kind:     global_buffer
      - .actual_access:  read_only
        .address_space:  global
        .offset:         40
        .size:           8
        .value_kind:     global_buffer
      - .actual_access:  write_only
        .address_space:  global
        .offset:         48
        .size:           8
        .value_kind:     global_buffer
      - .actual_access:  read_only
        .address_space:  global
        .offset:         56
        .size:           8
        .value_kind:     global_buffer
      - .offset:         64
        .size:           4
        .value_kind:     hidden_block_count_x
      - .offset:         68
        .size:           4
        .value_kind:     hidden_block_count_y
      - .offset:         72
        .size:           4
        .value_kind:     hidden_block_count_z
      - .offset:         76
        .size:           2
        .value_kind:     hidden_group_size_x
      - .offset:         78
        .size:           2
        .value_kind:     hidden_group_size_y
      - .offset:         80
        .size:           2
        .value_kind:     hidden_group_size_z
      - .offset:         82
        .size:           2
        .value_kind:     hidden_remainder_x
      - .offset:         84
        .size:           2
        .value_kind:     hidden_remainder_y
      - .offset:         86
        .size:           2
        .value_kind:     hidden_remainder_z
      - .offset:         104
        .size:           8
        .value_kind:     hidden_global_offset_x
      - .offset:         112
        .size:           8
        .value_kind:     hidden_global_offset_y
      - .offset:         120
        .size:           8
        .value_kind:     hidden_global_offset_z
      - .offset:         128
        .size:           2
        .value_kind:     hidden_grid_dims
    .group_segment_fixed_size: 0
    .kernarg_segment_align: 8
    .kernarg_segment_size: 320
    .language:       OpenCL C
    .language_version:
      - 2
      - 0
    .max_flat_workgroup_size: 64
    .name:           _ZN2at6native12_GLOBAL__N_135GammaBetaBackwardCUDAKernelTemplateIffLj64ELj1ELj32ELb1ELb1ELb1EEEvllPKT_S5_PKT0_S8_PS3_S9_
    .private_segment_fixed_size: 0
    .sgpr_count:     36
    .sgpr_spill_count: 0
    .symbol:         _ZN2at6native12_GLOBAL__N_135GammaBetaBackwardCUDAKernelTemplateIffLj64ELj1ELj32ELb1ELb1ELb1EEEvllPKT_S5_PKT0_S8_PS3_S9_.kd
    .uniform_work_group_size: 1
    .uses_dynamic_stack: false
    .vgpr_count:     110
    .vgpr_spill_count: 0
    .wavefront_size: 64
  - .agpr_count:     75
    .args:
      - .offset:         0
        .size:           8
        .value_kind:     by_value
      - .offset:         8
        .size:           8
        .value_kind:     by_value
      - .actual_access:  read_only
        .address_space:  global
        .offset:         16
        .size:           8
        .value_kind:     global_buffer
      - .actual_access:  read_only
        .address_space:  global
        .offset:         24
        .size:           8
        .value_kind:     global_buffer
      - .actual_access:  read_only
        .address_space:  global
        .offset:         32
        .size:           8
        .value_kind:     global_buffer
      - .actual_access:  read_only
        .address_space:  global
        .offset:         40
        .size:           8
        .value_kind:     global_buffer
      - .actual_access:  write_only
        .address_space:  global
        .offset:         48
        .size:           8
        .value_kind:     global_buffer
      - .actual_access:  read_only
        .address_space:  global
        .offset:         56
        .size:           8
        .value_kind:     global_buffer
      - .offset:         64
        .size:           4
        .value_kind:     hidden_block_count_x
      - .offset:         68
        .size:           4
        .value_kind:     hidden_block_count_y
      - .offset:         72
        .size:           4
        .value_kind:     hidden_block_count_z
      - .offset:         76
        .size:           2
        .value_kind:     hidden_group_size_x
      - .offset:         78
        .size:           2
        .value_kind:     hidden_group_size_y
      - .offset:         80
        .size:           2
        .value_kind:     hidden_group_size_z
      - .offset:         82
        .size:           2
        .value_kind:     hidden_remainder_x
      - .offset:         84
        .size:           2
        .value_kind:     hidden_remainder_y
      - .offset:         86
        .size:           2
        .value_kind:     hidden_remainder_z
      - .offset:         104
        .size:           8
        .value_kind:     hidden_global_offset_x
      - .offset:         112
        .size:           8
        .value_kind:     hidden_global_offset_y
      - .offset:         120
        .size:           8
        .value_kind:     hidden_global_offset_z
      - .offset:         128
        .size:           2
        .value_kind:     hidden_grid_dims
    .group_segment_fixed_size: 0
    .kernarg_segment_align: 8
    .kernarg_segment_size: 320
    .language:       OpenCL C
    .language_version:
      - 2
      - 0
    .max_flat_workgroup_size: 64
    .name:           _ZN2at6native12_GLOBAL__N_135GammaBetaBackwardCUDAKernelTemplateIffLj64ELj1ELj32ELb1ELb0ELb1EEEvllPKT_S5_PKT0_S8_PS3_S9_
    .private_segment_fixed_size: 0
    .sgpr_count:     40
    .sgpr_spill_count: 0
    .symbol:         _ZN2at6native12_GLOBAL__N_135GammaBetaBackwardCUDAKernelTemplateIffLj64ELj1ELj32ELb1ELb0ELb1EEEvllPKT_S5_PKT0_S8_PS3_S9_.kd
    .uniform_work_group_size: 1
    .uses_dynamic_stack: false
    .vgpr_count:     331
    .vgpr_spill_count: 2
    .wavefront_size: 64
  - .agpr_count:     0
    .args:
      - .offset:         0
        .size:           8
        .value_kind:     by_value
      - .offset:         8
        .size:           8
        .value_kind:     by_value
      - .actual_access:  read_only
        .address_space:  global
        .offset:         16
        .size:           8
        .value_kind:     global_buffer
      - .actual_access:  read_only
        .address_space:  global
        .offset:         24
        .size:           8
        .value_kind:     global_buffer
      - .actual_access:  read_only
        .address_space:  global
        .offset:         32
        .size:           8
        .value_kind:     global_buffer
      - .actual_access:  read_only
        .address_space:  global
        .offset:         40
        .size:           8
        .value_kind:     global_buffer
      - .actual_access:  write_only
        .address_space:  global
        .offset:         48
        .size:           8
        .value_kind:     global_buffer
      - .actual_access:  read_only
        .address_space:  global
        .offset:         56
        .size:           8
        .value_kind:     global_buffer
      - .offset:         64
        .size:           4
        .value_kind:     hidden_block_count_x
      - .offset:         68
        .size:           4
        .value_kind:     hidden_block_count_y
      - .offset:         72
        .size:           4
        .value_kind:     hidden_block_count_z
      - .offset:         76
        .size:           2
        .value_kind:     hidden_group_size_x
      - .offset:         78
        .size:           2
        .value_kind:     hidden_group_size_y
      - .offset:         80
        .size:           2
        .value_kind:     hidden_group_size_z
      - .offset:         82
        .size:           2
        .value_kind:     hidden_remainder_x
      - .offset:         84
        .size:           2
        .value_kind:     hidden_remainder_y
      - .offset:         86
        .size:           2
        .value_kind:     hidden_remainder_z
      - .offset:         104
        .size:           8
        .value_kind:     hidden_global_offset_x
      - .offset:         112
        .size:           8
        .value_kind:     hidden_global_offset_y
      - .offset:         120
        .size:           8
        .value_kind:     hidden_global_offset_z
      - .offset:         128
        .size:           2
        .value_kind:     hidden_grid_dims
    .group_segment_fixed_size: 0
    .kernarg_segment_align: 8
    .kernarg_segment_size: 320
    .language:       OpenCL C
    .language_version:
      - 2
      - 0
    .max_flat_workgroup_size: 64
    .name:           _ZN2at6native12_GLOBAL__N_135GammaBetaBackwardCUDAKernelTemplateIffLj64ELj1ELj8ELb1ELb1ELb1EEEvllPKT_S5_PKT0_S8_PS3_S9_
    .private_segment_fixed_size: 0
    .sgpr_count:     36
    .sgpr_spill_count: 0
    .symbol:         _ZN2at6native12_GLOBAL__N_135GammaBetaBackwardCUDAKernelTemplateIffLj64ELj1ELj8ELb1ELb1ELb1EEEvllPKT_S5_PKT0_S8_PS3_S9_.kd
    .uniform_work_group_size: 1
    .uses_dynamic_stack: false
    .vgpr_count:     46
    .vgpr_spill_count: 0
    .wavefront_size: 64
  - .agpr_count:     0
    .args:
      - .offset:         0
        .size:           8
        .value_kind:     by_value
      - .offset:         8
        .size:           8
        .value_kind:     by_value
      - .actual_access:  read_only
        .address_space:  global
        .offset:         16
        .size:           8
        .value_kind:     global_buffer
      - .actual_access:  read_only
        .address_space:  global
        .offset:         24
        .size:           8
        .value_kind:     global_buffer
      - .actual_access:  read_only
        .address_space:  global
        .offset:         32
        .size:           8
        .value_kind:     global_buffer
      - .actual_access:  read_only
        .address_space:  global
        .offset:         40
        .size:           8
        .value_kind:     global_buffer
      - .actual_access:  write_only
        .address_space:  global
        .offset:         48
        .size:           8
        .value_kind:     global_buffer
      - .actual_access:  read_only
        .address_space:  global
        .offset:         56
        .size:           8
        .value_kind:     global_buffer
      - .offset:         64
        .size:           4
        .value_kind:     hidden_block_count_x
      - .offset:         68
        .size:           4
        .value_kind:     hidden_block_count_y
      - .offset:         72
        .size:           4
        .value_kind:     hidden_block_count_z
      - .offset:         76
        .size:           2
        .value_kind:     hidden_group_size_x
      - .offset:         78
        .size:           2
        .value_kind:     hidden_group_size_y
      - .offset:         80
        .size:           2
        .value_kind:     hidden_group_size_z
      - .offset:         82
        .size:           2
        .value_kind:     hidden_remainder_x
      - .offset:         84
        .size:           2
        .value_kind:     hidden_remainder_y
      - .offset:         86
        .size:           2
        .value_kind:     hidden_remainder_z
      - .offset:         104
        .size:           8
        .value_kind:     hidden_global_offset_x
      - .offset:         112
        .size:           8
        .value_kind:     hidden_global_offset_y
      - .offset:         120
        .size:           8
        .value_kind:     hidden_global_offset_z
      - .offset:         128
        .size:           2
        .value_kind:     hidden_grid_dims
    .group_segment_fixed_size: 0
    .kernarg_segment_align: 8
    .kernarg_segment_size: 320
    .language:       OpenCL C
    .language_version:
      - 2
      - 0
    .max_flat_workgroup_size: 64
    .name:           _ZN2at6native12_GLOBAL__N_135GammaBetaBackwardCUDAKernelTemplateIffLj64ELj1ELj8ELb1ELb0ELb1EEEvllPKT_S5_PKT0_S8_PS3_S9_
    .private_segment_fixed_size: 0
    .sgpr_count:     48
    .sgpr_spill_count: 0
    .symbol:         _ZN2at6native12_GLOBAL__N_135GammaBetaBackwardCUDAKernelTemplateIffLj64ELj1ELj8ELb1ELb0ELb1EEEvllPKT_S5_PKT0_S8_PS3_S9_.kd
    .uniform_work_group_size: 1
    .uses_dynamic_stack: false
    .vgpr_count:     96
    .vgpr_spill_count: 0
    .wavefront_size: 64
  - .agpr_count:     0
    .args:
      - .offset:         0
        .size:           8
        .value_kind:     by_value
      - .offset:         8
        .size:           8
        .value_kind:     by_value
      - .actual_access:  read_only
        .address_space:  global
        .offset:         16
        .size:           8
        .value_kind:     global_buffer
      - .actual_access:  read_only
        .address_space:  global
        .offset:         24
        .size:           8
        .value_kind:     global_buffer
      - .actual_access:  read_only
        .address_space:  global
        .offset:         32
        .size:           8
        .value_kind:     global_buffer
      - .actual_access:  read_only
        .address_space:  global
        .offset:         40
        .size:           8
        .value_kind:     global_buffer
      - .actual_access:  write_only
        .address_space:  global
        .offset:         48
        .size:           8
        .value_kind:     global_buffer
      - .actual_access:  read_only
        .address_space:  global
        .offset:         56
        .size:           8
        .value_kind:     global_buffer
      - .offset:         64
        .size:           4
        .value_kind:     hidden_block_count_x
      - .offset:         68
        .size:           4
        .value_kind:     hidden_block_count_y
      - .offset:         72
        .size:           4
        .value_kind:     hidden_block_count_z
      - .offset:         76
        .size:           2
        .value_kind:     hidden_group_size_x
      - .offset:         78
        .size:           2
        .value_kind:     hidden_group_size_y
      - .offset:         80
        .size:           2
        .value_kind:     hidden_group_size_z
      - .offset:         82
        .size:           2
        .value_kind:     hidden_remainder_x
      - .offset:         84
        .size:           2
        .value_kind:     hidden_remainder_y
      - .offset:         86
        .size:           2
        .value_kind:     hidden_remainder_z
      - .offset:         104
        .size:           8
        .value_kind:     hidden_global_offset_x
      - .offset:         112
        .size:           8
        .value_kind:     hidden_global_offset_y
      - .offset:         120
        .size:           8
        .value_kind:     hidden_global_offset_z
      - .offset:         128
        .size:           2
        .value_kind:     hidden_grid_dims
      - .offset:         184
        .size:           4
        .value_kind:     hidden_dynamic_lds_size
    .group_segment_fixed_size: 0
    .kernarg_segment_align: 8
    .kernarg_segment_size: 320
    .language:       OpenCL C
    .language_version:
      - 2
      - 0
    .max_flat_workgroup_size: 512
    .name:           _ZN2at6native12_GLOBAL__N_135GammaBetaBackwardCUDAKernelTemplateIffLj64ELj8ELj64ELb0ELb1ELb1EEEvllPKT_S5_PKT0_S8_PS3_S9_
    .private_segment_fixed_size: 0
    .sgpr_count:     30
    .sgpr_spill_count: 0
    .symbol:         _ZN2at6native12_GLOBAL__N_135GammaBetaBackwardCUDAKernelTemplateIffLj64ELj8ELj64ELb0ELb1ELb1EEEvllPKT_S5_PKT0_S8_PS3_S9_.kd
    .uniform_work_group_size: 1
    .uses_dynamic_stack: false
    .vgpr_count:     48
    .vgpr_spill_count: 0
    .wavefront_size: 64
  - .agpr_count:     0
    .args:
      - .offset:         0
        .size:           8
        .value_kind:     by_value
      - .offset:         8
        .size:           8
        .value_kind:     by_value
      - .actual_access:  read_only
        .address_space:  global
        .offset:         16
        .size:           8
        .value_kind:     global_buffer
      - .actual_access:  read_only
        .address_space:  global
        .offset:         24
        .size:           8
        .value_kind:     global_buffer
      - .actual_access:  read_only
        .address_space:  global
        .offset:         32
        .size:           8
        .value_kind:     global_buffer
      - .actual_access:  read_only
        .address_space:  global
        .offset:         40
        .size:           8
        .value_kind:     global_buffer
      - .actual_access:  write_only
        .address_space:  global
        .offset:         48
        .size:           8
        .value_kind:     global_buffer
      - .actual_access:  read_only
        .address_space:  global
        .offset:         56
        .size:           8
        .value_kind:     global_buffer
      - .offset:         64
        .size:           4
        .value_kind:     hidden_block_count_x
      - .offset:         68
        .size:           4
        .value_kind:     hidden_block_count_y
      - .offset:         72
        .size:           4
        .value_kind:     hidden_block_count_z
      - .offset:         76
        .size:           2
        .value_kind:     hidden_group_size_x
      - .offset:         78
        .size:           2
        .value_kind:     hidden_group_size_y
      - .offset:         80
        .size:           2
        .value_kind:     hidden_group_size_z
      - .offset:         82
        .size:           2
        .value_kind:     hidden_remainder_x
      - .offset:         84
        .size:           2
        .value_kind:     hidden_remainder_y
      - .offset:         86
        .size:           2
        .value_kind:     hidden_remainder_z
      - .offset:         104
        .size:           8
        .value_kind:     hidden_global_offset_x
      - .offset:         112
        .size:           8
        .value_kind:     hidden_global_offset_y
      - .offset:         120
        .size:           8
        .value_kind:     hidden_global_offset_z
      - .offset:         128
        .size:           2
        .value_kind:     hidden_grid_dims
      - .offset:         184
        .size:           4
        .value_kind:     hidden_dynamic_lds_size
    .group_segment_fixed_size: 0
    .kernarg_segment_align: 8
    .kernarg_segment_size: 320
    .language:       OpenCL C
    .language_version:
      - 2
      - 0
    .max_flat_workgroup_size: 512
    .name:           _ZN2at6native12_GLOBAL__N_135GammaBetaBackwardCUDAKernelTemplateIffLj64ELj8ELj64ELb0ELb0ELb1EEEvllPKT_S5_PKT0_S8_PS3_S9_
    .private_segment_fixed_size: 0
    .sgpr_count:     46
    .sgpr_spill_count: 0
    .symbol:         _ZN2at6native12_GLOBAL__N_135GammaBetaBackwardCUDAKernelTemplateIffLj64ELj8ELj64ELb0ELb0ELb1EEEvllPKT_S5_PKT0_S8_PS3_S9_.kd
    .uniform_work_group_size: 1
    .uses_dynamic_stack: false
    .vgpr_count:     95
    .vgpr_spill_count: 0
    .wavefront_size: 64
  - .agpr_count:     0
    .args:
      - .offset:         0
        .size:           8
        .value_kind:     by_value
      - .offset:         8
        .size:           8
        .value_kind:     by_value
      - .actual_access:  read_only
        .address_space:  global
        .offset:         16
        .size:           8
        .value_kind:     global_buffer
      - .actual_access:  read_only
        .address_space:  global
        .offset:         24
        .size:           8
        .value_kind:     global_buffer
      - .actual_access:  read_only
        .address_space:  global
        .offset:         32
        .size:           8
        .value_kind:     global_buffer
      - .actual_access:  read_only
        .address_space:  global
        .offset:         40
        .size:           8
        .value_kind:     global_buffer
      - .actual_access:  write_only
        .address_space:  global
        .offset:         48
        .size:           8
        .value_kind:     global_buffer
      - .actual_access:  read_only
        .address_space:  global
        .offset:         56
        .size:           8
        .value_kind:     global_buffer
      - .offset:         64
        .size:           4
        .value_kind:     hidden_block_count_x
      - .offset:         68
        .size:           4
        .value_kind:     hidden_block_count_y
      - .offset:         72
        .size:           4
        .value_kind:     hidden_block_count_z
      - .offset:         76
        .size:           2
        .value_kind:     hidden_group_size_x
      - .offset:         78
        .size:           2
        .value_kind:     hidden_group_size_y
      - .offset:         80
        .size:           2
        .value_kind:     hidden_group_size_z
      - .offset:         82
        .size:           2
        .value_kind:     hidden_remainder_x
      - .offset:         84
        .size:           2
        .value_kind:     hidden_remainder_y
      - .offset:         86
        .size:           2
        .value_kind:     hidden_remainder_z
      - .offset:         104
        .size:           8
        .value_kind:     hidden_global_offset_x
      - .offset:         112
        .size:           8
        .value_kind:     hidden_global_offset_y
      - .offset:         120
        .size:           8
        .value_kind:     hidden_global_offset_z
      - .offset:         128
        .size:           2
        .value_kind:     hidden_grid_dims
      - .offset:         184
        .size:           4
        .value_kind:     hidden_dynamic_lds_size
    .group_segment_fixed_size: 0
    .kernarg_segment_align: 8
    .kernarg_segment_size: 320
    .language:       OpenCL C
    .language_version:
      - 2
      - 0
    .max_flat_workgroup_size: 1024
    .name:           _ZN2at6native12_GLOBAL__N_135GammaBetaBackwardCUDAKernelTemplateIffLj64ELj16ELj128ELb0ELb1ELb1EEEvllPKT_S5_PKT0_S8_PS3_S9_
    .private_segment_fixed_size: 0
    .sgpr_count:     30
    .sgpr_spill_count: 0
    .symbol:         _ZN2at6native12_GLOBAL__N_135GammaBetaBackwardCUDAKernelTemplateIffLj64ELj16ELj128ELb0ELb1ELb1EEEvllPKT_S5_PKT0_S8_PS3_S9_.kd
    .uniform_work_group_size: 1
    .uses_dynamic_stack: false
    .vgpr_count:     48
    .vgpr_spill_count: 0
    .wavefront_size: 64
  - .agpr_count:     0
    .args:
      - .offset:         0
        .size:           8
        .value_kind:     by_value
      - .offset:         8
        .size:           8
        .value_kind:     by_value
      - .actual_access:  read_only
        .address_space:  global
        .offset:         16
        .size:           8
        .value_kind:     global_buffer
      - .actual_access:  read_only
        .address_space:  global
        .offset:         24
        .size:           8
        .value_kind:     global_buffer
      - .actual_access:  read_only
        .address_space:  global
        .offset:         32
        .size:           8
        .value_kind:     global_buffer
      - .actual_access:  read_only
        .address_space:  global
        .offset:         40
        .size:           8
        .value_kind:     global_buffer
      - .actual_access:  write_only
        .address_space:  global
        .offset:         48
        .size:           8
        .value_kind:     global_buffer
      - .actual_access:  read_only
        .address_space:  global
        .offset:         56
        .size:           8
        .value_kind:     global_buffer
      - .offset:         64
        .size:           4
        .value_kind:     hidden_block_count_x
      - .offset:         68
        .size:           4
        .value_kind:     hidden_block_count_y
      - .offset:         72
        .size:           4
        .value_kind:     hidden_block_count_z
      - .offset:         76
        .size:           2
        .value_kind:     hidden_group_size_x
      - .offset:         78
        .size:           2
        .value_kind:     hidden_group_size_y
      - .offset:         80
        .size:           2
        .value_kind:     hidden_group_size_z
      - .offset:         82
        .size:           2
        .value_kind:     hidden_remainder_x
      - .offset:         84
        .size:           2
        .value_kind:     hidden_remainder_y
      - .offset:         86
        .size:           2
        .value_kind:     hidden_remainder_z
      - .offset:         104
        .size:           8
        .value_kind:     hidden_global_offset_x
      - .offset:         112
        .size:           8
        .value_kind:     hidden_global_offset_y
      - .offset:         120
        .size:           8
        .value_kind:     hidden_global_offset_z
      - .offset:         128
        .size:           2
        .value_kind:     hidden_grid_dims
      - .offset:         184
        .size:           4
        .value_kind:     hidden_dynamic_lds_size
    .group_segment_fixed_size: 0
    .kernarg_segment_align: 8
    .kernarg_segment_size: 320
    .language:       OpenCL C
    .language_version:
      - 2
      - 0
    .max_flat_workgroup_size: 1024
    .name:           _ZN2at6native12_GLOBAL__N_135GammaBetaBackwardCUDAKernelTemplateIffLj64ELj16ELj128ELb0ELb0ELb1EEEvllPKT_S5_PKT0_S8_PS3_S9_
    .private_segment_fixed_size: 0
    .sgpr_count:     46
    .sgpr_spill_count: 0
    .symbol:         _ZN2at6native12_GLOBAL__N_135GammaBetaBackwardCUDAKernelTemplateIffLj64ELj16ELj128ELb0ELb0ELb1EEEvllPKT_S5_PKT0_S8_PS3_S9_.kd
    .uniform_work_group_size: 1
    .uses_dynamic_stack: false
    .vgpr_count:     95
    .vgpr_spill_count: 0
    .wavefront_size: 64
  - .agpr_count:     0
    .args:
      - .offset:         0
        .size:           8
        .value_kind:     by_value
      - .offset:         8
        .size:           8
        .value_kind:     by_value
      - .actual_access:  read_only
        .address_space:  global
        .offset:         16
        .size:           8
        .value_kind:     global_buffer
      - .actual_access:  read_only
        .address_space:  global
        .offset:         24
        .size:           8
        .value_kind:     global_buffer
      - .actual_access:  read_only
        .address_space:  global
        .offset:         32
        .size:           8
        .value_kind:     global_buffer
      - .actual_access:  read_only
        .address_space:  global
        .offset:         40
        .size:           8
        .value_kind:     global_buffer
      - .actual_access:  write_only
        .address_space:  global
        .offset:         48
        .size:           8
        .value_kind:     global_buffer
      - .actual_access:  read_only
        .address_space:  global
        .offset:         56
        .size:           8
        .value_kind:     global_buffer
      - .offset:         64
        .size:           4
        .value_kind:     hidden_block_count_x
      - .offset:         68
        .size:           4
        .value_kind:     hidden_block_count_y
      - .offset:         72
        .size:           4
        .value_kind:     hidden_block_count_z
      - .offset:         76
        .size:           2
        .value_kind:     hidden_group_size_x
      - .offset:         78
        .size:           2
        .value_kind:     hidden_group_size_y
      - .offset:         80
        .size:           2
        .value_kind:     hidden_group_size_z
      - .offset:         82
        .size:           2
        .value_kind:     hidden_remainder_x
      - .offset:         84
        .size:           2
        .value_kind:     hidden_remainder_y
      - .offset:         86
        .size:           2
        .value_kind:     hidden_remainder_z
      - .offset:         104
        .size:           8
        .value_kind:     hidden_global_offset_x
      - .offset:         112
        .size:           8
        .value_kind:     hidden_global_offset_y
      - .offset:         120
        .size:           8
        .value_kind:     hidden_global_offset_z
      - .offset:         128
        .size:           2
        .value_kind:     hidden_grid_dims
      - .offset:         184
        .size:           4
        .value_kind:     hidden_dynamic_lds_size
    .group_segment_fixed_size: 0
    .kernarg_segment_align: 8
    .kernarg_segment_size: 320
    .language:       OpenCL C
    .language_version:
      - 2
      - 0
    .max_flat_workgroup_size: 1024
    .name:           _ZN2at6native12_GLOBAL__N_135GammaBetaBackwardCUDAKernelTemplateIffLj64ELj16ELj256ELb0ELb1ELb1EEEvllPKT_S5_PKT0_S8_PS3_S9_
    .private_segment_fixed_size: 0
    .sgpr_count:     30
    .sgpr_spill_count: 0
    .symbol:         _ZN2at6native12_GLOBAL__N_135GammaBetaBackwardCUDAKernelTemplateIffLj64ELj16ELj256ELb0ELb1ELb1EEEvllPKT_S5_PKT0_S8_PS3_S9_.kd
    .uniform_work_group_size: 1
    .uses_dynamic_stack: false
    .vgpr_count:     72
    .vgpr_spill_count: 0
    .wavefront_size: 64
  - .agpr_count:     0
    .args:
      - .offset:         0
        .size:           8
        .value_kind:     by_value
      - .offset:         8
        .size:           8
        .value_kind:     by_value
      - .actual_access:  read_only
        .address_space:  global
        .offset:         16
        .size:           8
        .value_kind:     global_buffer
      - .actual_access:  read_only
        .address_space:  global
        .offset:         24
        .size:           8
        .value_kind:     global_buffer
      - .actual_access:  read_only
        .address_space:  global
        .offset:         32
        .size:           8
        .value_kind:     global_buffer
      - .actual_access:  read_only
        .address_space:  global
        .offset:         40
        .size:           8
        .value_kind:     global_buffer
      - .actual_access:  write_only
        .address_space:  global
        .offset:         48
        .size:           8
        .value_kind:     global_buffer
      - .actual_access:  read_only
        .address_space:  global
        .offset:         56
        .size:           8
        .value_kind:     global_buffer
      - .offset:         64
        .size:           4
        .value_kind:     hidden_block_count_x
      - .offset:         68
        .size:           4
        .value_kind:     hidden_block_count_y
      - .offset:         72
        .size:           4
        .value_kind:     hidden_block_count_z
      - .offset:         76
        .size:           2
        .value_kind:     hidden_group_size_x
      - .offset:         78
        .size:           2
        .value_kind:     hidden_group_size_y
      - .offset:         80
        .size:           2
        .value_kind:     hidden_group_size_z
      - .offset:         82
        .size:           2
        .value_kind:     hidden_remainder_x
      - .offset:         84
        .size:           2
        .value_kind:     hidden_remainder_y
      - .offset:         86
        .size:           2
        .value_kind:     hidden_remainder_z
      - .offset:         104
        .size:           8
        .value_kind:     hidden_global_offset_x
      - .offset:         112
        .size:           8
        .value_kind:     hidden_global_offset_y
      - .offset:         120
        .size:           8
        .value_kind:     hidden_global_offset_z
      - .offset:         128
        .size:           2
        .value_kind:     hidden_grid_dims
      - .offset:         184
        .size:           4
        .value_kind:     hidden_dynamic_lds_size
    .group_segment_fixed_size: 0
    .kernarg_segment_align: 8
    .kernarg_segment_size: 320
    .language:       OpenCL C
    .language_version:
      - 2
      - 0
    .max_flat_workgroup_size: 1024
    .name:           _ZN2at6native12_GLOBAL__N_135GammaBetaBackwardCUDAKernelTemplateIffLj64ELj16ELj256ELb0ELb0ELb1EEEvllPKT_S5_PKT0_S8_PS3_S9_
    .private_segment_fixed_size: 432
    .sgpr_count:     60
    .sgpr_spill_count: 0
    .symbol:         _ZN2at6native12_GLOBAL__N_135GammaBetaBackwardCUDAKernelTemplateIffLj64ELj16ELj256ELb0ELb0ELb1EEEvllPKT_S5_PKT0_S8_PS3_S9_.kd
    .uniform_work_group_size: 1
    .uses_dynamic_stack: false
    .vgpr_count:     128
    .vgpr_spill_count: 209
    .wavefront_size: 64
  - .agpr_count:     0
    .args:
      - .offset:         0
        .size:           8
        .value_kind:     by_value
      - .offset:         8
        .size:           8
        .value_kind:     by_value
      - .actual_access:  read_only
        .address_space:  global
        .offset:         16
        .size:           8
        .value_kind:     global_buffer
      - .actual_access:  read_only
        .address_space:  global
        .offset:         24
        .size:           8
        .value_kind:     global_buffer
      - .actual_access:  read_only
        .address_space:  global
        .offset:         32
        .size:           8
        .value_kind:     global_buffer
      - .actual_access:  read_only
        .address_space:  global
        .offset:         40
        .size:           8
        .value_kind:     global_buffer
      - .actual_access:  write_only
        .address_space:  global
        .offset:         48
        .size:           8
        .value_kind:     global_buffer
      - .actual_access:  read_only
        .address_space:  global
        .offset:         56
        .size:           8
        .value_kind:     global_buffer
      - .offset:         64
        .size:           4
        .value_kind:     hidden_block_count_x
      - .offset:         68
        .size:           4
        .value_kind:     hidden_block_count_y
      - .offset:         72
        .size:           4
        .value_kind:     hidden_block_count_z
      - .offset:         76
        .size:           2
        .value_kind:     hidden_group_size_x
      - .offset:         78
        .size:           2
        .value_kind:     hidden_group_size_y
      - .offset:         80
        .size:           2
        .value_kind:     hidden_group_size_z
      - .offset:         82
        .size:           2
        .value_kind:     hidden_remainder_x
      - .offset:         84
        .size:           2
        .value_kind:     hidden_remainder_y
      - .offset:         86
        .size:           2
        .value_kind:     hidden_remainder_z
      - .offset:         104
        .size:           8
        .value_kind:     hidden_global_offset_x
      - .offset:         112
        .size:           8
        .value_kind:     hidden_global_offset_y
      - .offset:         120
        .size:           8
        .value_kind:     hidden_global_offset_z
      - .offset:         128
        .size:           2
        .value_kind:     hidden_grid_dims
    .group_segment_fixed_size: 0
    .kernarg_segment_align: 8
    .kernarg_segment_size: 320
    .language:       OpenCL C
    .language_version:
      - 2
      - 0
    .max_flat_workgroup_size: 32
    .name:           _ZN2at6native12_GLOBAL__N_135GammaBetaBackwardCUDAKernelTemplateIffLj32ELj1ELj32ELb1ELb1ELb1EEEvllPKT_S5_PKT0_S8_PS3_S9_
    .private_segment_fixed_size: 0
    .sgpr_count:     36
    .sgpr_spill_count: 0
    .symbol:         _ZN2at6native12_GLOBAL__N_135GammaBetaBackwardCUDAKernelTemplateIffLj32ELj1ELj32ELb1ELb1ELb1EEEvllPKT_S5_PKT0_S8_PS3_S9_.kd
    .uniform_work_group_size: 1
    .uses_dynamic_stack: false
    .vgpr_count:     110
    .vgpr_spill_count: 0
    .wavefront_size: 64
  - .agpr_count:     75
    .args:
      - .offset:         0
        .size:           8
        .value_kind:     by_value
      - .offset:         8
        .size:           8
        .value_kind:     by_value
      - .actual_access:  read_only
        .address_space:  global
        .offset:         16
        .size:           8
        .value_kind:     global_buffer
      - .actual_access:  read_only
        .address_space:  global
        .offset:         24
        .size:           8
        .value_kind:     global_buffer
      - .actual_access:  read_only
        .address_space:  global
        .offset:         32
        .size:           8
        .value_kind:     global_buffer
      - .actual_access:  read_only
        .address_space:  global
        .offset:         40
        .size:           8
        .value_kind:     global_buffer
      - .actual_access:  write_only
        .address_space:  global
        .offset:         48
        .size:           8
        .value_kind:     global_buffer
      - .actual_access:  read_only
        .address_space:  global
        .offset:         56
        .size:           8
        .value_kind:     global_buffer
      - .offset:         64
        .size:           4
        .value_kind:     hidden_block_count_x
      - .offset:         68
        .size:           4
        .value_kind:     hidden_block_count_y
      - .offset:         72
        .size:           4
        .value_kind:     hidden_block_count_z
      - .offset:         76
        .size:           2
        .value_kind:     hidden_group_size_x
      - .offset:         78
        .size:           2
        .value_kind:     hidden_group_size_y
      - .offset:         80
        .size:           2
        .value_kind:     hidden_group_size_z
      - .offset:         82
        .size:           2
        .value_kind:     hidden_remainder_x
      - .offset:         84
        .size:           2
        .value_kind:     hidden_remainder_y
      - .offset:         86
        .size:           2
        .value_kind:     hidden_remainder_z
      - .offset:         104
        .size:           8
        .value_kind:     hidden_global_offset_x
      - .offset:         112
        .size:           8
        .value_kind:     hidden_global_offset_y
      - .offset:         120
        .size:           8
        .value_kind:     hidden_global_offset_z
      - .offset:         128
        .size:           2
        .value_kind:     hidden_grid_dims
    .group_segment_fixed_size: 0
    .kernarg_segment_align: 8
    .kernarg_segment_size: 320
    .language:       OpenCL C
    .language_version:
      - 2
      - 0
    .max_flat_workgroup_size: 32
    .name:           _ZN2at6native12_GLOBAL__N_135GammaBetaBackwardCUDAKernelTemplateIffLj32ELj1ELj32ELb1ELb0ELb1EEEvllPKT_S5_PKT0_S8_PS3_S9_
    .private_segment_fixed_size: 0
    .sgpr_count:     40
    .sgpr_spill_count: 0
    .symbol:         _ZN2at6native12_GLOBAL__N_135GammaBetaBackwardCUDAKernelTemplateIffLj32ELj1ELj32ELb1ELb0ELb1EEEvllPKT_S5_PKT0_S8_PS3_S9_.kd
    .uniform_work_group_size: 1
    .uses_dynamic_stack: false
    .vgpr_count:     331
    .vgpr_spill_count: 2
    .wavefront_size: 64
  - .agpr_count:     0
    .args:
      - .offset:         0
        .size:           8
        .value_kind:     by_value
      - .offset:         8
        .size:           8
        .value_kind:     by_value
      - .actual_access:  read_only
        .address_space:  global
        .offset:         16
        .size:           8
        .value_kind:     global_buffer
      - .actual_access:  read_only
        .address_space:  global
        .offset:         24
        .size:           8
        .value_kind:     global_buffer
      - .actual_access:  read_only
        .address_space:  global
        .offset:         32
        .size:           8
        .value_kind:     global_buffer
      - .actual_access:  read_only
        .address_space:  global
        .offset:         40
        .size:           8
        .value_kind:     global_buffer
      - .actual_access:  write_only
        .address_space:  global
        .offset:         48
        .size:           8
        .value_kind:     global_buffer
      - .actual_access:  read_only
        .address_space:  global
        .offset:         56
        .size:           8
        .value_kind:     global_buffer
      - .offset:         64
        .size:           4
        .value_kind:     hidden_block_count_x
      - .offset:         68
        .size:           4
        .value_kind:     hidden_block_count_y
      - .offset:         72
        .size:           4
        .value_kind:     hidden_block_count_z
      - .offset:         76
        .size:           2
        .value_kind:     hidden_group_size_x
      - .offset:         78
        .size:           2
        .value_kind:     hidden_group_size_y
      - .offset:         80
        .size:           2
        .value_kind:     hidden_group_size_z
      - .offset:         82
        .size:           2
        .value_kind:     hidden_remainder_x
      - .offset:         84
        .size:           2
        .value_kind:     hidden_remainder_y
      - .offset:         86
        .size:           2
        .value_kind:     hidden_remainder_z
      - .offset:         104
        .size:           8
        .value_kind:     hidden_global_offset_x
      - .offset:         112
        .size:           8
        .value_kind:     hidden_global_offset_y
      - .offset:         120
        .size:           8
        .value_kind:     hidden_global_offset_z
      - .offset:         128
        .size:           2
        .value_kind:     hidden_grid_dims
    .group_segment_fixed_size: 0
    .kernarg_segment_align: 8
    .kernarg_segment_size: 320
    .language:       OpenCL C
    .language_version:
      - 2
      - 0
    .max_flat_workgroup_size: 32
    .name:           _ZN2at6native12_GLOBAL__N_135GammaBetaBackwardCUDAKernelTemplateIffLj32ELj1ELj8ELb1ELb1ELb1EEEvllPKT_S5_PKT0_S8_PS3_S9_
    .private_segment_fixed_size: 0
    .sgpr_count:     36
    .sgpr_spill_count: 0
    .symbol:         _ZN2at6native12_GLOBAL__N_135GammaBetaBackwardCUDAKernelTemplateIffLj32ELj1ELj8ELb1ELb1ELb1EEEvllPKT_S5_PKT0_S8_PS3_S9_.kd
    .uniform_work_group_size: 1
    .uses_dynamic_stack: false
    .vgpr_count:     46
    .vgpr_spill_count: 0
    .wavefront_size: 64
  - .agpr_count:     0
    .args:
      - .offset:         0
        .size:           8
        .value_kind:     by_value
      - .offset:         8
        .size:           8
        .value_kind:     by_value
      - .actual_access:  read_only
        .address_space:  global
        .offset:         16
        .size:           8
        .value_kind:     global_buffer
      - .actual_access:  read_only
        .address_space:  global
        .offset:         24
        .size:           8
        .value_kind:     global_buffer
      - .actual_access:  read_only
        .address_space:  global
        .offset:         32
        .size:           8
        .value_kind:     global_buffer
      - .actual_access:  read_only
        .address_space:  global
        .offset:         40
        .size:           8
        .value_kind:     global_buffer
      - .actual_access:  write_only
        .address_space:  global
        .offset:         48
        .size:           8
        .value_kind:     global_buffer
      - .actual_access:  read_only
        .address_space:  global
        .offset:         56
        .size:           8
        .value_kind:     global_buffer
      - .offset:         64
        .size:           4
        .value_kind:     hidden_block_count_x
      - .offset:         68
        .size:           4
        .value_kind:     hidden_block_count_y
      - .offset:         72
        .size:           4
        .value_kind:     hidden_block_count_z
      - .offset:         76
        .size:           2
        .value_kind:     hidden_group_size_x
      - .offset:         78
        .size:           2
        .value_kind:     hidden_group_size_y
      - .offset:         80
        .size:           2
        .value_kind:     hidden_group_size_z
      - .offset:         82
        .size:           2
        .value_kind:     hidden_remainder_x
      - .offset:         84
        .size:           2
        .value_kind:     hidden_remainder_y
      - .offset:         86
        .size:           2
        .value_kind:     hidden_remainder_z
      - .offset:         104
        .size:           8
        .value_kind:     hidden_global_offset_x
      - .offset:         112
        .size:           8
        .value_kind:     hidden_global_offset_y
      - .offset:         120
        .size:           8
        .value_kind:     hidden_global_offset_z
      - .offset:         128
        .size:           2
        .value_kind:     hidden_grid_dims
    .group_segment_fixed_size: 0
    .kernarg_segment_align: 8
    .kernarg_segment_size: 320
    .language:       OpenCL C
    .language_version:
      - 2
      - 0
    .max_flat_workgroup_size: 32
    .name:           _ZN2at6native12_GLOBAL__N_135GammaBetaBackwardCUDAKernelTemplateIffLj32ELj1ELj8ELb1ELb0ELb1EEEvllPKT_S5_PKT0_S8_PS3_S9_
    .private_segment_fixed_size: 0
    .sgpr_count:     48
    .sgpr_spill_count: 0
    .symbol:         _ZN2at6native12_GLOBAL__N_135GammaBetaBackwardCUDAKernelTemplateIffLj32ELj1ELj8ELb1ELb0ELb1EEEvllPKT_S5_PKT0_S8_PS3_S9_.kd
    .uniform_work_group_size: 1
    .uses_dynamic_stack: false
    .vgpr_count:     96
    .vgpr_spill_count: 0
    .wavefront_size: 64
  - .agpr_count:     0
    .args:
      - .offset:         0
        .size:           8
        .value_kind:     by_value
      - .offset:         8
        .size:           8
        .value_kind:     by_value
      - .actual_access:  read_only
        .address_space:  global
        .offset:         16
        .size:           8
        .value_kind:     global_buffer
      - .actual_access:  read_only
        .address_space:  global
        .offset:         24
        .size:           8
        .value_kind:     global_buffer
      - .actual_access:  read_only
        .address_space:  global
        .offset:         32
        .size:           8
        .value_kind:     global_buffer
      - .actual_access:  read_only
        .address_space:  global
        .offset:         40
        .size:           8
        .value_kind:     global_buffer
      - .actual_access:  write_only
        .address_space:  global
        .offset:         48
        .size:           8
        .value_kind:     global_buffer
      - .actual_access:  read_only
        .address_space:  global
        .offset:         56
        .size:           8
        .value_kind:     global_buffer
      - .offset:         64
        .size:           4
        .value_kind:     hidden_block_count_x
      - .offset:         68
        .size:           4
        .value_kind:     hidden_block_count_y
      - .offset:         72
        .size:           4
        .value_kind:     hidden_block_count_z
      - .offset:         76
        .size:           2
        .value_kind:     hidden_group_size_x
      - .offset:         78
        .size:           2
        .value_kind:     hidden_group_size_y
      - .offset:         80
        .size:           2
        .value_kind:     hidden_group_size_z
      - .offset:         82
        .size:           2
        .value_kind:     hidden_remainder_x
      - .offset:         84
        .size:           2
        .value_kind:     hidden_remainder_y
      - .offset:         86
        .size:           2
        .value_kind:     hidden_remainder_z
      - .offset:         104
        .size:           8
        .value_kind:     hidden_global_offset_x
      - .offset:         112
        .size:           8
        .value_kind:     hidden_global_offset_y
      - .offset:         120
        .size:           8
        .value_kind:     hidden_global_offset_z
      - .offset:         128
        .size:           2
        .value_kind:     hidden_grid_dims
      - .offset:         184
        .size:           4
        .value_kind:     hidden_dynamic_lds_size
    .group_segment_fixed_size: 0
    .kernarg_segment_align: 8
    .kernarg_segment_size: 320
    .language:       OpenCL C
    .language_version:
      - 2
      - 0
    .max_flat_workgroup_size: 256
    .name:           _ZN2at6native12_GLOBAL__N_135GammaBetaBackwardCUDAKernelTemplateIffLj32ELj8ELj64ELb0ELb1ELb1EEEvllPKT_S5_PKT0_S8_PS3_S9_
    .private_segment_fixed_size: 0
    .sgpr_count:     30
    .sgpr_spill_count: 0
    .symbol:         _ZN2at6native12_GLOBAL__N_135GammaBetaBackwardCUDAKernelTemplateIffLj32ELj8ELj64ELb0ELb1ELb1EEEvllPKT_S5_PKT0_S8_PS3_S9_.kd
    .uniform_work_group_size: 1
    .uses_dynamic_stack: false
    .vgpr_count:     48
    .vgpr_spill_count: 0
    .wavefront_size: 64
  - .agpr_count:     0
    .args:
      - .offset:         0
        .size:           8
        .value_kind:     by_value
      - .offset:         8
        .size:           8
        .value_kind:     by_value
      - .actual_access:  read_only
        .address_space:  global
        .offset:         16
        .size:           8
        .value_kind:     global_buffer
      - .actual_access:  read_only
        .address_space:  global
        .offset:         24
        .size:           8
        .value_kind:     global_buffer
      - .actual_access:  read_only
        .address_space:  global
        .offset:         32
        .size:           8
        .value_kind:     global_buffer
      - .actual_access:  read_only
        .address_space:  global
        .offset:         40
        .size:           8
        .value_kind:     global_buffer
      - .actual_access:  write_only
        .address_space:  global
        .offset:         48
        .size:           8
        .value_kind:     global_buffer
      - .actual_access:  read_only
        .address_space:  global
        .offset:         56
        .size:           8
        .value_kind:     global_buffer
      - .offset:         64
        .size:           4
        .value_kind:     hidden_block_count_x
      - .offset:         68
        .size:           4
        .value_kind:     hidden_block_count_y
      - .offset:         72
        .size:           4
        .value_kind:     hidden_block_count_z
      - .offset:         76
        .size:           2
        .value_kind:     hidden_group_size_x
      - .offset:         78
        .size:           2
        .value_kind:     hidden_group_size_y
      - .offset:         80
        .size:           2
        .value_kind:     hidden_group_size_z
      - .offset:         82
        .size:           2
        .value_kind:     hidden_remainder_x
      - .offset:         84
        .size:           2
        .value_kind:     hidden_remainder_y
      - .offset:         86
        .size:           2
        .value_kind:     hidden_remainder_z
      - .offset:         104
        .size:           8
        .value_kind:     hidden_global_offset_x
      - .offset:         112
        .size:           8
        .value_kind:     hidden_global_offset_y
      - .offset:         120
        .size:           8
        .value_kind:     hidden_global_offset_z
      - .offset:         128
        .size:           2
        .value_kind:     hidden_grid_dims
      - .offset:         184
        .size:           4
        .value_kind:     hidden_dynamic_lds_size
    .group_segment_fixed_size: 0
    .kernarg_segment_align: 8
    .kernarg_segment_size: 320
    .language:       OpenCL C
    .language_version:
      - 2
      - 0
    .max_flat_workgroup_size: 256
    .name:           _ZN2at6native12_GLOBAL__N_135GammaBetaBackwardCUDAKernelTemplateIffLj32ELj8ELj64ELb0ELb0ELb1EEEvllPKT_S5_PKT0_S8_PS3_S9_
    .private_segment_fixed_size: 0
    .sgpr_count:     46
    .sgpr_spill_count: 0
    .symbol:         _ZN2at6native12_GLOBAL__N_135GammaBetaBackwardCUDAKernelTemplateIffLj32ELj8ELj64ELb0ELb0ELb1EEEvllPKT_S5_PKT0_S8_PS3_S9_.kd
    .uniform_work_group_size: 1
    .uses_dynamic_stack: false
    .vgpr_count:     95
    .vgpr_spill_count: 0
    .wavefront_size: 64
  - .agpr_count:     0
    .args:
      - .offset:         0
        .size:           8
        .value_kind:     by_value
      - .offset:         8
        .size:           8
        .value_kind:     by_value
      - .actual_access:  read_only
        .address_space:  global
        .offset:         16
        .size:           8
        .value_kind:     global_buffer
      - .actual_access:  read_only
        .address_space:  global
        .offset:         24
        .size:           8
        .value_kind:     global_buffer
      - .actual_access:  read_only
        .address_space:  global
        .offset:         32
        .size:           8
        .value_kind:     global_buffer
      - .actual_access:  read_only
        .address_space:  global
        .offset:         40
        .size:           8
        .value_kind:     global_buffer
      - .actual_access:  write_only
        .address_space:  global
        .offset:         48
        .size:           8
        .value_kind:     global_buffer
      - .actual_access:  read_only
        .address_space:  global
        .offset:         56
        .size:           8
        .value_kind:     global_buffer
      - .offset:         64
        .size:           4
        .value_kind:     hidden_block_count_x
      - .offset:         68
        .size:           4
        .value_kind:     hidden_block_count_y
      - .offset:         72
        .size:           4
        .value_kind:     hidden_block_count_z
      - .offset:         76
        .size:           2
        .value_kind:     hidden_group_size_x
      - .offset:         78
        .size:           2
        .value_kind:     hidden_group_size_y
      - .offset:         80
        .size:           2
        .value_kind:     hidden_group_size_z
      - .offset:         82
        .size:           2
        .value_kind:     hidden_remainder_x
      - .offset:         84
        .size:           2
        .value_kind:     hidden_remainder_y
      - .offset:         86
        .size:           2
        .value_kind:     hidden_remainder_z
      - .offset:         104
        .size:           8
        .value_kind:     hidden_global_offset_x
      - .offset:         112
        .size:           8
        .value_kind:     hidden_global_offset_y
      - .offset:         120
        .size:           8
        .value_kind:     hidden_global_offset_z
      - .offset:         128
        .size:           2
        .value_kind:     hidden_grid_dims
      - .offset:         184
        .size:           4
        .value_kind:     hidden_dynamic_lds_size
    .group_segment_fixed_size: 0
    .kernarg_segment_align: 8
    .kernarg_segment_size: 320
    .language:       OpenCL C
    .language_version:
      - 2
      - 0
    .max_flat_workgroup_size: 512
    .name:           _ZN2at6native12_GLOBAL__N_135GammaBetaBackwardCUDAKernelTemplateIffLj32ELj16ELj128ELb0ELb1ELb1EEEvllPKT_S5_PKT0_S8_PS3_S9_
    .private_segment_fixed_size: 0
    .sgpr_count:     30
    .sgpr_spill_count: 0
    .symbol:         _ZN2at6native12_GLOBAL__N_135GammaBetaBackwardCUDAKernelTemplateIffLj32ELj16ELj128ELb0ELb1ELb1EEEvllPKT_S5_PKT0_S8_PS3_S9_.kd
    .uniform_work_group_size: 1
    .uses_dynamic_stack: false
    .vgpr_count:     48
    .vgpr_spill_count: 0
    .wavefront_size: 64
  - .agpr_count:     0
    .args:
      - .offset:         0
        .size:           8
        .value_kind:     by_value
      - .offset:         8
        .size:           8
        .value_kind:     by_value
      - .actual_access:  read_only
        .address_space:  global
        .offset:         16
        .size:           8
        .value_kind:     global_buffer
      - .actual_access:  read_only
        .address_space:  global
        .offset:         24
        .size:           8
        .value_kind:     global_buffer
      - .actual_access:  read_only
        .address_space:  global
        .offset:         32
        .size:           8
        .value_kind:     global_buffer
      - .actual_access:  read_only
        .address_space:  global
        .offset:         40
        .size:           8
        .value_kind:     global_buffer
      - .actual_access:  write_only
        .address_space:  global
        .offset:         48
        .size:           8
        .value_kind:     global_buffer
      - .actual_access:  read_only
        .address_space:  global
        .offset:         56
        .size:           8
        .value_kind:     global_buffer
      - .offset:         64
        .size:           4
        .value_kind:     hidden_block_count_x
      - .offset:         68
        .size:           4
        .value_kind:     hidden_block_count_y
      - .offset:         72
        .size:           4
        .value_kind:     hidden_block_count_z
      - .offset:         76
        .size:           2
        .value_kind:     hidden_group_size_x
      - .offset:         78
        .size:           2
        .value_kind:     hidden_group_size_y
      - .offset:         80
        .size:           2
        .value_kind:     hidden_group_size_z
      - .offset:         82
        .size:           2
        .value_kind:     hidden_remainder_x
      - .offset:         84
        .size:           2
        .value_kind:     hidden_remainder_y
      - .offset:         86
        .size:           2
        .value_kind:     hidden_remainder_z
      - .offset:         104
        .size:           8
        .value_kind:     hidden_global_offset_x
      - .offset:         112
        .size:           8
        .value_kind:     hidden_global_offset_y
      - .offset:         120
        .size:           8
        .value_kind:     hidden_global_offset_z
      - .offset:         128
        .size:           2
        .value_kind:     hidden_grid_dims
      - .offset:         184
        .size:           4
        .value_kind:     hidden_dynamic_lds_size
    .group_segment_fixed_size: 0
    .kernarg_segment_align: 8
    .kernarg_segment_size: 320
    .language:       OpenCL C
    .language_version:
      - 2
      - 0
    .max_flat_workgroup_size: 512
    .name:           _ZN2at6native12_GLOBAL__N_135GammaBetaBackwardCUDAKernelTemplateIffLj32ELj16ELj128ELb0ELb0ELb1EEEvllPKT_S5_PKT0_S8_PS3_S9_
    .private_segment_fixed_size: 0
    .sgpr_count:     46
    .sgpr_spill_count: 0
    .symbol:         _ZN2at6native12_GLOBAL__N_135GammaBetaBackwardCUDAKernelTemplateIffLj32ELj16ELj128ELb0ELb0ELb1EEEvllPKT_S5_PKT0_S8_PS3_S9_.kd
    .uniform_work_group_size: 1
    .uses_dynamic_stack: false
    .vgpr_count:     95
    .vgpr_spill_count: 0
    .wavefront_size: 64
  - .agpr_count:     0
    .args:
      - .offset:         0
        .size:           8
        .value_kind:     by_value
      - .offset:         8
        .size:           8
        .value_kind:     by_value
      - .actual_access:  read_only
        .address_space:  global
        .offset:         16
        .size:           8
        .value_kind:     global_buffer
      - .actual_access:  read_only
        .address_space:  global
        .offset:         24
        .size:           8
        .value_kind:     global_buffer
      - .actual_access:  read_only
        .address_space:  global
        .offset:         32
        .size:           8
        .value_kind:     global_buffer
      - .actual_access:  read_only
        .address_space:  global
        .offset:         40
        .size:           8
        .value_kind:     global_buffer
      - .actual_access:  write_only
        .address_space:  global
        .offset:         48
        .size:           8
        .value_kind:     global_buffer
      - .actual_access:  read_only
        .address_space:  global
        .offset:         56
        .size:           8
        .value_kind:     global_buffer
      - .offset:         64
        .size:           4
        .value_kind:     hidden_block_count_x
      - .offset:         68
        .size:           4
        .value_kind:     hidden_block_count_y
      - .offset:         72
        .size:           4
        .value_kind:     hidden_block_count_z
      - .offset:         76
        .size:           2
        .value_kind:     hidden_group_size_x
      - .offset:         78
        .size:           2
        .value_kind:     hidden_group_size_y
      - .offset:         80
        .size:           2
        .value_kind:     hidden_group_size_z
      - .offset:         82
        .size:           2
        .value_kind:     hidden_remainder_x
      - .offset:         84
        .size:           2
        .value_kind:     hidden_remainder_y
      - .offset:         86
        .size:           2
        .value_kind:     hidden_remainder_z
      - .offset:         104
        .size:           8
        .value_kind:     hidden_global_offset_x
      - .offset:         112
        .size:           8
        .value_kind:     hidden_global_offset_y
      - .offset:         120
        .size:           8
        .value_kind:     hidden_global_offset_z
      - .offset:         128
        .size:           2
        .value_kind:     hidden_grid_dims
      - .offset:         184
        .size:           4
        .value_kind:     hidden_dynamic_lds_size
    .group_segment_fixed_size: 0
    .kernarg_segment_align: 8
    .kernarg_segment_size: 320
    .language:       OpenCL C
    .language_version:
      - 2
      - 0
    .max_flat_workgroup_size: 1024
    .name:           _ZN2at6native12_GLOBAL__N_135GammaBetaBackwardCUDAKernelTemplateIffLj32ELj32ELj256ELb0ELb1ELb1EEEvllPKT_S5_PKT0_S8_PS3_S9_
    .private_segment_fixed_size: 0
    .sgpr_count:     30
    .sgpr_spill_count: 0
    .symbol:         _ZN2at6native12_GLOBAL__N_135GammaBetaBackwardCUDAKernelTemplateIffLj32ELj32ELj256ELb0ELb1ELb1EEEvllPKT_S5_PKT0_S8_PS3_S9_.kd
    .uniform_work_group_size: 1
    .uses_dynamic_stack: false
    .vgpr_count:     48
    .vgpr_spill_count: 0
    .wavefront_size: 64
  - .agpr_count:     0
    .args:
      - .offset:         0
        .size:           8
        .value_kind:     by_value
      - .offset:         8
        .size:           8
        .value_kind:     by_value
      - .actual_access:  read_only
        .address_space:  global
        .offset:         16
        .size:           8
        .value_kind:     global_buffer
      - .actual_access:  read_only
        .address_space:  global
        .offset:         24
        .size:           8
        .value_kind:     global_buffer
      - .actual_access:  read_only
        .address_space:  global
        .offset:         32
        .size:           8
        .value_kind:     global_buffer
      - .actual_access:  read_only
        .address_space:  global
        .offset:         40
        .size:           8
        .value_kind:     global_buffer
      - .actual_access:  write_only
        .address_space:  global
        .offset:         48
        .size:           8
        .value_kind:     global_buffer
      - .actual_access:  read_only
        .address_space:  global
        .offset:         56
        .size:           8
        .value_kind:     global_buffer
      - .offset:         64
        .size:           4
        .value_kind:     hidden_block_count_x
      - .offset:         68
        .size:           4
        .value_kind:     hidden_block_count_y
      - .offset:         72
        .size:           4
        .value_kind:     hidden_block_count_z
      - .offset:         76
        .size:           2
        .value_kind:     hidden_group_size_x
      - .offset:         78
        .size:           2
        .value_kind:     hidden_group_size_y
      - .offset:         80
        .size:           2
        .value_kind:     hidden_group_size_z
      - .offset:         82
        .size:           2
        .value_kind:     hidden_remainder_x
      - .offset:         84
        .size:           2
        .value_kind:     hidden_remainder_y
      - .offset:         86
        .size:           2
        .value_kind:     hidden_remainder_z
      - .offset:         104
        .size:           8
        .value_kind:     hidden_global_offset_x
      - .offset:         112
        .size:           8
        .value_kind:     hidden_global_offset_y
      - .offset:         120
        .size:           8
        .value_kind:     hidden_global_offset_z
      - .offset:         128
        .size:           2
        .value_kind:     hidden_grid_dims
      - .offset:         184
        .size:           4
        .value_kind:     hidden_dynamic_lds_size
    .group_segment_fixed_size: 0
    .kernarg_segment_align: 8
    .kernarg_segment_size: 320
    .language:       OpenCL C
    .language_version:
      - 2
      - 0
    .max_flat_workgroup_size: 1024
    .name:           _ZN2at6native12_GLOBAL__N_135GammaBetaBackwardCUDAKernelTemplateIffLj32ELj32ELj256ELb0ELb0ELb1EEEvllPKT_S5_PKT0_S8_PS3_S9_
    .private_segment_fixed_size: 0
    .sgpr_count:     46
    .sgpr_spill_count: 0
    .symbol:         _ZN2at6native12_GLOBAL__N_135GammaBetaBackwardCUDAKernelTemplateIffLj32ELj32ELj256ELb0ELb0ELb1EEEvllPKT_S5_PKT0_S8_PS3_S9_.kd
    .uniform_work_group_size: 1
    .uses_dynamic_stack: false
    .vgpr_count:     95
    .vgpr_spill_count: 0
    .wavefront_size: 64
  - .agpr_count:     0
    .args:
      - .actual_access:  read_only
        .address_space:  global
        .offset:         0
        .size:           8
        .value_kind:     global_buffer
      - .actual_access:  read_only
        .address_space:  global
        .offset:         8
        .size:           8
        .value_kind:     global_buffer
      - .offset:         16
        .size:           8
        .value_kind:     by_value
      - .offset:         24
        .size:           8
        .value_kind:     by_value
      - .actual_access:  read_only
        .address_space:  global
        .offset:         32
        .size:           8
        .value_kind:     global_buffer
      - .actual_access:  read_only
        .address_space:  global
        .offset:         40
        .size:           8
        .value_kind:     global_buffer
      - .address_space:  global
        .offset:         48
        .size:           8
        .value_kind:     global_buffer
      - .address_space:  global
        .offset:         56
        .size:           8
        .value_kind:     global_buffer
      - .offset:         64
        .size:           4
        .value_kind:     hidden_block_count_x
      - .offset:         68
        .size:           4
        .value_kind:     hidden_block_count_y
      - .offset:         72
        .size:           4
        .value_kind:     hidden_block_count_z
      - .offset:         76
        .size:           2
        .value_kind:     hidden_group_size_x
      - .offset:         78
        .size:           2
        .value_kind:     hidden_group_size_y
      - .offset:         80
        .size:           2
        .value_kind:     hidden_group_size_z
      - .offset:         82
        .size:           2
        .value_kind:     hidden_remainder_x
      - .offset:         84
        .size:           2
        .value_kind:     hidden_remainder_y
      - .offset:         86
        .size:           2
        .value_kind:     hidden_remainder_z
      - .offset:         104
        .size:           8
        .value_kind:     hidden_global_offset_x
      - .offset:         112
        .size:           8
        .value_kind:     hidden_global_offset_y
      - .offset:         120
        .size:           8
        .value_kind:     hidden_global_offset_z
      - .offset:         128
        .size:           2
        .value_kind:     hidden_grid_dims
      - .offset:         184
        .size:           4
        .value_kind:     hidden_dynamic_lds_size
    .group_segment_fixed_size: 0
    .kernarg_segment_align: 8
    .kernarg_segment_size: 320
    .language:       OpenCL C
    .language_version:
      - 2
      - 0
    .max_flat_workgroup_size: 1024
    .name:           _ZN2at6native12_GLOBAL__N_118cuComputeGradInputIN3c104HalfEfLb1EEEvPKT_S7_llPKT0_SA_S7_PS5_
    .private_segment_fixed_size: 0
    .sgpr_count:     52
    .sgpr_spill_count: 0
    .symbol:         _ZN2at6native12_GLOBAL__N_118cuComputeGradInputIN3c104HalfEfLb1EEEvPKT_S7_llPKT0_SA_S7_PS5_.kd
    .uniform_work_group_size: 1
    .uses_dynamic_stack: false
    .vgpr_count:     29
    .vgpr_spill_count: 0
    .wavefront_size: 64
  - .agpr_count:     0
    .args:
      - .actual_access:  read_only
        .address_space:  global
        .offset:         0
        .size:           8
        .value_kind:     global_buffer
      - .actual_access:  read_only
        .address_space:  global
        .offset:         8
        .size:           8
        .value_kind:     global_buffer
      - .actual_access:  read_only
        .address_space:  global
        .offset:         16
        .size:           8
        .value_kind:     global_buffer
      - .actual_access:  read_only
        .address_space:  global
        .offset:         24
        .size:           8
        .value_kind:     global_buffer
      - .actual_access:  read_only
        .address_space:  global
        .offset:         32
        .size:           8
        .value_kind:     global_buffer
      - .address_space:  global
        .offset:         40
        .size:           8
        .value_kind:     global_buffer
      - .offset:         48
        .size:           4
        .value_kind:     by_value
      - .offset:         56
        .size:           4
        .value_kind:     hidden_block_count_x
      - .offset:         60
        .size:           4
        .value_kind:     hidden_block_count_y
      - .offset:         64
        .size:           4
        .value_kind:     hidden_block_count_z
      - .offset:         68
        .size:           2
        .value_kind:     hidden_group_size_x
      - .offset:         70
        .size:           2
        .value_kind:     hidden_group_size_y
      - .offset:         72
        .size:           2
        .value_kind:     hidden_group_size_z
      - .offset:         74
        .size:           2
        .value_kind:     hidden_remainder_x
      - .offset:         76
        .size:           2
        .value_kind:     hidden_remainder_y
      - .offset:         78
        .size:           2
        .value_kind:     hidden_remainder_z
      - .offset:         96
        .size:           8
        .value_kind:     hidden_global_offset_x
      - .offset:         104
        .size:           8
        .value_kind:     hidden_global_offset_y
      - .offset:         112
        .size:           8
        .value_kind:     hidden_global_offset_z
      - .offset:         120
        .size:           2
        .value_kind:     hidden_grid_dims
      - .offset:         176
        .size:           4
        .value_kind:     hidden_dynamic_lds_size
    .group_segment_fixed_size: 0
    .kernarg_segment_align: 8
    .kernarg_segment_size: 312
    .language:       OpenCL C
    .language_version:
      - 2
      - 0
    .max_flat_workgroup_size: 1024
    .name:           _ZN2at6native12_GLOBAL__N_128layer_norm_grad_input_kernelIN3c104HalfEfLb1EEEvPKT_S7_PKT0_SA_S7_PS5_i
    .private_segment_fixed_size: 0
    .sgpr_count:     35
    .sgpr_spill_count: 0
    .symbol:         _ZN2at6native12_GLOBAL__N_128layer_norm_grad_input_kernelIN3c104HalfEfLb1EEEvPKT_S7_PKT0_SA_S7_PS5_i.kd
    .uniform_work_group_size: 1
    .uses_dynamic_stack: false
    .vgpr_count:     22
    .vgpr_spill_count: 0
    .wavefront_size: 64
  - .agpr_count:     0
    .args:
      - .offset:         0
        .size:           8
        .value_kind:     by_value
      - .offset:         8
        .size:           8
        .value_kind:     by_value
      - .address_space:  global
        .offset:         16
        .size:           8
        .value_kind:     global_buffer
      - .address_space:  global
        .offset:         24
        .size:           8
        .value_kind:     global_buffer
      - .address_space:  global
        .offset:         32
        .size:           8
        .value_kind:     global_buffer
      - .address_space:  global
        .offset:         40
        .size:           8
        .value_kind:     global_buffer
      - .address_space:  global
        .offset:         48
        .size:           8
        .value_kind:     global_buffer
      - .address_space:  global
        .offset:         56
        .size:           8
        .value_kind:     global_buffer
      - .offset:         64
        .size:           4
        .value_kind:     hidden_block_count_x
      - .offset:         68
        .size:           4
        .value_kind:     hidden_block_count_y
      - .offset:         72
        .size:           4
        .value_kind:     hidden_block_count_z
      - .offset:         76
        .size:           2
        .value_kind:     hidden_group_size_x
      - .offset:         78
        .size:           2
        .value_kind:     hidden_group_size_y
      - .offset:         80
        .size:           2
        .value_kind:     hidden_group_size_z
      - .offset:         82
        .size:           2
        .value_kind:     hidden_remainder_x
      - .offset:         84
        .size:           2
        .value_kind:     hidden_remainder_y
      - .offset:         86
        .size:           2
        .value_kind:     hidden_remainder_z
      - .offset:         104
        .size:           8
        .value_kind:     hidden_global_offset_x
      - .offset:         112
        .size:           8
        .value_kind:     hidden_global_offset_y
      - .offset:         120
        .size:           8
        .value_kind:     hidden_global_offset_z
      - .offset:         128
        .size:           2
        .value_kind:     hidden_grid_dims
    .group_segment_fixed_size: 0
    .kernarg_segment_align: 8
    .kernarg_segment_size: 320
    .language:       OpenCL C
    .language_version:
      - 2
      - 0
    .max_flat_workgroup_size: 1024
    .name:           _ZN2at6native12_GLOBAL__N_133GammaBetaBackwardSimpleCUDAKernelIN3c104HalfEfLb1EEEvllPKT_S7_PKT0_SA_PS5_SB_
    .private_segment_fixed_size: 0
    .sgpr_count:     20
    .sgpr_spill_count: 0
    .symbol:         _ZN2at6native12_GLOBAL__N_133GammaBetaBackwardSimpleCUDAKernelIN3c104HalfEfLb1EEEvllPKT_S7_PKT0_SA_PS5_SB_.kd
    .uniform_work_group_size: 1
    .uses_dynamic_stack: false
    .vgpr_count:     9
    .vgpr_spill_count: 0
    .wavefront_size: 64
  - .agpr_count:     0
    .args:
      - .offset:         0
        .size:           8
        .value_kind:     by_value
      - .offset:         8
        .size:           8
        .value_kind:     by_value
      - .actual_access:  read_only
        .address_space:  global
        .offset:         16
        .size:           8
        .value_kind:     global_buffer
      - .actual_access:  read_only
        .address_space:  global
        .offset:         24
        .size:           8
        .value_kind:     global_buffer
      - .actual_access:  read_only
        .address_space:  global
        .offset:         32
        .size:           8
        .value_kind:     global_buffer
      - .actual_access:  read_only
        .address_space:  global
        .offset:         40
        .size:           8
        .value_kind:     global_buffer
      - .actual_access:  write_only
        .address_space:  global
        .offset:         48
        .size:           8
        .value_kind:     global_buffer
      - .actual_access:  read_only
        .address_space:  global
        .offset:         56
        .size:           8
        .value_kind:     global_buffer
      - .offset:         64
        .size:           4
        .value_kind:     hidden_block_count_x
      - .offset:         68
        .size:           4
        .value_kind:     hidden_block_count_y
      - .offset:         72
        .size:           4
        .value_kind:     hidden_block_count_z
      - .offset:         76
        .size:           2
        .value_kind:     hidden_group_size_x
      - .offset:         78
        .size:           2
        .value_kind:     hidden_group_size_y
      - .offset:         80
        .size:           2
        .value_kind:     hidden_group_size_z
      - .offset:         82
        .size:           2
        .value_kind:     hidden_remainder_x
      - .offset:         84
        .size:           2
        .value_kind:     hidden_remainder_y
      - .offset:         86
        .size:           2
        .value_kind:     hidden_remainder_z
      - .offset:         104
        .size:           8
        .value_kind:     hidden_global_offset_x
      - .offset:         112
        .size:           8
        .value_kind:     hidden_global_offset_y
      - .offset:         120
        .size:           8
        .value_kind:     hidden_global_offset_z
      - .offset:         128
        .size:           2
        .value_kind:     hidden_grid_dims
    .group_segment_fixed_size: 0
    .kernarg_segment_align: 8
    .kernarg_segment_size: 320
    .language:       OpenCL C
    .language_version:
      - 2
      - 0
    .max_flat_workgroup_size: 64
    .name:           _ZN2at6native12_GLOBAL__N_135GammaBetaBackwardCUDAKernelTemplateIN3c104HalfEfLj64ELj1ELj32ELb1ELb1ELb1EEEvllPKT_S7_PKT0_SA_PS5_SB_
    .private_segment_fixed_size: 0
    .sgpr_count:     36
    .sgpr_spill_count: 0
    .symbol:         _ZN2at6native12_GLOBAL__N_135GammaBetaBackwardCUDAKernelTemplateIN3c104HalfEfLj64ELj1ELj32ELb1ELb1ELb1EEEvllPKT_S7_PKT0_SA_PS5_SB_.kd
    .uniform_work_group_size: 1
    .uses_dynamic_stack: false
    .vgpr_count:     64
    .vgpr_spill_count: 0
    .wavefront_size: 64
  - .agpr_count:     76
    .args:
      - .offset:         0
        .size:           8
        .value_kind:     by_value
      - .offset:         8
        .size:           8
        .value_kind:     by_value
      - .actual_access:  read_only
        .address_space:  global
        .offset:         16
        .size:           8
        .value_kind:     global_buffer
      - .actual_access:  read_only
        .address_space:  global
        .offset:         24
        .size:           8
        .value_kind:     global_buffer
      - .actual_access:  read_only
        .address_space:  global
        .offset:         32
        .size:           8
        .value_kind:     global_buffer
      - .actual_access:  read_only
        .address_space:  global
        .offset:         40
        .size:           8
        .value_kind:     global_buffer
      - .actual_access:  write_only
        .address_space:  global
        .offset:         48
        .size:           8
        .value_kind:     global_buffer
      - .actual_access:  read_only
        .address_space:  global
        .offset:         56
        .size:           8
        .value_kind:     global_buffer
      - .offset:         64
        .size:           4
        .value_kind:     hidden_block_count_x
      - .offset:         68
        .size:           4
        .value_kind:     hidden_block_count_y
      - .offset:         72
        .size:           4
        .value_kind:     hidden_block_count_z
      - .offset:         76
        .size:           2
        .value_kind:     hidden_group_size_x
      - .offset:         78
        .size:           2
        .value_kind:     hidden_group_size_y
      - .offset:         80
        .size:           2
        .value_kind:     hidden_group_size_z
      - .offset:         82
        .size:           2
        .value_kind:     hidden_remainder_x
      - .offset:         84
        .size:           2
        .value_kind:     hidden_remainder_y
      - .offset:         86
        .size:           2
        .value_kind:     hidden_remainder_z
      - .offset:         104
        .size:           8
        .value_kind:     hidden_global_offset_x
      - .offset:         112
        .size:           8
        .value_kind:     hidden_global_offset_y
      - .offset:         120
        .size:           8
        .value_kind:     hidden_global_offset_z
      - .offset:         128
        .size:           2
        .value_kind:     hidden_grid_dims
    .group_segment_fixed_size: 0
    .kernarg_segment_align: 8
    .kernarg_segment_size: 320
    .language:       OpenCL C
    .language_version:
      - 2
      - 0
    .max_flat_workgroup_size: 64
    .name:           _ZN2at6native12_GLOBAL__N_135GammaBetaBackwardCUDAKernelTemplateIN3c104HalfEfLj64ELj1ELj32ELb1ELb0ELb1EEEvllPKT_S7_PKT0_SA_PS5_SB_
    .private_segment_fixed_size: 0
    .sgpr_count:     40
    .sgpr_spill_count: 0
    .symbol:         _ZN2at6native12_GLOBAL__N_135GammaBetaBackwardCUDAKernelTemplateIN3c104HalfEfLj64ELj1ELj32ELb1ELb0ELb1EEEvllPKT_S7_PKT0_SA_PS5_SB_.kd
    .uniform_work_group_size: 1
    .uses_dynamic_stack: false
    .vgpr_count:     332
    .vgpr_spill_count: 0
    .wavefront_size: 64
  - .agpr_count:     0
    .args:
      - .offset:         0
        .size:           8
        .value_kind:     by_value
      - .offset:         8
        .size:           8
        .value_kind:     by_value
      - .actual_access:  read_only
        .address_space:  global
        .offset:         16
        .size:           8
        .value_kind:     global_buffer
      - .actual_access:  read_only
        .address_space:  global
        .offset:         24
        .size:           8
        .value_kind:     global_buffer
      - .actual_access:  read_only
        .address_space:  global
        .offset:         32
        .size:           8
        .value_kind:     global_buffer
      - .actual_access:  read_only
        .address_space:  global
        .offset:         40
        .size:           8
        .value_kind:     global_buffer
      - .actual_access:  write_only
        .address_space:  global
        .offset:         48
        .size:           8
        .value_kind:     global_buffer
      - .actual_access:  read_only
        .address_space:  global
        .offset:         56
        .size:           8
        .value_kind:     global_buffer
      - .offset:         64
        .size:           4
        .value_kind:     hidden_block_count_x
      - .offset:         68
        .size:           4
        .value_kind:     hidden_block_count_y
      - .offset:         72
        .size:           4
        .value_kind:     hidden_block_count_z
      - .offset:         76
        .size:           2
        .value_kind:     hidden_group_size_x
      - .offset:         78
        .size:           2
        .value_kind:     hidden_group_size_y
      - .offset:         80
        .size:           2
        .value_kind:     hidden_group_size_z
      - .offset:         82
        .size:           2
        .value_kind:     hidden_remainder_x
      - .offset:         84
        .size:           2
        .value_kind:     hidden_remainder_y
      - .offset:         86
        .size:           2
        .value_kind:     hidden_remainder_z
      - .offset:         104
        .size:           8
        .value_kind:     hidden_global_offset_x
      - .offset:         112
        .size:           8
        .value_kind:     hidden_global_offset_y
      - .offset:         120
        .size:           8
        .value_kind:     hidden_global_offset_z
      - .offset:         128
        .size:           2
        .value_kind:     hidden_grid_dims
    .group_segment_fixed_size: 0
    .kernarg_segment_align: 8
    .kernarg_segment_size: 320
    .language:       OpenCL C
    .language_version:
      - 2
      - 0
    .max_flat_workgroup_size: 64
    .name:           _ZN2at6native12_GLOBAL__N_135GammaBetaBackwardCUDAKernelTemplateIN3c104HalfEfLj64ELj1ELj8ELb1ELb1ELb1EEEvllPKT_S7_PKT0_SA_PS5_SB_
    .private_segment_fixed_size: 0
    .sgpr_count:     36
    .sgpr_spill_count: 0
    .symbol:         _ZN2at6native12_GLOBAL__N_135GammaBetaBackwardCUDAKernelTemplateIN3c104HalfEfLj64ELj1ELj8ELb1ELb1ELb1EEEvllPKT_S7_PKT0_SA_PS5_SB_.kd
    .uniform_work_group_size: 1
    .uses_dynamic_stack: false
    .vgpr_count:     45
    .vgpr_spill_count: 0
    .wavefront_size: 64
  - .agpr_count:     0
    .args:
      - .offset:         0
        .size:           8
        .value_kind:     by_value
      - .offset:         8
        .size:           8
        .value_kind:     by_value
      - .actual_access:  read_only
        .address_space:  global
        .offset:         16
        .size:           8
        .value_kind:     global_buffer
      - .actual_access:  read_only
        .address_space:  global
        .offset:         24
        .size:           8
        .value_kind:     global_buffer
      - .actual_access:  read_only
        .address_space:  global
        .offset:         32
        .size:           8
        .value_kind:     global_buffer
      - .actual_access:  read_only
        .address_space:  global
        .offset:         40
        .size:           8
        .value_kind:     global_buffer
      - .actual_access:  write_only
        .address_space:  global
        .offset:         48
        .size:           8
        .value_kind:     global_buffer
      - .actual_access:  read_only
        .address_space:  global
        .offset:         56
        .size:           8
        .value_kind:     global_buffer
      - .offset:         64
        .size:           4
        .value_kind:     hidden_block_count_x
      - .offset:         68
        .size:           4
        .value_kind:     hidden_block_count_y
      - .offset:         72
        .size:           4
        .value_kind:     hidden_block_count_z
      - .offset:         76
        .size:           2
        .value_kind:     hidden_group_size_x
      - .offset:         78
        .size:           2
        .value_kind:     hidden_group_size_y
      - .offset:         80
        .size:           2
        .value_kind:     hidden_group_size_z
      - .offset:         82
        .size:           2
        .value_kind:     hidden_remainder_x
      - .offset:         84
        .size:           2
        .value_kind:     hidden_remainder_y
      - .offset:         86
        .size:           2
        .value_kind:     hidden_remainder_z
      - .offset:         104
        .size:           8
        .value_kind:     hidden_global_offset_x
      - .offset:         112
        .size:           8
        .value_kind:     hidden_global_offset_y
      - .offset:         120
        .size:           8
        .value_kind:     hidden_global_offset_z
      - .offset:         128
        .size:           2
        .value_kind:     hidden_grid_dims
    .group_segment_fixed_size: 0
    .kernarg_segment_align: 8
    .kernarg_segment_size: 320
    .language:       OpenCL C
    .language_version:
      - 2
      - 0
    .max_flat_workgroup_size: 64
    .name:           _ZN2at6native12_GLOBAL__N_135GammaBetaBackwardCUDAKernelTemplateIN3c104HalfEfLj64ELj1ELj8ELb1ELb0ELb1EEEvllPKT_S7_PKT0_SA_PS5_SB_
    .private_segment_fixed_size: 0
    .sgpr_count:     48
    .sgpr_spill_count: 0
    .symbol:         _ZN2at6native12_GLOBAL__N_135GammaBetaBackwardCUDAKernelTemplateIN3c104HalfEfLj64ELj1ELj8ELb1ELb0ELb1EEEvllPKT_S7_PKT0_SA_PS5_SB_.kd
    .uniform_work_group_size: 1
    .uses_dynamic_stack: false
    .vgpr_count:     96
    .vgpr_spill_count: 0
    .wavefront_size: 64
  - .agpr_count:     0
    .args:
      - .offset:         0
        .size:           8
        .value_kind:     by_value
      - .offset:         8
        .size:           8
        .value_kind:     by_value
      - .actual_access:  read_only
        .address_space:  global
        .offset:         16
        .size:           8
        .value_kind:     global_buffer
      - .actual_access:  read_only
        .address_space:  global
        .offset:         24
        .size:           8
        .value_kind:     global_buffer
      - .actual_access:  read_only
        .address_space:  global
        .offset:         32
        .size:           8
        .value_kind:     global_buffer
      - .actual_access:  read_only
        .address_space:  global
        .offset:         40
        .size:           8
        .value_kind:     global_buffer
      - .actual_access:  write_only
        .address_space:  global
        .offset:         48
        .size:           8
        .value_kind:     global_buffer
      - .actual_access:  read_only
        .address_space:  global
        .offset:         56
        .size:           8
        .value_kind:     global_buffer
      - .offset:         64
        .size:           4
        .value_kind:     hidden_block_count_x
      - .offset:         68
        .size:           4
        .value_kind:     hidden_block_count_y
      - .offset:         72
        .size:           4
        .value_kind:     hidden_block_count_z
      - .offset:         76
        .size:           2
        .value_kind:     hidden_group_size_x
      - .offset:         78
        .size:           2
        .value_kind:     hidden_group_size_y
      - .offset:         80
        .size:           2
        .value_kind:     hidden_group_size_z
      - .offset:         82
        .size:           2
        .value_kind:     hidden_remainder_x
      - .offset:         84
        .size:           2
        .value_kind:     hidden_remainder_y
      - .offset:         86
        .size:           2
        .value_kind:     hidden_remainder_z
      - .offset:         104
        .size:           8
        .value_kind:     hidden_global_offset_x
      - .offset:         112
        .size:           8
        .value_kind:     hidden_global_offset_y
      - .offset:         120
        .size:           8
        .value_kind:     hidden_global_offset_z
      - .offset:         128
        .size:           2
        .value_kind:     hidden_grid_dims
      - .offset:         184
        .size:           4
        .value_kind:     hidden_dynamic_lds_size
    .group_segment_fixed_size: 0
    .kernarg_segment_align: 8
    .kernarg_segment_size: 320
    .language:       OpenCL C
    .language_version:
      - 2
      - 0
    .max_flat_workgroup_size: 512
    .name:           _ZN2at6native12_GLOBAL__N_135GammaBetaBackwardCUDAKernelTemplateIN3c104HalfEfLj64ELj8ELj64ELb0ELb1ELb1EEEvllPKT_S7_PKT0_SA_PS5_SB_
    .private_segment_fixed_size: 0
    .sgpr_count:     30
    .sgpr_spill_count: 0
    .symbol:         _ZN2at6native12_GLOBAL__N_135GammaBetaBackwardCUDAKernelTemplateIN3c104HalfEfLj64ELj8ELj64ELb0ELb1ELb1EEEvllPKT_S7_PKT0_SA_PS5_SB_.kd
    .uniform_work_group_size: 1
    .uses_dynamic_stack: false
    .vgpr_count:     46
    .vgpr_spill_count: 0
    .wavefront_size: 64
  - .agpr_count:     0
    .args:
      - .offset:         0
        .size:           8
        .value_kind:     by_value
      - .offset:         8
        .size:           8
        .value_kind:     by_value
      - .actual_access:  read_only
        .address_space:  global
        .offset:         16
        .size:           8
        .value_kind:     global_buffer
      - .actual_access:  read_only
        .address_space:  global
        .offset:         24
        .size:           8
        .value_kind:     global_buffer
      - .actual_access:  read_only
        .address_space:  global
        .offset:         32
        .size:           8
        .value_kind:     global_buffer
      - .actual_access:  read_only
        .address_space:  global
        .offset:         40
        .size:           8
        .value_kind:     global_buffer
      - .actual_access:  write_only
        .address_space:  global
        .offset:         48
        .size:           8
        .value_kind:     global_buffer
      - .actual_access:  read_only
        .address_space:  global
        .offset:         56
        .size:           8
        .value_kind:     global_buffer
      - .offset:         64
        .size:           4
        .value_kind:     hidden_block_count_x
      - .offset:         68
        .size:           4
        .value_kind:     hidden_block_count_y
      - .offset:         72
        .size:           4
        .value_kind:     hidden_block_count_z
      - .offset:         76
        .size:           2
        .value_kind:     hidden_group_size_x
      - .offset:         78
        .size:           2
        .value_kind:     hidden_group_size_y
      - .offset:         80
        .size:           2
        .value_kind:     hidden_group_size_z
      - .offset:         82
        .size:           2
        .value_kind:     hidden_remainder_x
      - .offset:         84
        .size:           2
        .value_kind:     hidden_remainder_y
      - .offset:         86
        .size:           2
        .value_kind:     hidden_remainder_z
      - .offset:         104
        .size:           8
        .value_kind:     hidden_global_offset_x
      - .offset:         112
        .size:           8
        .value_kind:     hidden_global_offset_y
      - .offset:         120
        .size:           8
        .value_kind:     hidden_global_offset_z
      - .offset:         128
        .size:           2
        .value_kind:     hidden_grid_dims
      - .offset:         184
        .size:           4
        .value_kind:     hidden_dynamic_lds_size
    .group_segment_fixed_size: 0
    .kernarg_segment_align: 8
    .kernarg_segment_size: 320
    .language:       OpenCL C
    .language_version:
      - 2
      - 0
    .max_flat_workgroup_size: 512
    .name:           _ZN2at6native12_GLOBAL__N_135GammaBetaBackwardCUDAKernelTemplateIN3c104HalfEfLj64ELj8ELj64ELb0ELb0ELb1EEEvllPKT_S7_PKT0_SA_PS5_SB_
    .private_segment_fixed_size: 0
    .sgpr_count:     46
    .sgpr_spill_count: 0
    .symbol:         _ZN2at6native12_GLOBAL__N_135GammaBetaBackwardCUDAKernelTemplateIN3c104HalfEfLj64ELj8ELj64ELb0ELb0ELb1EEEvllPKT_S7_PKT0_SA_PS5_SB_.kd
    .uniform_work_group_size: 1
    .uses_dynamic_stack: false
    .vgpr_count:     95
    .vgpr_spill_count: 0
    .wavefront_size: 64
  - .agpr_count:     0
    .args:
      - .offset:         0
        .size:           8
        .value_kind:     by_value
      - .offset:         8
        .size:           8
        .value_kind:     by_value
      - .actual_access:  read_only
        .address_space:  global
        .offset:         16
        .size:           8
        .value_kind:     global_buffer
      - .actual_access:  read_only
        .address_space:  global
        .offset:         24
        .size:           8
        .value_kind:     global_buffer
      - .actual_access:  read_only
        .address_space:  global
        .offset:         32
        .size:           8
        .value_kind:     global_buffer
      - .actual_access:  read_only
        .address_space:  global
        .offset:         40
        .size:           8
        .value_kind:     global_buffer
      - .actual_access:  write_only
        .address_space:  global
        .offset:         48
        .size:           8
        .value_kind:     global_buffer
      - .actual_access:  read_only
        .address_space:  global
        .offset:         56
        .size:           8
        .value_kind:     global_buffer
      - .offset:         64
        .size:           4
        .value_kind:     hidden_block_count_x
      - .offset:         68
        .size:           4
        .value_kind:     hidden_block_count_y
      - .offset:         72
        .size:           4
        .value_kind:     hidden_block_count_z
      - .offset:         76
        .size:           2
        .value_kind:     hidden_group_size_x
      - .offset:         78
        .size:           2
        .value_kind:     hidden_group_size_y
      - .offset:         80
        .size:           2
        .value_kind:     hidden_group_size_z
      - .offset:         82
        .size:           2
        .value_kind:     hidden_remainder_x
      - .offset:         84
        .size:           2
        .value_kind:     hidden_remainder_y
      - .offset:         86
        .size:           2
        .value_kind:     hidden_remainder_z
      - .offset:         104
        .size:           8
        .value_kind:     hidden_global_offset_x
      - .offset:         112
        .size:           8
        .value_kind:     hidden_global_offset_y
      - .offset:         120
        .size:           8
        .value_kind:     hidden_global_offset_z
      - .offset:         128
        .size:           2
        .value_kind:     hidden_grid_dims
      - .offset:         184
        .size:           4
        .value_kind:     hidden_dynamic_lds_size
    .group_segment_fixed_size: 0
    .kernarg_segment_align: 8
    .kernarg_segment_size: 320
    .language:       OpenCL C
    .language_version:
      - 2
      - 0
    .max_flat_workgroup_size: 1024
    .name:           _ZN2at6native12_GLOBAL__N_135GammaBetaBackwardCUDAKernelTemplateIN3c104HalfEfLj64ELj16ELj128ELb0ELb1ELb1EEEvllPKT_S7_PKT0_SA_PS5_SB_
    .private_segment_fixed_size: 0
    .sgpr_count:     30
    .sgpr_spill_count: 0
    .symbol:         _ZN2at6native12_GLOBAL__N_135GammaBetaBackwardCUDAKernelTemplateIN3c104HalfEfLj64ELj16ELj128ELb0ELb1ELb1EEEvllPKT_S7_PKT0_SA_PS5_SB_.kd
    .uniform_work_group_size: 1
    .uses_dynamic_stack: false
    .vgpr_count:     46
    .vgpr_spill_count: 0
    .wavefront_size: 64
  - .agpr_count:     0
    .args:
      - .offset:         0
        .size:           8
        .value_kind:     by_value
      - .offset:         8
        .size:           8
        .value_kind:     by_value
      - .actual_access:  read_only
        .address_space:  global
        .offset:         16
        .size:           8
        .value_kind:     global_buffer
      - .actual_access:  read_only
        .address_space:  global
        .offset:         24
        .size:           8
        .value_kind:     global_buffer
      - .actual_access:  read_only
        .address_space:  global
        .offset:         32
        .size:           8
        .value_kind:     global_buffer
      - .actual_access:  read_only
        .address_space:  global
        .offset:         40
        .size:           8
        .value_kind:     global_buffer
      - .actual_access:  write_only
        .address_space:  global
        .offset:         48
        .size:           8
        .value_kind:     global_buffer
      - .actual_access:  read_only
        .address_space:  global
        .offset:         56
        .size:           8
        .value_kind:     global_buffer
      - .offset:         64
        .size:           4
        .value_kind:     hidden_block_count_x
      - .offset:         68
        .size:           4
        .value_kind:     hidden_block_count_y
      - .offset:         72
        .size:           4
        .value_kind:     hidden_block_count_z
      - .offset:         76
        .size:           2
        .value_kind:     hidden_group_size_x
      - .offset:         78
        .size:           2
        .value_kind:     hidden_group_size_y
      - .offset:         80
        .size:           2
        .value_kind:     hidden_group_size_z
      - .offset:         82
        .size:           2
        .value_kind:     hidden_remainder_x
      - .offset:         84
        .size:           2
        .value_kind:     hidden_remainder_y
      - .offset:         86
        .size:           2
        .value_kind:     hidden_remainder_z
      - .offset:         104
        .size:           8
        .value_kind:     hidden_global_offset_x
      - .offset:         112
        .size:           8
        .value_kind:     hidden_global_offset_y
      - .offset:         120
        .size:           8
        .value_kind:     hidden_global_offset_z
      - .offset:         128
        .size:           2
        .value_kind:     hidden_grid_dims
      - .offset:         184
        .size:           4
        .value_kind:     hidden_dynamic_lds_size
    .group_segment_fixed_size: 0
    .kernarg_segment_align: 8
    .kernarg_segment_size: 320
    .language:       OpenCL C
    .language_version:
      - 2
      - 0
    .max_flat_workgroup_size: 1024
    .name:           _ZN2at6native12_GLOBAL__N_135GammaBetaBackwardCUDAKernelTemplateIN3c104HalfEfLj64ELj16ELj128ELb0ELb0ELb1EEEvllPKT_S7_PKT0_SA_PS5_SB_
    .private_segment_fixed_size: 0
    .sgpr_count:     46
    .sgpr_spill_count: 0
    .symbol:         _ZN2at6native12_GLOBAL__N_135GammaBetaBackwardCUDAKernelTemplateIN3c104HalfEfLj64ELj16ELj128ELb0ELb0ELb1EEEvllPKT_S7_PKT0_SA_PS5_SB_.kd
    .uniform_work_group_size: 1
    .uses_dynamic_stack: false
    .vgpr_count:     95
    .vgpr_spill_count: 0
    .wavefront_size: 64
  - .agpr_count:     0
    .args:
      - .offset:         0
        .size:           8
        .value_kind:     by_value
      - .offset:         8
        .size:           8
        .value_kind:     by_value
      - .actual_access:  read_only
        .address_space:  global
        .offset:         16
        .size:           8
        .value_kind:     global_buffer
      - .actual_access:  read_only
        .address_space:  global
        .offset:         24
        .size:           8
        .value_kind:     global_buffer
      - .actual_access:  read_only
        .address_space:  global
        .offset:         32
        .size:           8
        .value_kind:     global_buffer
      - .actual_access:  read_only
        .address_space:  global
        .offset:         40
        .size:           8
        .value_kind:     global_buffer
      - .actual_access:  write_only
        .address_space:  global
        .offset:         48
        .size:           8
        .value_kind:     global_buffer
      - .actual_access:  read_only
        .address_space:  global
        .offset:         56
        .size:           8
        .value_kind:     global_buffer
      - .offset:         64
        .size:           4
        .value_kind:     hidden_block_count_x
      - .offset:         68
        .size:           4
        .value_kind:     hidden_block_count_y
      - .offset:         72
        .size:           4
        .value_kind:     hidden_block_count_z
      - .offset:         76
        .size:           2
        .value_kind:     hidden_group_size_x
      - .offset:         78
        .size:           2
        .value_kind:     hidden_group_size_y
      - .offset:         80
        .size:           2
        .value_kind:     hidden_group_size_z
      - .offset:         82
        .size:           2
        .value_kind:     hidden_remainder_x
      - .offset:         84
        .size:           2
        .value_kind:     hidden_remainder_y
      - .offset:         86
        .size:           2
        .value_kind:     hidden_remainder_z
      - .offset:         104
        .size:           8
        .value_kind:     hidden_global_offset_x
      - .offset:         112
        .size:           8
        .value_kind:     hidden_global_offset_y
      - .offset:         120
        .size:           8
        .value_kind:     hidden_global_offset_z
      - .offset:         128
        .size:           2
        .value_kind:     hidden_grid_dims
      - .offset:         184
        .size:           4
        .value_kind:     hidden_dynamic_lds_size
    .group_segment_fixed_size: 0
    .kernarg_segment_align: 8
    .kernarg_segment_size: 320
    .language:       OpenCL C
    .language_version:
      - 2
      - 0
    .max_flat_workgroup_size: 1024
    .name:           _ZN2at6native12_GLOBAL__N_135GammaBetaBackwardCUDAKernelTemplateIN3c104HalfEfLj64ELj16ELj256ELb0ELb1ELb1EEEvllPKT_S7_PKT0_SA_PS5_SB_
    .private_segment_fixed_size: 0
    .sgpr_count:     30
    .sgpr_spill_count: 0
    .symbol:         _ZN2at6native12_GLOBAL__N_135GammaBetaBackwardCUDAKernelTemplateIN3c104HalfEfLj64ELj16ELj256ELb0ELb1ELb1EEEvllPKT_S7_PKT0_SA_PS5_SB_.kd
    .uniform_work_group_size: 1
    .uses_dynamic_stack: false
    .vgpr_count:     64
    .vgpr_spill_count: 0
    .wavefront_size: 64
  - .agpr_count:     0
    .args:
      - .offset:         0
        .size:           8
        .value_kind:     by_value
      - .offset:         8
        .size:           8
        .value_kind:     by_value
      - .actual_access:  read_only
        .address_space:  global
        .offset:         16
        .size:           8
        .value_kind:     global_buffer
      - .actual_access:  read_only
        .address_space:  global
        .offset:         24
        .size:           8
        .value_kind:     global_buffer
      - .actual_access:  read_only
        .address_space:  global
        .offset:         32
        .size:           8
        .value_kind:     global_buffer
      - .actual_access:  read_only
        .address_space:  global
        .offset:         40
        .size:           8
        .value_kind:     global_buffer
      - .actual_access:  write_only
        .address_space:  global
        .offset:         48
        .size:           8
        .value_kind:     global_buffer
      - .actual_access:  read_only
        .address_space:  global
        .offset:         56
        .size:           8
        .value_kind:     global_buffer
      - .offset:         64
        .size:           4
        .value_kind:     hidden_block_count_x
      - .offset:         68
        .size:           4
        .value_kind:     hidden_block_count_y
      - .offset:         72
        .size:           4
        .value_kind:     hidden_block_count_z
      - .offset:         76
        .size:           2
        .value_kind:     hidden_group_size_x
      - .offset:         78
        .size:           2
        .value_kind:     hidden_group_size_y
      - .offset:         80
        .size:           2
        .value_kind:     hidden_group_size_z
      - .offset:         82
        .size:           2
        .value_kind:     hidden_remainder_x
      - .offset:         84
        .size:           2
        .value_kind:     hidden_remainder_y
      - .offset:         86
        .size:           2
        .value_kind:     hidden_remainder_z
      - .offset:         104
        .size:           8
        .value_kind:     hidden_global_offset_x
      - .offset:         112
        .size:           8
        .value_kind:     hidden_global_offset_y
      - .offset:         120
        .size:           8
        .value_kind:     hidden_global_offset_z
      - .offset:         128
        .size:           2
        .value_kind:     hidden_grid_dims
      - .offset:         184
        .size:           4
        .value_kind:     hidden_dynamic_lds_size
    .group_segment_fixed_size: 0
    .kernarg_segment_align: 8
    .kernarg_segment_size: 320
    .language:       OpenCL C
    .language_version:
      - 2
      - 0
    .max_flat_workgroup_size: 1024
    .name:           _ZN2at6native12_GLOBAL__N_135GammaBetaBackwardCUDAKernelTemplateIN3c104HalfEfLj64ELj16ELj256ELb0ELb0ELb1EEEvllPKT_S7_PKT0_SA_PS5_SB_
    .private_segment_fixed_size: 432
    .sgpr_count:     60
    .sgpr_spill_count: 0
    .symbol:         _ZN2at6native12_GLOBAL__N_135GammaBetaBackwardCUDAKernelTemplateIN3c104HalfEfLj64ELj16ELj256ELb0ELb0ELb1EEEvllPKT_S7_PKT0_SA_PS5_SB_.kd
    .uniform_work_group_size: 1
    .uses_dynamic_stack: false
    .vgpr_count:     128
    .vgpr_spill_count: 209
    .wavefront_size: 64
  - .agpr_count:     0
    .args:
      - .offset:         0
        .size:           8
        .value_kind:     by_value
      - .offset:         8
        .size:           8
        .value_kind:     by_value
      - .actual_access:  read_only
        .address_space:  global
        .offset:         16
        .size:           8
        .value_kind:     global_buffer
      - .actual_access:  read_only
        .address_space:  global
        .offset:         24
        .size:           8
        .value_kind:     global_buffer
      - .actual_access:  read_only
        .address_space:  global
        .offset:         32
        .size:           8
        .value_kind:     global_buffer
      - .actual_access:  read_only
        .address_space:  global
        .offset:         40
        .size:           8
        .value_kind:     global_buffer
      - .actual_access:  write_only
        .address_space:  global
        .offset:         48
        .size:           8
        .value_kind:     global_buffer
      - .actual_access:  read_only
        .address_space:  global
        .offset:         56
        .size:           8
        .value_kind:     global_buffer
      - .offset:         64
        .size:           4
        .value_kind:     hidden_block_count_x
      - .offset:         68
        .size:           4
        .value_kind:     hidden_block_count_y
      - .offset:         72
        .size:           4
        .value_kind:     hidden_block_count_z
      - .offset:         76
        .size:           2
        .value_kind:     hidden_group_size_x
      - .offset:         78
        .size:           2
        .value_kind:     hidden_group_size_y
      - .offset:         80
        .size:           2
        .value_kind:     hidden_group_size_z
      - .offset:         82
        .size:           2
        .value_kind:     hidden_remainder_x
      - .offset:         84
        .size:           2
        .value_kind:     hidden_remainder_y
      - .offset:         86
        .size:           2
        .value_kind:     hidden_remainder_z
      - .offset:         104
        .size:           8
        .value_kind:     hidden_global_offset_x
      - .offset:         112
        .size:           8
        .value_kind:     hidden_global_offset_y
      - .offset:         120
        .size:           8
        .value_kind:     hidden_global_offset_z
      - .offset:         128
        .size:           2
        .value_kind:     hidden_grid_dims
    .group_segment_fixed_size: 0
    .kernarg_segment_align: 8
    .kernarg_segment_size: 320
    .language:       OpenCL C
    .language_version:
      - 2
      - 0
    .max_flat_workgroup_size: 32
    .name:           _ZN2at6native12_GLOBAL__N_135GammaBetaBackwardCUDAKernelTemplateIN3c104HalfEfLj32ELj1ELj32ELb1ELb1ELb1EEEvllPKT_S7_PKT0_SA_PS5_SB_
    .private_segment_fixed_size: 0
    .sgpr_count:     36
    .sgpr_spill_count: 0
    .symbol:         _ZN2at6native12_GLOBAL__N_135GammaBetaBackwardCUDAKernelTemplateIN3c104HalfEfLj32ELj1ELj32ELb1ELb1ELb1EEEvllPKT_S7_PKT0_SA_PS5_SB_.kd
    .uniform_work_group_size: 1
    .uses_dynamic_stack: false
    .vgpr_count:     64
    .vgpr_spill_count: 0
    .wavefront_size: 64
  - .agpr_count:     76
    .args:
      - .offset:         0
        .size:           8
        .value_kind:     by_value
      - .offset:         8
        .size:           8
        .value_kind:     by_value
      - .actual_access:  read_only
        .address_space:  global
        .offset:         16
        .size:           8
        .value_kind:     global_buffer
      - .actual_access:  read_only
        .address_space:  global
        .offset:         24
        .size:           8
        .value_kind:     global_buffer
      - .actual_access:  read_only
        .address_space:  global
        .offset:         32
        .size:           8
        .value_kind:     global_buffer
      - .actual_access:  read_only
        .address_space:  global
        .offset:         40
        .size:           8
        .value_kind:     global_buffer
      - .actual_access:  write_only
        .address_space:  global
        .offset:         48
        .size:           8
        .value_kind:     global_buffer
      - .actual_access:  read_only
        .address_space:  global
        .offset:         56
        .size:           8
        .value_kind:     global_buffer
      - .offset:         64
        .size:           4
        .value_kind:     hidden_block_count_x
      - .offset:         68
        .size:           4
        .value_kind:     hidden_block_count_y
      - .offset:         72
        .size:           4
        .value_kind:     hidden_block_count_z
      - .offset:         76
        .size:           2
        .value_kind:     hidden_group_size_x
      - .offset:         78
        .size:           2
        .value_kind:     hidden_group_size_y
      - .offset:         80
        .size:           2
        .value_kind:     hidden_group_size_z
      - .offset:         82
        .size:           2
        .value_kind:     hidden_remainder_x
      - .offset:         84
        .size:           2
        .value_kind:     hidden_remainder_y
      - .offset:         86
        .size:           2
        .value_kind:     hidden_remainder_z
      - .offset:         104
        .size:           8
        .value_kind:     hidden_global_offset_x
      - .offset:         112
        .size:           8
        .value_kind:     hidden_global_offset_y
      - .offset:         120
        .size:           8
        .value_kind:     hidden_global_offset_z
      - .offset:         128
        .size:           2
        .value_kind:     hidden_grid_dims
    .group_segment_fixed_size: 0
    .kernarg_segment_align: 8
    .kernarg_segment_size: 320
    .language:       OpenCL C
    .language_version:
      - 2
      - 0
    .max_flat_workgroup_size: 32
    .name:           _ZN2at6native12_GLOBAL__N_135GammaBetaBackwardCUDAKernelTemplateIN3c104HalfEfLj32ELj1ELj32ELb1ELb0ELb1EEEvllPKT_S7_PKT0_SA_PS5_SB_
    .private_segment_fixed_size: 0
    .sgpr_count:     40
    .sgpr_spill_count: 0
    .symbol:         _ZN2at6native12_GLOBAL__N_135GammaBetaBackwardCUDAKernelTemplateIN3c104HalfEfLj32ELj1ELj32ELb1ELb0ELb1EEEvllPKT_S7_PKT0_SA_PS5_SB_.kd
    .uniform_work_group_size: 1
    .uses_dynamic_stack: false
    .vgpr_count:     332
    .vgpr_spill_count: 0
    .wavefront_size: 64
  - .agpr_count:     0
    .args:
      - .offset:         0
        .size:           8
        .value_kind:     by_value
      - .offset:         8
        .size:           8
        .value_kind:     by_value
      - .actual_access:  read_only
        .address_space:  global
        .offset:         16
        .size:           8
        .value_kind:     global_buffer
      - .actual_access:  read_only
        .address_space:  global
        .offset:         24
        .size:           8
        .value_kind:     global_buffer
      - .actual_access:  read_only
        .address_space:  global
        .offset:         32
        .size:           8
        .value_kind:     global_buffer
      - .actual_access:  read_only
        .address_space:  global
        .offset:         40
        .size:           8
        .value_kind:     global_buffer
      - .actual_access:  write_only
        .address_space:  global
        .offset:         48
        .size:           8
        .value_kind:     global_buffer
      - .actual_access:  read_only
        .address_space:  global
        .offset:         56
        .size:           8
        .value_kind:     global_buffer
      - .offset:         64
        .size:           4
        .value_kind:     hidden_block_count_x
      - .offset:         68
        .size:           4
        .value_kind:     hidden_block_count_y
      - .offset:         72
        .size:           4
        .value_kind:     hidden_block_count_z
      - .offset:         76
        .size:           2
        .value_kind:     hidden_group_size_x
      - .offset:         78
        .size:           2
        .value_kind:     hidden_group_size_y
      - .offset:         80
        .size:           2
        .value_kind:     hidden_group_size_z
      - .offset:         82
        .size:           2
        .value_kind:     hidden_remainder_x
      - .offset:         84
        .size:           2
        .value_kind:     hidden_remainder_y
      - .offset:         86
        .size:           2
        .value_kind:     hidden_remainder_z
      - .offset:         104
        .size:           8
        .value_kind:     hidden_global_offset_x
      - .offset:         112
        .size:           8
        .value_kind:     hidden_global_offset_y
      - .offset:         120
        .size:           8
        .value_kind:     hidden_global_offset_z
      - .offset:         128
        .size:           2
        .value_kind:     hidden_grid_dims
    .group_segment_fixed_size: 0
    .kernarg_segment_align: 8
    .kernarg_segment_size: 320
    .language:       OpenCL C
    .language_version:
      - 2
      - 0
    .max_flat_workgroup_size: 32
    .name:           _ZN2at6native12_GLOBAL__N_135GammaBetaBackwardCUDAKernelTemplateIN3c104HalfEfLj32ELj1ELj8ELb1ELb1ELb1EEEvllPKT_S7_PKT0_SA_PS5_SB_
    .private_segment_fixed_size: 0
    .sgpr_count:     36
    .sgpr_spill_count: 0
    .symbol:         _ZN2at6native12_GLOBAL__N_135GammaBetaBackwardCUDAKernelTemplateIN3c104HalfEfLj32ELj1ELj8ELb1ELb1ELb1EEEvllPKT_S7_PKT0_SA_PS5_SB_.kd
    .uniform_work_group_size: 1
    .uses_dynamic_stack: false
    .vgpr_count:     45
    .vgpr_spill_count: 0
    .wavefront_size: 64
  - .agpr_count:     0
    .args:
      - .offset:         0
        .size:           8
        .value_kind:     by_value
      - .offset:         8
        .size:           8
        .value_kind:     by_value
      - .actual_access:  read_only
        .address_space:  global
        .offset:         16
        .size:           8
        .value_kind:     global_buffer
      - .actual_access:  read_only
        .address_space:  global
        .offset:         24
        .size:           8
        .value_kind:     global_buffer
      - .actual_access:  read_only
        .address_space:  global
        .offset:         32
        .size:           8
        .value_kind:     global_buffer
      - .actual_access:  read_only
        .address_space:  global
        .offset:         40
        .size:           8
        .value_kind:     global_buffer
      - .actual_access:  write_only
        .address_space:  global
        .offset:         48
        .size:           8
        .value_kind:     global_buffer
      - .actual_access:  read_only
        .address_space:  global
        .offset:         56
        .size:           8
        .value_kind:     global_buffer
      - .offset:         64
        .size:           4
        .value_kind:     hidden_block_count_x
      - .offset:         68
        .size:           4
        .value_kind:     hidden_block_count_y
      - .offset:         72
        .size:           4
        .value_kind:     hidden_block_count_z
      - .offset:         76
        .size:           2
        .value_kind:     hidden_group_size_x
      - .offset:         78
        .size:           2
        .value_kind:     hidden_group_size_y
      - .offset:         80
        .size:           2
        .value_kind:     hidden_group_size_z
      - .offset:         82
        .size:           2
        .value_kind:     hidden_remainder_x
      - .offset:         84
        .size:           2
        .value_kind:     hidden_remainder_y
      - .offset:         86
        .size:           2
        .value_kind:     hidden_remainder_z
      - .offset:         104
        .size:           8
        .value_kind:     hidden_global_offset_x
      - .offset:         112
        .size:           8
        .value_kind:     hidden_global_offset_y
      - .offset:         120
        .size:           8
        .value_kind:     hidden_global_offset_z
      - .offset:         128
        .size:           2
        .value_kind:     hidden_grid_dims
    .group_segment_fixed_size: 0
    .kernarg_segment_align: 8
    .kernarg_segment_size: 320
    .language:       OpenCL C
    .language_version:
      - 2
      - 0
    .max_flat_workgroup_size: 32
    .name:           _ZN2at6native12_GLOBAL__N_135GammaBetaBackwardCUDAKernelTemplateIN3c104HalfEfLj32ELj1ELj8ELb1ELb0ELb1EEEvllPKT_S7_PKT0_SA_PS5_SB_
    .private_segment_fixed_size: 0
    .sgpr_count:     48
    .sgpr_spill_count: 0
    .symbol:         _ZN2at6native12_GLOBAL__N_135GammaBetaBackwardCUDAKernelTemplateIN3c104HalfEfLj32ELj1ELj8ELb1ELb0ELb1EEEvllPKT_S7_PKT0_SA_PS5_SB_.kd
    .uniform_work_group_size: 1
    .uses_dynamic_stack: false
    .vgpr_count:     96
    .vgpr_spill_count: 0
    .wavefront_size: 64
  - .agpr_count:     0
    .args:
      - .offset:         0
        .size:           8
        .value_kind:     by_value
      - .offset:         8
        .size:           8
        .value_kind:     by_value
      - .actual_access:  read_only
        .address_space:  global
        .offset:         16
        .size:           8
        .value_kind:     global_buffer
      - .actual_access:  read_only
        .address_space:  global
        .offset:         24
        .size:           8
        .value_kind:     global_buffer
      - .actual_access:  read_only
        .address_space:  global
        .offset:         32
        .size:           8
        .value_kind:     global_buffer
      - .actual_access:  read_only
        .address_space:  global
        .offset:         40
        .size:           8
        .value_kind:     global_buffer
      - .actual_access:  write_only
        .address_space:  global
        .offset:         48
        .size:           8
        .value_kind:     global_buffer
      - .actual_access:  read_only
        .address_space:  global
        .offset:         56
        .size:           8
        .value_kind:     global_buffer
      - .offset:         64
        .size:           4
        .value_kind:     hidden_block_count_x
      - .offset:         68
        .size:           4
        .value_kind:     hidden_block_count_y
      - .offset:         72
        .size:           4
        .value_kind:     hidden_block_count_z
      - .offset:         76
        .size:           2
        .value_kind:     hidden_group_size_x
      - .offset:         78
        .size:           2
        .value_kind:     hidden_group_size_y
      - .offset:         80
        .size:           2
        .value_kind:     hidden_group_size_z
      - .offset:         82
        .size:           2
        .value_kind:     hidden_remainder_x
      - .offset:         84
        .size:           2
        .value_kind:     hidden_remainder_y
      - .offset:         86
        .size:           2
        .value_kind:     hidden_remainder_z
      - .offset:         104
        .size:           8
        .value_kind:     hidden_global_offset_x
      - .offset:         112
        .size:           8
        .value_kind:     hidden_global_offset_y
      - .offset:         120
        .size:           8
        .value_kind:     hidden_global_offset_z
      - .offset:         128
        .size:           2
        .value_kind:     hidden_grid_dims
      - .offset:         184
        .size:           4
        .value_kind:     hidden_dynamic_lds_size
    .group_segment_fixed_size: 0
    .kernarg_segment_align: 8
    .kernarg_segment_size: 320
    .language:       OpenCL C
    .language_version:
      - 2
      - 0
    .max_flat_workgroup_size: 256
    .name:           _ZN2at6native12_GLOBAL__N_135GammaBetaBackwardCUDAKernelTemplateIN3c104HalfEfLj32ELj8ELj64ELb0ELb1ELb1EEEvllPKT_S7_PKT0_SA_PS5_SB_
    .private_segment_fixed_size: 0
    .sgpr_count:     30
    .sgpr_spill_count: 0
    .symbol:         _ZN2at6native12_GLOBAL__N_135GammaBetaBackwardCUDAKernelTemplateIN3c104HalfEfLj32ELj8ELj64ELb0ELb1ELb1EEEvllPKT_S7_PKT0_SA_PS5_SB_.kd
    .uniform_work_group_size: 1
    .uses_dynamic_stack: false
    .vgpr_count:     46
    .vgpr_spill_count: 0
    .wavefront_size: 64
  - .agpr_count:     0
    .args:
      - .offset:         0
        .size:           8
        .value_kind:     by_value
      - .offset:         8
        .size:           8
        .value_kind:     by_value
      - .actual_access:  read_only
        .address_space:  global
        .offset:         16
        .size:           8
        .value_kind:     global_buffer
      - .actual_access:  read_only
        .address_space:  global
        .offset:         24
        .size:           8
        .value_kind:     global_buffer
      - .actual_access:  read_only
        .address_space:  global
        .offset:         32
        .size:           8
        .value_kind:     global_buffer
      - .actual_access:  read_only
        .address_space:  global
        .offset:         40
        .size:           8
        .value_kind:     global_buffer
      - .actual_access:  write_only
        .address_space:  global
        .offset:         48
        .size:           8
        .value_kind:     global_buffer
      - .actual_access:  read_only
        .address_space:  global
        .offset:         56
        .size:           8
        .value_kind:     global_buffer
      - .offset:         64
        .size:           4
        .value_kind:     hidden_block_count_x
      - .offset:         68
        .size:           4
        .value_kind:     hidden_block_count_y
      - .offset:         72
        .size:           4
        .value_kind:     hidden_block_count_z
      - .offset:         76
        .size:           2
        .value_kind:     hidden_group_size_x
      - .offset:         78
        .size:           2
        .value_kind:     hidden_group_size_y
      - .offset:         80
        .size:           2
        .value_kind:     hidden_group_size_z
      - .offset:         82
        .size:           2
        .value_kind:     hidden_remainder_x
      - .offset:         84
        .size:           2
        .value_kind:     hidden_remainder_y
      - .offset:         86
        .size:           2
        .value_kind:     hidden_remainder_z
      - .offset:         104
        .size:           8
        .value_kind:     hidden_global_offset_x
      - .offset:         112
        .size:           8
        .value_kind:     hidden_global_offset_y
      - .offset:         120
        .size:           8
        .value_kind:     hidden_global_offset_z
      - .offset:         128
        .size:           2
        .value_kind:     hidden_grid_dims
      - .offset:         184
        .size:           4
        .value_kind:     hidden_dynamic_lds_size
    .group_segment_fixed_size: 0
    .kernarg_segment_align: 8
    .kernarg_segment_size: 320
    .language:       OpenCL C
    .language_version:
      - 2
      - 0
    .max_flat_workgroup_size: 256
    .name:           _ZN2at6native12_GLOBAL__N_135GammaBetaBackwardCUDAKernelTemplateIN3c104HalfEfLj32ELj8ELj64ELb0ELb0ELb1EEEvllPKT_S7_PKT0_SA_PS5_SB_
    .private_segment_fixed_size: 0
    .sgpr_count:     46
    .sgpr_spill_count: 0
    .symbol:         _ZN2at6native12_GLOBAL__N_135GammaBetaBackwardCUDAKernelTemplateIN3c104HalfEfLj32ELj8ELj64ELb0ELb0ELb1EEEvllPKT_S7_PKT0_SA_PS5_SB_.kd
    .uniform_work_group_size: 1
    .uses_dynamic_stack: false
    .vgpr_count:     95
    .vgpr_spill_count: 0
    .wavefront_size: 64
  - .agpr_count:     0
    .args:
      - .offset:         0
        .size:           8
        .value_kind:     by_value
      - .offset:         8
        .size:           8
        .value_kind:     by_value
      - .actual_access:  read_only
        .address_space:  global
        .offset:         16
        .size:           8
        .value_kind:     global_buffer
      - .actual_access:  read_only
        .address_space:  global
        .offset:         24
        .size:           8
        .value_kind:     global_buffer
      - .actual_access:  read_only
        .address_space:  global
        .offset:         32
        .size:           8
        .value_kind:     global_buffer
      - .actual_access:  read_only
        .address_space:  global
        .offset:         40
        .size:           8
        .value_kind:     global_buffer
      - .actual_access:  write_only
        .address_space:  global
        .offset:         48
        .size:           8
        .value_kind:     global_buffer
      - .actual_access:  read_only
        .address_space:  global
        .offset:         56
        .size:           8
        .value_kind:     global_buffer
      - .offset:         64
        .size:           4
        .value_kind:     hidden_block_count_x
      - .offset:         68
        .size:           4
        .value_kind:     hidden_block_count_y
      - .offset:         72
        .size:           4
        .value_kind:     hidden_block_count_z
      - .offset:         76
        .size:           2
        .value_kind:     hidden_group_size_x
      - .offset:         78
        .size:           2
        .value_kind:     hidden_group_size_y
      - .offset:         80
        .size:           2
        .value_kind:     hidden_group_size_z
      - .offset:         82
        .size:           2
        .value_kind:     hidden_remainder_x
      - .offset:         84
        .size:           2
        .value_kind:     hidden_remainder_y
      - .offset:         86
        .size:           2
        .value_kind:     hidden_remainder_z
      - .offset:         104
        .size:           8
        .value_kind:     hidden_global_offset_x
      - .offset:         112
        .size:           8
        .value_kind:     hidden_global_offset_y
      - .offset:         120
        .size:           8
        .value_kind:     hidden_global_offset_z
      - .offset:         128
        .size:           2
        .value_kind:     hidden_grid_dims
      - .offset:         184
        .size:           4
        .value_kind:     hidden_dynamic_lds_size
    .group_segment_fixed_size: 0
    .kernarg_segment_align: 8
    .kernarg_segment_size: 320
    .language:       OpenCL C
    .language_version:
      - 2
      - 0
    .max_flat_workgroup_size: 512
    .name:           _ZN2at6native12_GLOBAL__N_135GammaBetaBackwardCUDAKernelTemplateIN3c104HalfEfLj32ELj16ELj128ELb0ELb1ELb1EEEvllPKT_S7_PKT0_SA_PS5_SB_
    .private_segment_fixed_size: 0
    .sgpr_count:     30
    .sgpr_spill_count: 0
    .symbol:         _ZN2at6native12_GLOBAL__N_135GammaBetaBackwardCUDAKernelTemplateIN3c104HalfEfLj32ELj16ELj128ELb0ELb1ELb1EEEvllPKT_S7_PKT0_SA_PS5_SB_.kd
    .uniform_work_group_size: 1
    .uses_dynamic_stack: false
    .vgpr_count:     46
    .vgpr_spill_count: 0
    .wavefront_size: 64
  - .agpr_count:     0
    .args:
      - .offset:         0
        .size:           8
        .value_kind:     by_value
      - .offset:         8
        .size:           8
        .value_kind:     by_value
      - .actual_access:  read_only
        .address_space:  global
        .offset:         16
        .size:           8
        .value_kind:     global_buffer
      - .actual_access:  read_only
        .address_space:  global
        .offset:         24
        .size:           8
        .value_kind:     global_buffer
      - .actual_access:  read_only
        .address_space:  global
        .offset:         32
        .size:           8
        .value_kind:     global_buffer
      - .actual_access:  read_only
        .address_space:  global
        .offset:         40
        .size:           8
        .value_kind:     global_buffer
      - .actual_access:  write_only
        .address_space:  global
        .offset:         48
        .size:           8
        .value_kind:     global_buffer
      - .actual_access:  read_only
        .address_space:  global
        .offset:         56
        .size:           8
        .value_kind:     global_buffer
      - .offset:         64
        .size:           4
        .value_kind:     hidden_block_count_x
      - .offset:         68
        .size:           4
        .value_kind:     hidden_block_count_y
      - .offset:         72
        .size:           4
        .value_kind:     hidden_block_count_z
      - .offset:         76
        .size:           2
        .value_kind:     hidden_group_size_x
      - .offset:         78
        .size:           2
        .value_kind:     hidden_group_size_y
      - .offset:         80
        .size:           2
        .value_kind:     hidden_group_size_z
      - .offset:         82
        .size:           2
        .value_kind:     hidden_remainder_x
      - .offset:         84
        .size:           2
        .value_kind:     hidden_remainder_y
      - .offset:         86
        .size:           2
        .value_kind:     hidden_remainder_z
      - .offset:         104
        .size:           8
        .value_kind:     hidden_global_offset_x
      - .offset:         112
        .size:           8
        .value_kind:     hidden_global_offset_y
      - .offset:         120
        .size:           8
        .value_kind:     hidden_global_offset_z
      - .offset:         128
        .size:           2
        .value_kind:     hidden_grid_dims
      - .offset:         184
        .size:           4
        .value_kind:     hidden_dynamic_lds_size
    .group_segment_fixed_size: 0
    .kernarg_segment_align: 8
    .kernarg_segment_size: 320
    .language:       OpenCL C
    .language_version:
      - 2
      - 0
    .max_flat_workgroup_size: 512
    .name:           _ZN2at6native12_GLOBAL__N_135GammaBetaBackwardCUDAKernelTemplateIN3c104HalfEfLj32ELj16ELj128ELb0ELb0ELb1EEEvllPKT_S7_PKT0_SA_PS5_SB_
    .private_segment_fixed_size: 0
    .sgpr_count:     46
    .sgpr_spill_count: 0
    .symbol:         _ZN2at6native12_GLOBAL__N_135GammaBetaBackwardCUDAKernelTemplateIN3c104HalfEfLj32ELj16ELj128ELb0ELb0ELb1EEEvllPKT_S7_PKT0_SA_PS5_SB_.kd
    .uniform_work_group_size: 1
    .uses_dynamic_stack: false
    .vgpr_count:     95
    .vgpr_spill_count: 0
    .wavefront_size: 64
  - .agpr_count:     0
    .args:
      - .offset:         0
        .size:           8
        .value_kind:     by_value
      - .offset:         8
        .size:           8
        .value_kind:     by_value
      - .actual_access:  read_only
        .address_space:  global
        .offset:         16
        .size:           8
        .value_kind:     global_buffer
      - .actual_access:  read_only
        .address_space:  global
        .offset:         24
        .size:           8
        .value_kind:     global_buffer
      - .actual_access:  read_only
        .address_space:  global
        .offset:         32
        .size:           8
        .value_kind:     global_buffer
      - .actual_access:  read_only
        .address_space:  global
        .offset:         40
        .size:           8
        .value_kind:     global_buffer
      - .actual_access:  write_only
        .address_space:  global
        .offset:         48
        .size:           8
        .value_kind:     global_buffer
      - .actual_access:  read_only
        .address_space:  global
        .offset:         56
        .size:           8
        .value_kind:     global_buffer
      - .offset:         64
        .size:           4
        .value_kind:     hidden_block_count_x
      - .offset:         68
        .size:           4
        .value_kind:     hidden_block_count_y
      - .offset:         72
        .size:           4
        .value_kind:     hidden_block_count_z
      - .offset:         76
        .size:           2
        .value_kind:     hidden_group_size_x
      - .offset:         78
        .size:           2
        .value_kind:     hidden_group_size_y
      - .offset:         80
        .size:           2
        .value_kind:     hidden_group_size_z
      - .offset:         82
        .size:           2
        .value_kind:     hidden_remainder_x
      - .offset:         84
        .size:           2
        .value_kind:     hidden_remainder_y
      - .offset:         86
        .size:           2
        .value_kind:     hidden_remainder_z
      - .offset:         104
        .size:           8
        .value_kind:     hidden_global_offset_x
      - .offset:         112
        .size:           8
        .value_kind:     hidden_global_offset_y
      - .offset:         120
        .size:           8
        .value_kind:     hidden_global_offset_z
      - .offset:         128
        .size:           2
        .value_kind:     hidden_grid_dims
      - .offset:         184
        .size:           4
        .value_kind:     hidden_dynamic_lds_size
    .group_segment_fixed_size: 0
    .kernarg_segment_align: 8
    .kernarg_segment_size: 320
    .language:       OpenCL C
    .language_version:
      - 2
      - 0
    .max_flat_workgroup_size: 1024
    .name:           _ZN2at6native12_GLOBAL__N_135GammaBetaBackwardCUDAKernelTemplateIN3c104HalfEfLj32ELj32ELj256ELb0ELb1ELb1EEEvllPKT_S7_PKT0_SA_PS5_SB_
    .private_segment_fixed_size: 0
    .sgpr_count:     30
    .sgpr_spill_count: 0
    .symbol:         _ZN2at6native12_GLOBAL__N_135GammaBetaBackwardCUDAKernelTemplateIN3c104HalfEfLj32ELj32ELj256ELb0ELb1ELb1EEEvllPKT_S7_PKT0_SA_PS5_SB_.kd
    .uniform_work_group_size: 1
    .uses_dynamic_stack: false
    .vgpr_count:     46
    .vgpr_spill_count: 0
    .wavefront_size: 64
  - .agpr_count:     0
    .args:
      - .offset:         0
        .size:           8
        .value_kind:     by_value
      - .offset:         8
        .size:           8
        .value_kind:     by_value
      - .actual_access:  read_only
        .address_space:  global
        .offset:         16
        .size:           8
        .value_kind:     global_buffer
      - .actual_access:  read_only
        .address_space:  global
        .offset:         24
        .size:           8
        .value_kind:     global_buffer
      - .actual_access:  read_only
        .address_space:  global
        .offset:         32
        .size:           8
        .value_kind:     global_buffer
      - .actual_access:  read_only
        .address_space:  global
        .offset:         40
        .size:           8
        .value_kind:     global_buffer
      - .actual_access:  write_only
        .address_space:  global
        .offset:         48
        .size:           8
        .value_kind:     global_buffer
      - .actual_access:  read_only
        .address_space:  global
        .offset:         56
        .size:           8
        .value_kind:     global_buffer
      - .offset:         64
        .size:           4
        .value_kind:     hidden_block_count_x
      - .offset:         68
        .size:           4
        .value_kind:     hidden_block_count_y
      - .offset:         72
        .size:           4
        .value_kind:     hidden_block_count_z
      - .offset:         76
        .size:           2
        .value_kind:     hidden_group_size_x
      - .offset:         78
        .size:           2
        .value_kind:     hidden_group_size_y
      - .offset:         80
        .size:           2
        .value_kind:     hidden_group_size_z
      - .offset:         82
        .size:           2
        .value_kind:     hidden_remainder_x
      - .offset:         84
        .size:           2
        .value_kind:     hidden_remainder_y
      - .offset:         86
        .size:           2
        .value_kind:     hidden_remainder_z
      - .offset:         104
        .size:           8
        .value_kind:     hidden_global_offset_x
      - .offset:         112
        .size:           8
        .value_kind:     hidden_global_offset_y
      - .offset:         120
        .size:           8
        .value_kind:     hidden_global_offset_z
      - .offset:         128
        .size:           2
        .value_kind:     hidden_grid_dims
      - .offset:         184
        .size:           4
        .value_kind:     hidden_dynamic_lds_size
    .group_segment_fixed_size: 0
    .kernarg_segment_align: 8
    .kernarg_segment_size: 320
    .language:       OpenCL C
    .language_version:
      - 2
      - 0
    .max_flat_workgroup_size: 1024
    .name:           _ZN2at6native12_GLOBAL__N_135GammaBetaBackwardCUDAKernelTemplateIN3c104HalfEfLj32ELj32ELj256ELb0ELb0ELb1EEEvllPKT_S7_PKT0_SA_PS5_SB_
    .private_segment_fixed_size: 0
    .sgpr_count:     46
    .sgpr_spill_count: 0
    .symbol:         _ZN2at6native12_GLOBAL__N_135GammaBetaBackwardCUDAKernelTemplateIN3c104HalfEfLj32ELj32ELj256ELb0ELb0ELb1EEEvllPKT_S7_PKT0_SA_PS5_SB_.kd
    .uniform_work_group_size: 1
    .uses_dynamic_stack: false
    .vgpr_count:     95
    .vgpr_spill_count: 0
    .wavefront_size: 64
  - .agpr_count:     0
    .args:
      - .actual_access:  read_only
        .address_space:  global
        .offset:         0
        .size:           8
        .value_kind:     global_buffer
      - .actual_access:  read_only
        .address_space:  global
        .offset:         8
        .size:           8
        .value_kind:     global_buffer
      - .offset:         16
        .size:           8
        .value_kind:     by_value
      - .offset:         24
        .size:           8
        .value_kind:     by_value
      - .actual_access:  read_only
        .address_space:  global
        .offset:         32
        .size:           8
        .value_kind:     global_buffer
      - .actual_access:  read_only
        .address_space:  global
        .offset:         40
        .size:           8
        .value_kind:     global_buffer
      - .address_space:  global
        .offset:         48
        .size:           8
        .value_kind:     global_buffer
      - .address_space:  global
        .offset:         56
        .size:           8
        .value_kind:     global_buffer
      - .offset:         64
        .size:           4
        .value_kind:     hidden_block_count_x
      - .offset:         68
        .size:           4
        .value_kind:     hidden_block_count_y
      - .offset:         72
        .size:           4
        .value_kind:     hidden_block_count_z
      - .offset:         76
        .size:           2
        .value_kind:     hidden_group_size_x
      - .offset:         78
        .size:           2
        .value_kind:     hidden_group_size_y
      - .offset:         80
        .size:           2
        .value_kind:     hidden_group_size_z
      - .offset:         82
        .size:           2
        .value_kind:     hidden_remainder_x
      - .offset:         84
        .size:           2
        .value_kind:     hidden_remainder_y
      - .offset:         86
        .size:           2
        .value_kind:     hidden_remainder_z
      - .offset:         104
        .size:           8
        .value_kind:     hidden_global_offset_x
      - .offset:         112
        .size:           8
        .value_kind:     hidden_global_offset_y
      - .offset:         120
        .size:           8
        .value_kind:     hidden_global_offset_z
      - .offset:         128
        .size:           2
        .value_kind:     hidden_grid_dims
      - .offset:         184
        .size:           4
        .value_kind:     hidden_dynamic_lds_size
    .group_segment_fixed_size: 0
    .kernarg_segment_align: 8
    .kernarg_segment_size: 320
    .language:       OpenCL C
    .language_version:
      - 2
      - 0
    .max_flat_workgroup_size: 1024
    .name:           _ZN2at6native12_GLOBAL__N_118cuComputeGradInputIN3c108BFloat16EfLb1EEEvPKT_S7_llPKT0_SA_S7_PS5_
    .private_segment_fixed_size: 0
    .sgpr_count:     53
    .sgpr_spill_count: 0
    .symbol:         _ZN2at6native12_GLOBAL__N_118cuComputeGradInputIN3c108BFloat16EfLb1EEEvPKT_S7_llPKT0_SA_S7_PS5_.kd
    .uniform_work_group_size: 1
    .uses_dynamic_stack: false
    .vgpr_count:     33
    .vgpr_spill_count: 0
    .wavefront_size: 64
  - .agpr_count:     0
    .args:
      - .actual_access:  read_only
        .address_space:  global
        .offset:         0
        .size:           8
        .value_kind:     global_buffer
      - .actual_access:  read_only
        .address_space:  global
        .offset:         8
        .size:           8
        .value_kind:     global_buffer
      - .actual_access:  read_only
        .address_space:  global
        .offset:         16
        .size:           8
        .value_kind:     global_buffer
      - .actual_access:  read_only
        .address_space:  global
        .offset:         24
        .size:           8
        .value_kind:     global_buffer
      - .actual_access:  read_only
        .address_space:  global
        .offset:         32
        .size:           8
        .value_kind:     global_buffer
      - .address_space:  global
        .offset:         40
        .size:           8
        .value_kind:     global_buffer
      - .offset:         48
        .size:           4
        .value_kind:     by_value
      - .offset:         56
        .size:           4
        .value_kind:     hidden_block_count_x
      - .offset:         60
        .size:           4
        .value_kind:     hidden_block_count_y
      - .offset:         64
        .size:           4
        .value_kind:     hidden_block_count_z
      - .offset:         68
        .size:           2
        .value_kind:     hidden_group_size_x
      - .offset:         70
        .size:           2
        .value_kind:     hidden_group_size_y
      - .offset:         72
        .size:           2
        .value_kind:     hidden_group_size_z
      - .offset:         74
        .size:           2
        .value_kind:     hidden_remainder_x
      - .offset:         76
        .size:           2
        .value_kind:     hidden_remainder_y
      - .offset:         78
        .size:           2
        .value_kind:     hidden_remainder_z
      - .offset:         96
        .size:           8
        .value_kind:     hidden_global_offset_x
      - .offset:         104
        .size:           8
        .value_kind:     hidden_global_offset_y
      - .offset:         112
        .size:           8
        .value_kind:     hidden_global_offset_z
      - .offset:         120
        .size:           2
        .value_kind:     hidden_grid_dims
      - .offset:         176
        .size:           4
        .value_kind:     hidden_dynamic_lds_size
    .group_segment_fixed_size: 0
    .kernarg_segment_align: 8
    .kernarg_segment_size: 312
    .language:       OpenCL C
    .language_version:
      - 2
      - 0
    .max_flat_workgroup_size: 1024
    .name:           _ZN2at6native12_GLOBAL__N_128layer_norm_grad_input_kernelIN3c108BFloat16EfLb1EEEvPKT_S7_PKT0_SA_S7_PS5_i
    .private_segment_fixed_size: 0
    .sgpr_count:     35
    .sgpr_spill_count: 0
    .symbol:         _ZN2at6native12_GLOBAL__N_128layer_norm_grad_input_kernelIN3c108BFloat16EfLb1EEEvPKT_S7_PKT0_SA_S7_PS5_i.kd
    .uniform_work_group_size: 1
    .uses_dynamic_stack: false
    .vgpr_count:     22
    .vgpr_spill_count: 0
    .wavefront_size: 64
  - .agpr_count:     0
    .args:
      - .offset:         0
        .size:           8
        .value_kind:     by_value
      - .offset:         8
        .size:           8
        .value_kind:     by_value
      - .address_space:  global
        .offset:         16
        .size:           8
        .value_kind:     global_buffer
      - .address_space:  global
        .offset:         24
        .size:           8
        .value_kind:     global_buffer
      - .address_space:  global
        .offset:         32
        .size:           8
        .value_kind:     global_buffer
      - .address_space:  global
        .offset:         40
        .size:           8
        .value_kind:     global_buffer
      - .address_space:  global
        .offset:         48
        .size:           8
        .value_kind:     global_buffer
      - .address_space:  global
        .offset:         56
        .size:           8
        .value_kind:     global_buffer
      - .offset:         64
        .size:           4
        .value_kind:     hidden_block_count_x
      - .offset:         68
        .size:           4
        .value_kind:     hidden_block_count_y
      - .offset:         72
        .size:           4
        .value_kind:     hidden_block_count_z
      - .offset:         76
        .size:           2
        .value_kind:     hidden_group_size_x
      - .offset:         78
        .size:           2
        .value_kind:     hidden_group_size_y
      - .offset:         80
        .size:           2
        .value_kind:     hidden_group_size_z
      - .offset:         82
        .size:           2
        .value_kind:     hidden_remainder_x
      - .offset:         84
        .size:           2
        .value_kind:     hidden_remainder_y
      - .offset:         86
        .size:           2
        .value_kind:     hidden_remainder_z
      - .offset:         104
        .size:           8
        .value_kind:     hidden_global_offset_x
      - .offset:         112
        .size:           8
        .value_kind:     hidden_global_offset_y
      - .offset:         120
        .size:           8
        .value_kind:     hidden_global_offset_z
      - .offset:         128
        .size:           2
        .value_kind:     hidden_grid_dims
    .group_segment_fixed_size: 0
    .kernarg_segment_align: 8
    .kernarg_segment_size: 320
    .language:       OpenCL C
    .language_version:
      - 2
      - 0
    .max_flat_workgroup_size: 1024
    .name:           _ZN2at6native12_GLOBAL__N_133GammaBetaBackwardSimpleCUDAKernelIN3c108BFloat16EfLb1EEEvllPKT_S7_PKT0_SA_PS5_SB_
    .private_segment_fixed_size: 0
    .sgpr_count:     20
    .sgpr_spill_count: 0
    .symbol:         _ZN2at6native12_GLOBAL__N_133GammaBetaBackwardSimpleCUDAKernelIN3c108BFloat16EfLb1EEEvllPKT_S7_PKT0_SA_PS5_SB_.kd
    .uniform_work_group_size: 1
    .uses_dynamic_stack: false
    .vgpr_count:     12
    .vgpr_spill_count: 0
    .wavefront_size: 64
  - .agpr_count:     0
    .args:
      - .offset:         0
        .size:           8
        .value_kind:     by_value
      - .offset:         8
        .size:           8
        .value_kind:     by_value
      - .actual_access:  read_only
        .address_space:  global
        .offset:         16
        .size:           8
        .value_kind:     global_buffer
      - .actual_access:  read_only
        .address_space:  global
        .offset:         24
        .size:           8
        .value_kind:     global_buffer
      - .actual_access:  read_only
        .address_space:  global
        .offset:         32
        .size:           8
        .value_kind:     global_buffer
      - .actual_access:  read_only
        .address_space:  global
        .offset:         40
        .size:           8
        .value_kind:     global_buffer
      - .actual_access:  write_only
        .address_space:  global
        .offset:         48
        .size:           8
        .value_kind:     global_buffer
      - .actual_access:  read_only
        .address_space:  global
        .offset:         56
        .size:           8
        .value_kind:     global_buffer
      - .offset:         64
        .size:           4
        .value_kind:     hidden_block_count_x
      - .offset:         68
        .size:           4
        .value_kind:     hidden_block_count_y
      - .offset:         72
        .size:           4
        .value_kind:     hidden_block_count_z
      - .offset:         76
        .size:           2
        .value_kind:     hidden_group_size_x
      - .offset:         78
        .size:           2
        .value_kind:     hidden_group_size_y
      - .offset:         80
        .size:           2
        .value_kind:     hidden_group_size_z
      - .offset:         82
        .size:           2
        .value_kind:     hidden_remainder_x
      - .offset:         84
        .size:           2
        .value_kind:     hidden_remainder_y
      - .offset:         86
        .size:           2
        .value_kind:     hidden_remainder_z
      - .offset:         104
        .size:           8
        .value_kind:     hidden_global_offset_x
      - .offset:         112
        .size:           8
        .value_kind:     hidden_global_offset_y
      - .offset:         120
        .size:           8
        .value_kind:     hidden_global_offset_z
      - .offset:         128
        .size:           2
        .value_kind:     hidden_grid_dims
    .group_segment_fixed_size: 0
    .kernarg_segment_align: 8
    .kernarg_segment_size: 320
    .language:       OpenCL C
    .language_version:
      - 2
      - 0
    .max_flat_workgroup_size: 64
    .name:           _ZN2at6native12_GLOBAL__N_135GammaBetaBackwardCUDAKernelTemplateIN3c108BFloat16EfLj64ELj1ELj32ELb1ELb1ELb1EEEvllPKT_S7_PKT0_SA_PS5_SB_
    .private_segment_fixed_size: 0
    .sgpr_count:     36
    .sgpr_spill_count: 0
    .symbol:         _ZN2at6native12_GLOBAL__N_135GammaBetaBackwardCUDAKernelTemplateIN3c108BFloat16EfLj64ELj1ELj32ELb1ELb1ELb1EEEvllPKT_S7_PKT0_SA_PS5_SB_.kd
    .uniform_work_group_size: 1
    .uses_dynamic_stack: false
    .vgpr_count:     67
    .vgpr_spill_count: 0
    .wavefront_size: 64
  - .agpr_count:     96
    .args:
      - .offset:         0
        .size:           8
        .value_kind:     by_value
      - .offset:         8
        .size:           8
        .value_kind:     by_value
      - .actual_access:  read_only
        .address_space:  global
        .offset:         16
        .size:           8
        .value_kind:     global_buffer
      - .actual_access:  read_only
        .address_space:  global
        .offset:         24
        .size:           8
        .value_kind:     global_buffer
      - .actual_access:  read_only
        .address_space:  global
        .offset:         32
        .size:           8
        .value_kind:     global_buffer
      - .actual_access:  read_only
        .address_space:  global
        .offset:         40
        .size:           8
        .value_kind:     global_buffer
      - .actual_access:  write_only
        .address_space:  global
        .offset:         48
        .size:           8
        .value_kind:     global_buffer
      - .actual_access:  read_only
        .address_space:  global
        .offset:         56
        .size:           8
        .value_kind:     global_buffer
      - .offset:         64
        .size:           4
        .value_kind:     hidden_block_count_x
      - .offset:         68
        .size:           4
        .value_kind:     hidden_block_count_y
      - .offset:         72
        .size:           4
        .value_kind:     hidden_block_count_z
      - .offset:         76
        .size:           2
        .value_kind:     hidden_group_size_x
      - .offset:         78
        .size:           2
        .value_kind:     hidden_group_size_y
      - .offset:         80
        .size:           2
        .value_kind:     hidden_group_size_z
      - .offset:         82
        .size:           2
        .value_kind:     hidden_remainder_x
      - .offset:         84
        .size:           2
        .value_kind:     hidden_remainder_y
      - .offset:         86
        .size:           2
        .value_kind:     hidden_remainder_z
      - .offset:         104
        .size:           8
        .value_kind:     hidden_global_offset_x
      - .offset:         112
        .size:           8
        .value_kind:     hidden_global_offset_y
      - .offset:         120
        .size:           8
        .value_kind:     hidden_global_offset_z
      - .offset:         128
        .size:           2
        .value_kind:     hidden_grid_dims
    .group_segment_fixed_size: 0
    .kernarg_segment_align: 8
    .kernarg_segment_size: 320
    .language:       OpenCL C
    .language_version:
      - 2
      - 0
    .max_flat_workgroup_size: 64
    .name:           _ZN2at6native12_GLOBAL__N_135GammaBetaBackwardCUDAKernelTemplateIN3c108BFloat16EfLj64ELj1ELj32ELb1ELb0ELb1EEEvllPKT_S7_PKT0_SA_PS5_SB_
    .private_segment_fixed_size: 0
    .sgpr_count:     40
    .sgpr_spill_count: 0
    .symbol:         _ZN2at6native12_GLOBAL__N_135GammaBetaBackwardCUDAKernelTemplateIN3c108BFloat16EfLj64ELj1ELj32ELb1ELb0ELb1EEEvllPKT_S7_PKT0_SA_PS5_SB_.kd
    .uniform_work_group_size: 1
    .uses_dynamic_stack: false
    .vgpr_count:     352
    .vgpr_spill_count: 0
    .wavefront_size: 64
  - .agpr_count:     0
    .args:
      - .offset:         0
        .size:           8
        .value_kind:     by_value
      - .offset:         8
        .size:           8
        .value_kind:     by_value
      - .actual_access:  read_only
        .address_space:  global
        .offset:         16
        .size:           8
        .value_kind:     global_buffer
      - .actual_access:  read_only
        .address_space:  global
        .offset:         24
        .size:           8
        .value_kind:     global_buffer
      - .actual_access:  read_only
        .address_space:  global
        .offset:         32
        .size:           8
        .value_kind:     global_buffer
      - .actual_access:  read_only
        .address_space:  global
        .offset:         40
        .size:           8
        .value_kind:     global_buffer
      - .actual_access:  write_only
        .address_space:  global
        .offset:         48
        .size:           8
        .value_kind:     global_buffer
      - .actual_access:  read_only
        .address_space:  global
        .offset:         56
        .size:           8
        .value_kind:     global_buffer
      - .offset:         64
        .size:           4
        .value_kind:     hidden_block_count_x
      - .offset:         68
        .size:           4
        .value_kind:     hidden_block_count_y
      - .offset:         72
        .size:           4
        .value_kind:     hidden_block_count_z
      - .offset:         76
        .size:           2
        .value_kind:     hidden_group_size_x
      - .offset:         78
        .size:           2
        .value_kind:     hidden_group_size_y
      - .offset:         80
        .size:           2
        .value_kind:     hidden_group_size_z
      - .offset:         82
        .size:           2
        .value_kind:     hidden_remainder_x
      - .offset:         84
        .size:           2
        .value_kind:     hidden_remainder_y
      - .offset:         86
        .size:           2
        .value_kind:     hidden_remainder_z
      - .offset:         104
        .size:           8
        .value_kind:     hidden_global_offset_x
      - .offset:         112
        .size:           8
        .value_kind:     hidden_global_offset_y
      - .offset:         120
        .size:           8
        .value_kind:     hidden_global_offset_z
      - .offset:         128
        .size:           2
        .value_kind:     hidden_grid_dims
    .group_segment_fixed_size: 0
    .kernarg_segment_align: 8
    .kernarg_segment_size: 320
    .language:       OpenCL C
    .language_version:
      - 2
      - 0
    .max_flat_workgroup_size: 64
    .name:           _ZN2at6native12_GLOBAL__N_135GammaBetaBackwardCUDAKernelTemplateIN3c108BFloat16EfLj64ELj1ELj8ELb1ELb1ELb1EEEvllPKT_S7_PKT0_SA_PS5_SB_
    .private_segment_fixed_size: 0
    .sgpr_count:     36
    .sgpr_spill_count: 0
    .symbol:         _ZN2at6native12_GLOBAL__N_135GammaBetaBackwardCUDAKernelTemplateIN3c108BFloat16EfLj64ELj1ELj8ELb1ELb1ELb1EEEvllPKT_S7_PKT0_SA_PS5_SB_.kd
    .uniform_work_group_size: 1
    .uses_dynamic_stack: false
    .vgpr_count:     56
    .vgpr_spill_count: 0
    .wavefront_size: 64
  - .agpr_count:     0
    .args:
      - .offset:         0
        .size:           8
        .value_kind:     by_value
      - .offset:         8
        .size:           8
        .value_kind:     by_value
      - .actual_access:  read_only
        .address_space:  global
        .offset:         16
        .size:           8
        .value_kind:     global_buffer
      - .actual_access:  read_only
        .address_space:  global
        .offset:         24
        .size:           8
        .value_kind:     global_buffer
      - .actual_access:  read_only
        .address_space:  global
        .offset:         32
        .size:           8
        .value_kind:     global_buffer
      - .actual_access:  read_only
        .address_space:  global
        .offset:         40
        .size:           8
        .value_kind:     global_buffer
      - .actual_access:  write_only
        .address_space:  global
        .offset:         48
        .size:           8
        .value_kind:     global_buffer
      - .actual_access:  read_only
        .address_space:  global
        .offset:         56
        .size:           8
        .value_kind:     global_buffer
      - .offset:         64
        .size:           4
        .value_kind:     hidden_block_count_x
      - .offset:         68
        .size:           4
        .value_kind:     hidden_block_count_y
      - .offset:         72
        .size:           4
        .value_kind:     hidden_block_count_z
      - .offset:         76
        .size:           2
        .value_kind:     hidden_group_size_x
      - .offset:         78
        .size:           2
        .value_kind:     hidden_group_size_y
      - .offset:         80
        .size:           2
        .value_kind:     hidden_group_size_z
      - .offset:         82
        .size:           2
        .value_kind:     hidden_remainder_x
      - .offset:         84
        .size:           2
        .value_kind:     hidden_remainder_y
      - .offset:         86
        .size:           2
        .value_kind:     hidden_remainder_z
      - .offset:         104
        .size:           8
        .value_kind:     hidden_global_offset_x
      - .offset:         112
        .size:           8
        .value_kind:     hidden_global_offset_y
      - .offset:         120
        .size:           8
        .value_kind:     hidden_global_offset_z
      - .offset:         128
        .size:           2
        .value_kind:     hidden_grid_dims
    .group_segment_fixed_size: 0
    .kernarg_segment_align: 8
    .kernarg_segment_size: 320
    .language:       OpenCL C
    .language_version:
      - 2
      - 0
    .max_flat_workgroup_size: 64
    .name:           _ZN2at6native12_GLOBAL__N_135GammaBetaBackwardCUDAKernelTemplateIN3c108BFloat16EfLj64ELj1ELj8ELb1ELb0ELb1EEEvllPKT_S7_PKT0_SA_PS5_SB_
    .private_segment_fixed_size: 0
    .sgpr_count:     48
    .sgpr_spill_count: 0
    .symbol:         _ZN2at6native12_GLOBAL__N_135GammaBetaBackwardCUDAKernelTemplateIN3c108BFloat16EfLj64ELj1ELj8ELb1ELb0ELb1EEEvllPKT_S7_PKT0_SA_PS5_SB_.kd
    .uniform_work_group_size: 1
    .uses_dynamic_stack: false
    .vgpr_count:     100
    .vgpr_spill_count: 0
    .wavefront_size: 64
  - .agpr_count:     0
    .args:
      - .offset:         0
        .size:           8
        .value_kind:     by_value
      - .offset:         8
        .size:           8
        .value_kind:     by_value
      - .actual_access:  read_only
        .address_space:  global
        .offset:         16
        .size:           8
        .value_kind:     global_buffer
      - .actual_access:  read_only
        .address_space:  global
        .offset:         24
        .size:           8
        .value_kind:     global_buffer
      - .actual_access:  read_only
        .address_space:  global
        .offset:         32
        .size:           8
        .value_kind:     global_buffer
      - .actual_access:  read_only
        .address_space:  global
        .offset:         40
        .size:           8
        .value_kind:     global_buffer
      - .actual_access:  write_only
        .address_space:  global
        .offset:         48
        .size:           8
        .value_kind:     global_buffer
      - .actual_access:  read_only
        .address_space:  global
        .offset:         56
        .size:           8
        .value_kind:     global_buffer
      - .offset:         64
        .size:           4
        .value_kind:     hidden_block_count_x
      - .offset:         68
        .size:           4
        .value_kind:     hidden_block_count_y
      - .offset:         72
        .size:           4
        .value_kind:     hidden_block_count_z
      - .offset:         76
        .size:           2
        .value_kind:     hidden_group_size_x
      - .offset:         78
        .size:           2
        .value_kind:     hidden_group_size_y
      - .offset:         80
        .size:           2
        .value_kind:     hidden_group_size_z
      - .offset:         82
        .size:           2
        .value_kind:     hidden_remainder_x
      - .offset:         84
        .size:           2
        .value_kind:     hidden_remainder_y
      - .offset:         86
        .size:           2
        .value_kind:     hidden_remainder_z
      - .offset:         104
        .size:           8
        .value_kind:     hidden_global_offset_x
      - .offset:         112
        .size:           8
        .value_kind:     hidden_global_offset_y
      - .offset:         120
        .size:           8
        .value_kind:     hidden_global_offset_z
      - .offset:         128
        .size:           2
        .value_kind:     hidden_grid_dims
      - .offset:         184
        .size:           4
        .value_kind:     hidden_dynamic_lds_size
    .group_segment_fixed_size: 0
    .kernarg_segment_align: 8
    .kernarg_segment_size: 320
    .language:       OpenCL C
    .language_version:
      - 2
      - 0
    .max_flat_workgroup_size: 512
    .name:           _ZN2at6native12_GLOBAL__N_135GammaBetaBackwardCUDAKernelTemplateIN3c108BFloat16EfLj64ELj8ELj64ELb0ELb1ELb1EEEvllPKT_S7_PKT0_SA_PS5_SB_
    .private_segment_fixed_size: 0
    .sgpr_count:     30
    .sgpr_spill_count: 0
    .symbol:         _ZN2at6native12_GLOBAL__N_135GammaBetaBackwardCUDAKernelTemplateIN3c108BFloat16EfLj64ELj8ELj64ELb0ELb1ELb1EEEvllPKT_S7_PKT0_SA_PS5_SB_.kd
    .uniform_work_group_size: 1
    .uses_dynamic_stack: false
    .vgpr_count:     57
    .vgpr_spill_count: 0
    .wavefront_size: 64
  - .agpr_count:     0
    .args:
      - .offset:         0
        .size:           8
        .value_kind:     by_value
      - .offset:         8
        .size:           8
        .value_kind:     by_value
      - .actual_access:  read_only
        .address_space:  global
        .offset:         16
        .size:           8
        .value_kind:     global_buffer
      - .actual_access:  read_only
        .address_space:  global
        .offset:         24
        .size:           8
        .value_kind:     global_buffer
      - .actual_access:  read_only
        .address_space:  global
        .offset:         32
        .size:           8
        .value_kind:     global_buffer
      - .actual_access:  read_only
        .address_space:  global
        .offset:         40
        .size:           8
        .value_kind:     global_buffer
      - .actual_access:  write_only
        .address_space:  global
        .offset:         48
        .size:           8
        .value_kind:     global_buffer
      - .actual_access:  read_only
        .address_space:  global
        .offset:         56
        .size:           8
        .value_kind:     global_buffer
      - .offset:         64
        .size:           4
        .value_kind:     hidden_block_count_x
      - .offset:         68
        .size:           4
        .value_kind:     hidden_block_count_y
      - .offset:         72
        .size:           4
        .value_kind:     hidden_block_count_z
      - .offset:         76
        .size:           2
        .value_kind:     hidden_group_size_x
      - .offset:         78
        .size:           2
        .value_kind:     hidden_group_size_y
      - .offset:         80
        .size:           2
        .value_kind:     hidden_group_size_z
      - .offset:         82
        .size:           2
        .value_kind:     hidden_remainder_x
      - .offset:         84
        .size:           2
        .value_kind:     hidden_remainder_y
      - .offset:         86
        .size:           2
        .value_kind:     hidden_remainder_z
      - .offset:         104
        .size:           8
        .value_kind:     hidden_global_offset_x
      - .offset:         112
        .size:           8
        .value_kind:     hidden_global_offset_y
      - .offset:         120
        .size:           8
        .value_kind:     hidden_global_offset_z
      - .offset:         128
        .size:           2
        .value_kind:     hidden_grid_dims
      - .offset:         184
        .size:           4
        .value_kind:     hidden_dynamic_lds_size
    .group_segment_fixed_size: 0
    .kernarg_segment_align: 8
    .kernarg_segment_size: 320
    .language:       OpenCL C
    .language_version:
      - 2
      - 0
    .max_flat_workgroup_size: 512
    .name:           _ZN2at6native12_GLOBAL__N_135GammaBetaBackwardCUDAKernelTemplateIN3c108BFloat16EfLj64ELj8ELj64ELb0ELb0ELb1EEEvllPKT_S7_PKT0_SA_PS5_SB_
    .private_segment_fixed_size: 0
    .sgpr_count:     46
    .sgpr_spill_count: 0
    .symbol:         _ZN2at6native12_GLOBAL__N_135GammaBetaBackwardCUDAKernelTemplateIN3c108BFloat16EfLj64ELj8ELj64ELb0ELb0ELb1EEEvllPKT_S7_PKT0_SA_PS5_SB_.kd
    .uniform_work_group_size: 1
    .uses_dynamic_stack: false
    .vgpr_count:     100
    .vgpr_spill_count: 0
    .wavefront_size: 64
  - .agpr_count:     0
    .args:
      - .offset:         0
        .size:           8
        .value_kind:     by_value
      - .offset:         8
        .size:           8
        .value_kind:     by_value
      - .actual_access:  read_only
        .address_space:  global
        .offset:         16
        .size:           8
        .value_kind:     global_buffer
      - .actual_access:  read_only
        .address_space:  global
        .offset:         24
        .size:           8
        .value_kind:     global_buffer
      - .actual_access:  read_only
        .address_space:  global
        .offset:         32
        .size:           8
        .value_kind:     global_buffer
      - .actual_access:  read_only
        .address_space:  global
        .offset:         40
        .size:           8
        .value_kind:     global_buffer
      - .actual_access:  write_only
        .address_space:  global
        .offset:         48
        .size:           8
        .value_kind:     global_buffer
      - .actual_access:  read_only
        .address_space:  global
        .offset:         56
        .size:           8
        .value_kind:     global_buffer
      - .offset:         64
        .size:           4
        .value_kind:     hidden_block_count_x
      - .offset:         68
        .size:           4
        .value_kind:     hidden_block_count_y
      - .offset:         72
        .size:           4
        .value_kind:     hidden_block_count_z
      - .offset:         76
        .size:           2
        .value_kind:     hidden_group_size_x
      - .offset:         78
        .size:           2
        .value_kind:     hidden_group_size_y
      - .offset:         80
        .size:           2
        .value_kind:     hidden_group_size_z
      - .offset:         82
        .size:           2
        .value_kind:     hidden_remainder_x
      - .offset:         84
        .size:           2
        .value_kind:     hidden_remainder_y
      - .offset:         86
        .size:           2
        .value_kind:     hidden_remainder_z
      - .offset:         104
        .size:           8
        .value_kind:     hidden_global_offset_x
      - .offset:         112
        .size:           8
        .value_kind:     hidden_global_offset_y
      - .offset:         120
        .size:           8
        .value_kind:     hidden_global_offset_z
      - .offset:         128
        .size:           2
        .value_kind:     hidden_grid_dims
      - .offset:         184
        .size:           4
        .value_kind:     hidden_dynamic_lds_size
    .group_segment_fixed_size: 0
    .kernarg_segment_align: 8
    .kernarg_segment_size: 320
    .language:       OpenCL C
    .language_version:
      - 2
      - 0
    .max_flat_workgroup_size: 1024
    .name:           _ZN2at6native12_GLOBAL__N_135GammaBetaBackwardCUDAKernelTemplateIN3c108BFloat16EfLj64ELj16ELj128ELb0ELb1ELb1EEEvllPKT_S7_PKT0_SA_PS5_SB_
    .private_segment_fixed_size: 0
    .sgpr_count:     30
    .sgpr_spill_count: 0
    .symbol:         _ZN2at6native12_GLOBAL__N_135GammaBetaBackwardCUDAKernelTemplateIN3c108BFloat16EfLj64ELj16ELj128ELb0ELb1ELb1EEEvllPKT_S7_PKT0_SA_PS5_SB_.kd
    .uniform_work_group_size: 1
    .uses_dynamic_stack: false
    .vgpr_count:     57
    .vgpr_spill_count: 0
    .wavefront_size: 64
  - .agpr_count:     0
    .args:
      - .offset:         0
        .size:           8
        .value_kind:     by_value
      - .offset:         8
        .size:           8
        .value_kind:     by_value
      - .actual_access:  read_only
        .address_space:  global
        .offset:         16
        .size:           8
        .value_kind:     global_buffer
      - .actual_access:  read_only
        .address_space:  global
        .offset:         24
        .size:           8
        .value_kind:     global_buffer
      - .actual_access:  read_only
        .address_space:  global
        .offset:         32
        .size:           8
        .value_kind:     global_buffer
      - .actual_access:  read_only
        .address_space:  global
        .offset:         40
        .size:           8
        .value_kind:     global_buffer
      - .actual_access:  write_only
        .address_space:  global
        .offset:         48
        .size:           8
        .value_kind:     global_buffer
      - .actual_access:  read_only
        .address_space:  global
        .offset:         56
        .size:           8
        .value_kind:     global_buffer
      - .offset:         64
        .size:           4
        .value_kind:     hidden_block_count_x
      - .offset:         68
        .size:           4
        .value_kind:     hidden_block_count_y
      - .offset:         72
        .size:           4
        .value_kind:     hidden_block_count_z
      - .offset:         76
        .size:           2
        .value_kind:     hidden_group_size_x
      - .offset:         78
        .size:           2
        .value_kind:     hidden_group_size_y
      - .offset:         80
        .size:           2
        .value_kind:     hidden_group_size_z
      - .offset:         82
        .size:           2
        .value_kind:     hidden_remainder_x
      - .offset:         84
        .size:           2
        .value_kind:     hidden_remainder_y
      - .offset:         86
        .size:           2
        .value_kind:     hidden_remainder_z
      - .offset:         104
        .size:           8
        .value_kind:     hidden_global_offset_x
      - .offset:         112
        .size:           8
        .value_kind:     hidden_global_offset_y
      - .offset:         120
        .size:           8
        .value_kind:     hidden_global_offset_z
      - .offset:         128
        .size:           2
        .value_kind:     hidden_grid_dims
      - .offset:         184
        .size:           4
        .value_kind:     hidden_dynamic_lds_size
    .group_segment_fixed_size: 0
    .kernarg_segment_align: 8
    .kernarg_segment_size: 320
    .language:       OpenCL C
    .language_version:
      - 2
      - 0
    .max_flat_workgroup_size: 1024
    .name:           _ZN2at6native12_GLOBAL__N_135GammaBetaBackwardCUDAKernelTemplateIN3c108BFloat16EfLj64ELj16ELj128ELb0ELb0ELb1EEEvllPKT_S7_PKT0_SA_PS5_SB_
    .private_segment_fixed_size: 0
    .sgpr_count:     46
    .sgpr_spill_count: 0
    .symbol:         _ZN2at6native12_GLOBAL__N_135GammaBetaBackwardCUDAKernelTemplateIN3c108BFloat16EfLj64ELj16ELj128ELb0ELb0ELb1EEEvllPKT_S7_PKT0_SA_PS5_SB_.kd
    .uniform_work_group_size: 1
    .uses_dynamic_stack: false
    .vgpr_count:     96
    .vgpr_spill_count: 0
    .wavefront_size: 64
  - .agpr_count:     0
    .args:
      - .offset:         0
        .size:           8
        .value_kind:     by_value
      - .offset:         8
        .size:           8
        .value_kind:     by_value
      - .actual_access:  read_only
        .address_space:  global
        .offset:         16
        .size:           8
        .value_kind:     global_buffer
      - .actual_access:  read_only
        .address_space:  global
        .offset:         24
        .size:           8
        .value_kind:     global_buffer
      - .actual_access:  read_only
        .address_space:  global
        .offset:         32
        .size:           8
        .value_kind:     global_buffer
      - .actual_access:  read_only
        .address_space:  global
        .offset:         40
        .size:           8
        .value_kind:     global_buffer
      - .actual_access:  write_only
        .address_space:  global
        .offset:         48
        .size:           8
        .value_kind:     global_buffer
      - .actual_access:  read_only
        .address_space:  global
        .offset:         56
        .size:           8
        .value_kind:     global_buffer
      - .offset:         64
        .size:           4
        .value_kind:     hidden_block_count_x
      - .offset:         68
        .size:           4
        .value_kind:     hidden_block_count_y
      - .offset:         72
        .size:           4
        .value_kind:     hidden_block_count_z
      - .offset:         76
        .size:           2
        .value_kind:     hidden_group_size_x
      - .offset:         78
        .size:           2
        .value_kind:     hidden_group_size_y
      - .offset:         80
        .size:           2
        .value_kind:     hidden_group_size_z
      - .offset:         82
        .size:           2
        .value_kind:     hidden_remainder_x
      - .offset:         84
        .size:           2
        .value_kind:     hidden_remainder_y
      - .offset:         86
        .size:           2
        .value_kind:     hidden_remainder_z
      - .offset:         104
        .size:           8
        .value_kind:     hidden_global_offset_x
      - .offset:         112
        .size:           8
        .value_kind:     hidden_global_offset_y
      - .offset:         120
        .size:           8
        .value_kind:     hidden_global_offset_z
      - .offset:         128
        .size:           2
        .value_kind:     hidden_grid_dims
      - .offset:         184
        .size:           4
        .value_kind:     hidden_dynamic_lds_size
    .group_segment_fixed_size: 0
    .kernarg_segment_align: 8
    .kernarg_segment_size: 320
    .language:       OpenCL C
    .language_version:
      - 2
      - 0
    .max_flat_workgroup_size: 1024
    .name:           _ZN2at6native12_GLOBAL__N_135GammaBetaBackwardCUDAKernelTemplateIN3c108BFloat16EfLj64ELj16ELj256ELb0ELb1ELb1EEEvllPKT_S7_PKT0_SA_PS5_SB_
    .private_segment_fixed_size: 0
    .sgpr_count:     30
    .sgpr_spill_count: 0
    .symbol:         _ZN2at6native12_GLOBAL__N_135GammaBetaBackwardCUDAKernelTemplateIN3c108BFloat16EfLj64ELj16ELj256ELb0ELb1ELb1EEEvllPKT_S7_PKT0_SA_PS5_SB_.kd
    .uniform_work_group_size: 1
    .uses_dynamic_stack: false
    .vgpr_count:     65
    .vgpr_spill_count: 0
    .wavefront_size: 64
  - .agpr_count:     0
    .args:
      - .offset:         0
        .size:           8
        .value_kind:     by_value
      - .offset:         8
        .size:           8
        .value_kind:     by_value
      - .actual_access:  read_only
        .address_space:  global
        .offset:         16
        .size:           8
        .value_kind:     global_buffer
      - .actual_access:  read_only
        .address_space:  global
        .offset:         24
        .size:           8
        .value_kind:     global_buffer
      - .actual_access:  read_only
        .address_space:  global
        .offset:         32
        .size:           8
        .value_kind:     global_buffer
      - .actual_access:  read_only
        .address_space:  global
        .offset:         40
        .size:           8
        .value_kind:     global_buffer
      - .actual_access:  write_only
        .address_space:  global
        .offset:         48
        .size:           8
        .value_kind:     global_buffer
      - .actual_access:  read_only
        .address_space:  global
        .offset:         56
        .size:           8
        .value_kind:     global_buffer
      - .offset:         64
        .size:           4
        .value_kind:     hidden_block_count_x
      - .offset:         68
        .size:           4
        .value_kind:     hidden_block_count_y
      - .offset:         72
        .size:           4
        .value_kind:     hidden_block_count_z
      - .offset:         76
        .size:           2
        .value_kind:     hidden_group_size_x
      - .offset:         78
        .size:           2
        .value_kind:     hidden_group_size_y
      - .offset:         80
        .size:           2
        .value_kind:     hidden_group_size_z
      - .offset:         82
        .size:           2
        .value_kind:     hidden_remainder_x
      - .offset:         84
        .size:           2
        .value_kind:     hidden_remainder_y
      - .offset:         86
        .size:           2
        .value_kind:     hidden_remainder_z
      - .offset:         104
        .size:           8
        .value_kind:     hidden_global_offset_x
      - .offset:         112
        .size:           8
        .value_kind:     hidden_global_offset_y
      - .offset:         120
        .size:           8
        .value_kind:     hidden_global_offset_z
      - .offset:         128
        .size:           2
        .value_kind:     hidden_grid_dims
      - .offset:         184
        .size:           4
        .value_kind:     hidden_dynamic_lds_size
    .group_segment_fixed_size: 0
    .kernarg_segment_align: 8
    .kernarg_segment_size: 320
    .language:       OpenCL C
    .language_version:
      - 2
      - 0
    .max_flat_workgroup_size: 1024
    .name:           _ZN2at6native12_GLOBAL__N_135GammaBetaBackwardCUDAKernelTemplateIN3c108BFloat16EfLj64ELj16ELj256ELb0ELb0ELb1EEEvllPKT_S7_PKT0_SA_PS5_SB_
    .private_segment_fixed_size: 432
    .sgpr_count:     60
    .sgpr_spill_count: 0
    .symbol:         _ZN2at6native12_GLOBAL__N_135GammaBetaBackwardCUDAKernelTemplateIN3c108BFloat16EfLj64ELj16ELj256ELb0ELb0ELb1EEEvllPKT_S7_PKT0_SA_PS5_SB_.kd
    .uniform_work_group_size: 1
    .uses_dynamic_stack: false
    .vgpr_count:     128
    .vgpr_spill_count: 209
    .wavefront_size: 64
  - .agpr_count:     0
    .args:
      - .offset:         0
        .size:           8
        .value_kind:     by_value
      - .offset:         8
        .size:           8
        .value_kind:     by_value
      - .actual_access:  read_only
        .address_space:  global
        .offset:         16
        .size:           8
        .value_kind:     global_buffer
      - .actual_access:  read_only
        .address_space:  global
        .offset:         24
        .size:           8
        .value_kind:     global_buffer
      - .actual_access:  read_only
        .address_space:  global
        .offset:         32
        .size:           8
        .value_kind:     global_buffer
      - .actual_access:  read_only
        .address_space:  global
        .offset:         40
        .size:           8
        .value_kind:     global_buffer
      - .actual_access:  write_only
        .address_space:  global
        .offset:         48
        .size:           8
        .value_kind:     global_buffer
      - .actual_access:  read_only
        .address_space:  global
        .offset:         56
        .size:           8
        .value_kind:     global_buffer
      - .offset:         64
        .size:           4
        .value_kind:     hidden_block_count_x
      - .offset:         68
        .size:           4
        .value_kind:     hidden_block_count_y
      - .offset:         72
        .size:           4
        .value_kind:     hidden_block_count_z
      - .offset:         76
        .size:           2
        .value_kind:     hidden_group_size_x
      - .offset:         78
        .size:           2
        .value_kind:     hidden_group_size_y
      - .offset:         80
        .size:           2
        .value_kind:     hidden_group_size_z
      - .offset:         82
        .size:           2
        .value_kind:     hidden_remainder_x
      - .offset:         84
        .size:           2
        .value_kind:     hidden_remainder_y
      - .offset:         86
        .size:           2
        .value_kind:     hidden_remainder_z
      - .offset:         104
        .size:           8
        .value_kind:     hidden_global_offset_x
      - .offset:         112
        .size:           8
        .value_kind:     hidden_global_offset_y
      - .offset:         120
        .size:           8
        .value_kind:     hidden_global_offset_z
      - .offset:         128
        .size:           2
        .value_kind:     hidden_grid_dims
    .group_segment_fixed_size: 0
    .kernarg_segment_align: 8
    .kernarg_segment_size: 320
    .language:       OpenCL C
    .language_version:
      - 2
      - 0
    .max_flat_workgroup_size: 32
    .name:           _ZN2at6native12_GLOBAL__N_135GammaBetaBackwardCUDAKernelTemplateIN3c108BFloat16EfLj32ELj1ELj32ELb1ELb1ELb1EEEvllPKT_S7_PKT0_SA_PS5_SB_
    .private_segment_fixed_size: 0
    .sgpr_count:     36
    .sgpr_spill_count: 0
    .symbol:         _ZN2at6native12_GLOBAL__N_135GammaBetaBackwardCUDAKernelTemplateIN3c108BFloat16EfLj32ELj1ELj32ELb1ELb1ELb1EEEvllPKT_S7_PKT0_SA_PS5_SB_.kd
    .uniform_work_group_size: 1
    .uses_dynamic_stack: false
    .vgpr_count:     67
    .vgpr_spill_count: 0
    .wavefront_size: 64
  - .agpr_count:     96
    .args:
      - .offset:         0
        .size:           8
        .value_kind:     by_value
      - .offset:         8
        .size:           8
        .value_kind:     by_value
      - .actual_access:  read_only
        .address_space:  global
        .offset:         16
        .size:           8
        .value_kind:     global_buffer
      - .actual_access:  read_only
        .address_space:  global
        .offset:         24
        .size:           8
        .value_kind:     global_buffer
      - .actual_access:  read_only
        .address_space:  global
        .offset:         32
        .size:           8
        .value_kind:     global_buffer
      - .actual_access:  read_only
        .address_space:  global
        .offset:         40
        .size:           8
        .value_kind:     global_buffer
      - .actual_access:  write_only
        .address_space:  global
        .offset:         48
        .size:           8
        .value_kind:     global_buffer
      - .actual_access:  read_only
        .address_space:  global
        .offset:         56
        .size:           8
        .value_kind:     global_buffer
      - .offset:         64
        .size:           4
        .value_kind:     hidden_block_count_x
      - .offset:         68
        .size:           4
        .value_kind:     hidden_block_count_y
      - .offset:         72
        .size:           4
        .value_kind:     hidden_block_count_z
      - .offset:         76
        .size:           2
        .value_kind:     hidden_group_size_x
      - .offset:         78
        .size:           2
        .value_kind:     hidden_group_size_y
      - .offset:         80
        .size:           2
        .value_kind:     hidden_group_size_z
      - .offset:         82
        .size:           2
        .value_kind:     hidden_remainder_x
      - .offset:         84
        .size:           2
        .value_kind:     hidden_remainder_y
      - .offset:         86
        .size:           2
        .value_kind:     hidden_remainder_z
      - .offset:         104
        .size:           8
        .value_kind:     hidden_global_offset_x
      - .offset:         112
        .size:           8
        .value_kind:     hidden_global_offset_y
      - .offset:         120
        .size:           8
        .value_kind:     hidden_global_offset_z
      - .offset:         128
        .size:           2
        .value_kind:     hidden_grid_dims
    .group_segment_fixed_size: 0
    .kernarg_segment_align: 8
    .kernarg_segment_size: 320
    .language:       OpenCL C
    .language_version:
      - 2
      - 0
    .max_flat_workgroup_size: 32
    .name:           _ZN2at6native12_GLOBAL__N_135GammaBetaBackwardCUDAKernelTemplateIN3c108BFloat16EfLj32ELj1ELj32ELb1ELb0ELb1EEEvllPKT_S7_PKT0_SA_PS5_SB_
    .private_segment_fixed_size: 0
    .sgpr_count:     40
    .sgpr_spill_count: 0
    .symbol:         _ZN2at6native12_GLOBAL__N_135GammaBetaBackwardCUDAKernelTemplateIN3c108BFloat16EfLj32ELj1ELj32ELb1ELb0ELb1EEEvllPKT_S7_PKT0_SA_PS5_SB_.kd
    .uniform_work_group_size: 1
    .uses_dynamic_stack: false
    .vgpr_count:     352
    .vgpr_spill_count: 0
    .wavefront_size: 64
  - .agpr_count:     0
    .args:
      - .offset:         0
        .size:           8
        .value_kind:     by_value
      - .offset:         8
        .size:           8
        .value_kind:     by_value
      - .actual_access:  read_only
        .address_space:  global
        .offset:         16
        .size:           8
        .value_kind:     global_buffer
      - .actual_access:  read_only
        .address_space:  global
        .offset:         24
        .size:           8
        .value_kind:     global_buffer
      - .actual_access:  read_only
        .address_space:  global
        .offset:         32
        .size:           8
        .value_kind:     global_buffer
      - .actual_access:  read_only
        .address_space:  global
        .offset:         40
        .size:           8
        .value_kind:     global_buffer
      - .actual_access:  write_only
        .address_space:  global
        .offset:         48
        .size:           8
        .value_kind:     global_buffer
      - .actual_access:  read_only
        .address_space:  global
        .offset:         56
        .size:           8
        .value_kind:     global_buffer
      - .offset:         64
        .size:           4
        .value_kind:     hidden_block_count_x
      - .offset:         68
        .size:           4
        .value_kind:     hidden_block_count_y
      - .offset:         72
        .size:           4
        .value_kind:     hidden_block_count_z
      - .offset:         76
        .size:           2
        .value_kind:     hidden_group_size_x
      - .offset:         78
        .size:           2
        .value_kind:     hidden_group_size_y
      - .offset:         80
        .size:           2
        .value_kind:     hidden_group_size_z
      - .offset:         82
        .size:           2
        .value_kind:     hidden_remainder_x
      - .offset:         84
        .size:           2
        .value_kind:     hidden_remainder_y
      - .offset:         86
        .size:           2
        .value_kind:     hidden_remainder_z
      - .offset:         104
        .size:           8
        .value_kind:     hidden_global_offset_x
      - .offset:         112
        .size:           8
        .value_kind:     hidden_global_offset_y
      - .offset:         120
        .size:           8
        .value_kind:     hidden_global_offset_z
      - .offset:         128
        .size:           2
        .value_kind:     hidden_grid_dims
    .group_segment_fixed_size: 0
    .kernarg_segment_align: 8
    .kernarg_segment_size: 320
    .language:       OpenCL C
    .language_version:
      - 2
      - 0
    .max_flat_workgroup_size: 32
    .name:           _ZN2at6native12_GLOBAL__N_135GammaBetaBackwardCUDAKernelTemplateIN3c108BFloat16EfLj32ELj1ELj8ELb1ELb1ELb1EEEvllPKT_S7_PKT0_SA_PS5_SB_
    .private_segment_fixed_size: 0
    .sgpr_count:     36
    .sgpr_spill_count: 0
    .symbol:         _ZN2at6native12_GLOBAL__N_135GammaBetaBackwardCUDAKernelTemplateIN3c108BFloat16EfLj32ELj1ELj8ELb1ELb1ELb1EEEvllPKT_S7_PKT0_SA_PS5_SB_.kd
    .uniform_work_group_size: 1
    .uses_dynamic_stack: false
    .vgpr_count:     56
    .vgpr_spill_count: 0
    .wavefront_size: 64
  - .agpr_count:     0
    .args:
      - .offset:         0
        .size:           8
        .value_kind:     by_value
      - .offset:         8
        .size:           8
        .value_kind:     by_value
      - .actual_access:  read_only
        .address_space:  global
        .offset:         16
        .size:           8
        .value_kind:     global_buffer
      - .actual_access:  read_only
        .address_space:  global
        .offset:         24
        .size:           8
        .value_kind:     global_buffer
      - .actual_access:  read_only
        .address_space:  global
        .offset:         32
        .size:           8
        .value_kind:     global_buffer
      - .actual_access:  read_only
        .address_space:  global
        .offset:         40
        .size:           8
        .value_kind:     global_buffer
      - .actual_access:  write_only
        .address_space:  global
        .offset:         48
        .size:           8
        .value_kind:     global_buffer
      - .actual_access:  read_only
        .address_space:  global
        .offset:         56
        .size:           8
        .value_kind:     global_buffer
      - .offset:         64
        .size:           4
        .value_kind:     hidden_block_count_x
      - .offset:         68
        .size:           4
        .value_kind:     hidden_block_count_y
      - .offset:         72
        .size:           4
        .value_kind:     hidden_block_count_z
      - .offset:         76
        .size:           2
        .value_kind:     hidden_group_size_x
      - .offset:         78
        .size:           2
        .value_kind:     hidden_group_size_y
      - .offset:         80
        .size:           2
        .value_kind:     hidden_group_size_z
      - .offset:         82
        .size:           2
        .value_kind:     hidden_remainder_x
      - .offset:         84
        .size:           2
        .value_kind:     hidden_remainder_y
      - .offset:         86
        .size:           2
        .value_kind:     hidden_remainder_z
      - .offset:         104
        .size:           8
        .value_kind:     hidden_global_offset_x
      - .offset:         112
        .size:           8
        .value_kind:     hidden_global_offset_y
      - .offset:         120
        .size:           8
        .value_kind:     hidden_global_offset_z
      - .offset:         128
        .size:           2
        .value_kind:     hidden_grid_dims
    .group_segment_fixed_size: 0
    .kernarg_segment_align: 8
    .kernarg_segment_size: 320
    .language:       OpenCL C
    .language_version:
      - 2
      - 0
    .max_flat_workgroup_size: 32
    .name:           _ZN2at6native12_GLOBAL__N_135GammaBetaBackwardCUDAKernelTemplateIN3c108BFloat16EfLj32ELj1ELj8ELb1ELb0ELb1EEEvllPKT_S7_PKT0_SA_PS5_SB_
    .private_segment_fixed_size: 0
    .sgpr_count:     48
    .sgpr_spill_count: 0
    .symbol:         _ZN2at6native12_GLOBAL__N_135GammaBetaBackwardCUDAKernelTemplateIN3c108BFloat16EfLj32ELj1ELj8ELb1ELb0ELb1EEEvllPKT_S7_PKT0_SA_PS5_SB_.kd
    .uniform_work_group_size: 1
    .uses_dynamic_stack: false
    .vgpr_count:     100
    .vgpr_spill_count: 0
    .wavefront_size: 64
  - .agpr_count:     0
    .args:
      - .offset:         0
        .size:           8
        .value_kind:     by_value
      - .offset:         8
        .size:           8
        .value_kind:     by_value
      - .actual_access:  read_only
        .address_space:  global
        .offset:         16
        .size:           8
        .value_kind:     global_buffer
      - .actual_access:  read_only
        .address_space:  global
        .offset:         24
        .size:           8
        .value_kind:     global_buffer
      - .actual_access:  read_only
        .address_space:  global
        .offset:         32
        .size:           8
        .value_kind:     global_buffer
      - .actual_access:  read_only
        .address_space:  global
        .offset:         40
        .size:           8
        .value_kind:     global_buffer
      - .actual_access:  write_only
        .address_space:  global
        .offset:         48
        .size:           8
        .value_kind:     global_buffer
      - .actual_access:  read_only
        .address_space:  global
        .offset:         56
        .size:           8
        .value_kind:     global_buffer
      - .offset:         64
        .size:           4
        .value_kind:     hidden_block_count_x
      - .offset:         68
        .size:           4
        .value_kind:     hidden_block_count_y
      - .offset:         72
        .size:           4
        .value_kind:     hidden_block_count_z
      - .offset:         76
        .size:           2
        .value_kind:     hidden_group_size_x
      - .offset:         78
        .size:           2
        .value_kind:     hidden_group_size_y
      - .offset:         80
        .size:           2
        .value_kind:     hidden_group_size_z
      - .offset:         82
        .size:           2
        .value_kind:     hidden_remainder_x
      - .offset:         84
        .size:           2
        .value_kind:     hidden_remainder_y
      - .offset:         86
        .size:           2
        .value_kind:     hidden_remainder_z
      - .offset:         104
        .size:           8
        .value_kind:     hidden_global_offset_x
      - .offset:         112
        .size:           8
        .value_kind:     hidden_global_offset_y
      - .offset:         120
        .size:           8
        .value_kind:     hidden_global_offset_z
      - .offset:         128
        .size:           2
        .value_kind:     hidden_grid_dims
      - .offset:         184
        .size:           4
        .value_kind:     hidden_dynamic_lds_size
    .group_segment_fixed_size: 0
    .kernarg_segment_align: 8
    .kernarg_segment_size: 320
    .language:       OpenCL C
    .language_version:
      - 2
      - 0
    .max_flat_workgroup_size: 256
    .name:           _ZN2at6native12_GLOBAL__N_135GammaBetaBackwardCUDAKernelTemplateIN3c108BFloat16EfLj32ELj8ELj64ELb0ELb1ELb1EEEvllPKT_S7_PKT0_SA_PS5_SB_
    .private_segment_fixed_size: 0
    .sgpr_count:     30
    .sgpr_spill_count: 0
    .symbol:         _ZN2at6native12_GLOBAL__N_135GammaBetaBackwardCUDAKernelTemplateIN3c108BFloat16EfLj32ELj8ELj64ELb0ELb1ELb1EEEvllPKT_S7_PKT0_SA_PS5_SB_.kd
    .uniform_work_group_size: 1
    .uses_dynamic_stack: false
    .vgpr_count:     57
    .vgpr_spill_count: 0
    .wavefront_size: 64
  - .agpr_count:     0
    .args:
      - .offset:         0
        .size:           8
        .value_kind:     by_value
      - .offset:         8
        .size:           8
        .value_kind:     by_value
      - .actual_access:  read_only
        .address_space:  global
        .offset:         16
        .size:           8
        .value_kind:     global_buffer
      - .actual_access:  read_only
        .address_space:  global
        .offset:         24
        .size:           8
        .value_kind:     global_buffer
      - .actual_access:  read_only
        .address_space:  global
        .offset:         32
        .size:           8
        .value_kind:     global_buffer
      - .actual_access:  read_only
        .address_space:  global
        .offset:         40
        .size:           8
        .value_kind:     global_buffer
      - .actual_access:  write_only
        .address_space:  global
        .offset:         48
        .size:           8
        .value_kind:     global_buffer
      - .actual_access:  read_only
        .address_space:  global
        .offset:         56
        .size:           8
        .value_kind:     global_buffer
      - .offset:         64
        .size:           4
        .value_kind:     hidden_block_count_x
      - .offset:         68
        .size:           4
        .value_kind:     hidden_block_count_y
      - .offset:         72
        .size:           4
        .value_kind:     hidden_block_count_z
      - .offset:         76
        .size:           2
        .value_kind:     hidden_group_size_x
      - .offset:         78
        .size:           2
        .value_kind:     hidden_group_size_y
      - .offset:         80
        .size:           2
        .value_kind:     hidden_group_size_z
      - .offset:         82
        .size:           2
        .value_kind:     hidden_remainder_x
      - .offset:         84
        .size:           2
        .value_kind:     hidden_remainder_y
      - .offset:         86
        .size:           2
        .value_kind:     hidden_remainder_z
      - .offset:         104
        .size:           8
        .value_kind:     hidden_global_offset_x
      - .offset:         112
        .size:           8
        .value_kind:     hidden_global_offset_y
      - .offset:         120
        .size:           8
        .value_kind:     hidden_global_offset_z
      - .offset:         128
        .size:           2
        .value_kind:     hidden_grid_dims
      - .offset:         184
        .size:           4
        .value_kind:     hidden_dynamic_lds_size
    .group_segment_fixed_size: 0
    .kernarg_segment_align: 8
    .kernarg_segment_size: 320
    .language:       OpenCL C
    .language_version:
      - 2
      - 0
    .max_flat_workgroup_size: 256
    .name:           _ZN2at6native12_GLOBAL__N_135GammaBetaBackwardCUDAKernelTemplateIN3c108BFloat16EfLj32ELj8ELj64ELb0ELb0ELb1EEEvllPKT_S7_PKT0_SA_PS5_SB_
    .private_segment_fixed_size: 0
    .sgpr_count:     46
    .sgpr_spill_count: 0
    .symbol:         _ZN2at6native12_GLOBAL__N_135GammaBetaBackwardCUDAKernelTemplateIN3c108BFloat16EfLj32ELj8ELj64ELb0ELb0ELb1EEEvllPKT_S7_PKT0_SA_PS5_SB_.kd
    .uniform_work_group_size: 1
    .uses_dynamic_stack: false
    .vgpr_count:     100
    .vgpr_spill_count: 0
    .wavefront_size: 64
  - .agpr_count:     0
    .args:
      - .offset:         0
        .size:           8
        .value_kind:     by_value
      - .offset:         8
        .size:           8
        .value_kind:     by_value
      - .actual_access:  read_only
        .address_space:  global
        .offset:         16
        .size:           8
        .value_kind:     global_buffer
      - .actual_access:  read_only
        .address_space:  global
        .offset:         24
        .size:           8
        .value_kind:     global_buffer
      - .actual_access:  read_only
        .address_space:  global
        .offset:         32
        .size:           8
        .value_kind:     global_buffer
      - .actual_access:  read_only
        .address_space:  global
        .offset:         40
        .size:           8
        .value_kind:     global_buffer
      - .actual_access:  write_only
        .address_space:  global
        .offset:         48
        .size:           8
        .value_kind:     global_buffer
      - .actual_access:  read_only
        .address_space:  global
        .offset:         56
        .size:           8
        .value_kind:     global_buffer
      - .offset:         64
        .size:           4
        .value_kind:     hidden_block_count_x
      - .offset:         68
        .size:           4
        .value_kind:     hidden_block_count_y
      - .offset:         72
        .size:           4
        .value_kind:     hidden_block_count_z
      - .offset:         76
        .size:           2
        .value_kind:     hidden_group_size_x
      - .offset:         78
        .size:           2
        .value_kind:     hidden_group_size_y
      - .offset:         80
        .size:           2
        .value_kind:     hidden_group_size_z
      - .offset:         82
        .size:           2
        .value_kind:     hidden_remainder_x
      - .offset:         84
        .size:           2
        .value_kind:     hidden_remainder_y
      - .offset:         86
        .size:           2
        .value_kind:     hidden_remainder_z
      - .offset:         104
        .size:           8
        .value_kind:     hidden_global_offset_x
      - .offset:         112
        .size:           8
        .value_kind:     hidden_global_offset_y
      - .offset:         120
        .size:           8
        .value_kind:     hidden_global_offset_z
      - .offset:         128
        .size:           2
        .value_kind:     hidden_grid_dims
      - .offset:         184
        .size:           4
        .value_kind:     hidden_dynamic_lds_size
    .group_segment_fixed_size: 0
    .kernarg_segment_align: 8
    .kernarg_segment_size: 320
    .language:       OpenCL C
    .language_version:
      - 2
      - 0
    .max_flat_workgroup_size: 512
    .name:           _ZN2at6native12_GLOBAL__N_135GammaBetaBackwardCUDAKernelTemplateIN3c108BFloat16EfLj32ELj16ELj128ELb0ELb1ELb1EEEvllPKT_S7_PKT0_SA_PS5_SB_
    .private_segment_fixed_size: 0
    .sgpr_count:     30
    .sgpr_spill_count: 0
    .symbol:         _ZN2at6native12_GLOBAL__N_135GammaBetaBackwardCUDAKernelTemplateIN3c108BFloat16EfLj32ELj16ELj128ELb0ELb1ELb1EEEvllPKT_S7_PKT0_SA_PS5_SB_.kd
    .uniform_work_group_size: 1
    .uses_dynamic_stack: false
    .vgpr_count:     57
    .vgpr_spill_count: 0
    .wavefront_size: 64
  - .agpr_count:     0
    .args:
      - .offset:         0
        .size:           8
        .value_kind:     by_value
      - .offset:         8
        .size:           8
        .value_kind:     by_value
      - .actual_access:  read_only
        .address_space:  global
        .offset:         16
        .size:           8
        .value_kind:     global_buffer
      - .actual_access:  read_only
        .address_space:  global
        .offset:         24
        .size:           8
        .value_kind:     global_buffer
      - .actual_access:  read_only
        .address_space:  global
        .offset:         32
        .size:           8
        .value_kind:     global_buffer
      - .actual_access:  read_only
        .address_space:  global
        .offset:         40
        .size:           8
        .value_kind:     global_buffer
      - .actual_access:  write_only
        .address_space:  global
        .offset:         48
        .size:           8
        .value_kind:     global_buffer
      - .actual_access:  read_only
        .address_space:  global
        .offset:         56
        .size:           8
        .value_kind:     global_buffer
      - .offset:         64
        .size:           4
        .value_kind:     hidden_block_count_x
      - .offset:         68
        .size:           4
        .value_kind:     hidden_block_count_y
      - .offset:         72
        .size:           4
        .value_kind:     hidden_block_count_z
      - .offset:         76
        .size:           2
        .value_kind:     hidden_group_size_x
      - .offset:         78
        .size:           2
        .value_kind:     hidden_group_size_y
      - .offset:         80
        .size:           2
        .value_kind:     hidden_group_size_z
      - .offset:         82
        .size:           2
        .value_kind:     hidden_remainder_x
      - .offset:         84
        .size:           2
        .value_kind:     hidden_remainder_y
      - .offset:         86
        .size:           2
        .value_kind:     hidden_remainder_z
      - .offset:         104
        .size:           8
        .value_kind:     hidden_global_offset_x
      - .offset:         112
        .size:           8
        .value_kind:     hidden_global_offset_y
      - .offset:         120
        .size:           8
        .value_kind:     hidden_global_offset_z
      - .offset:         128
        .size:           2
        .value_kind:     hidden_grid_dims
      - .offset:         184
        .size:           4
        .value_kind:     hidden_dynamic_lds_size
    .group_segment_fixed_size: 0
    .kernarg_segment_align: 8
    .kernarg_segment_size: 320
    .language:       OpenCL C
    .language_version:
      - 2
      - 0
    .max_flat_workgroup_size: 512
    .name:           _ZN2at6native12_GLOBAL__N_135GammaBetaBackwardCUDAKernelTemplateIN3c108BFloat16EfLj32ELj16ELj128ELb0ELb0ELb1EEEvllPKT_S7_PKT0_SA_PS5_SB_
    .private_segment_fixed_size: 0
    .sgpr_count:     46
    .sgpr_spill_count: 0
    .symbol:         _ZN2at6native12_GLOBAL__N_135GammaBetaBackwardCUDAKernelTemplateIN3c108BFloat16EfLj32ELj16ELj128ELb0ELb0ELb1EEEvllPKT_S7_PKT0_SA_PS5_SB_.kd
    .uniform_work_group_size: 1
    .uses_dynamic_stack: false
    .vgpr_count:     100
    .vgpr_spill_count: 0
    .wavefront_size: 64
  - .agpr_count:     0
    .args:
      - .offset:         0
        .size:           8
        .value_kind:     by_value
      - .offset:         8
        .size:           8
        .value_kind:     by_value
      - .actual_access:  read_only
        .address_space:  global
        .offset:         16
        .size:           8
        .value_kind:     global_buffer
      - .actual_access:  read_only
        .address_space:  global
        .offset:         24
        .size:           8
        .value_kind:     global_buffer
      - .actual_access:  read_only
        .address_space:  global
        .offset:         32
        .size:           8
        .value_kind:     global_buffer
      - .actual_access:  read_only
        .address_space:  global
        .offset:         40
        .size:           8
        .value_kind:     global_buffer
      - .actual_access:  write_only
        .address_space:  global
        .offset:         48
        .size:           8
        .value_kind:     global_buffer
      - .actual_access:  read_only
        .address_space:  global
        .offset:         56
        .size:           8
        .value_kind:     global_buffer
      - .offset:         64
        .size:           4
        .value_kind:     hidden_block_count_x
      - .offset:         68
        .size:           4
        .value_kind:     hidden_block_count_y
      - .offset:         72
        .size:           4
        .value_kind:     hidden_block_count_z
      - .offset:         76
        .size:           2
        .value_kind:     hidden_group_size_x
      - .offset:         78
        .size:           2
        .value_kind:     hidden_group_size_y
      - .offset:         80
        .size:           2
        .value_kind:     hidden_group_size_z
      - .offset:         82
        .size:           2
        .value_kind:     hidden_remainder_x
      - .offset:         84
        .size:           2
        .value_kind:     hidden_remainder_y
      - .offset:         86
        .size:           2
        .value_kind:     hidden_remainder_z
      - .offset:         104
        .size:           8
        .value_kind:     hidden_global_offset_x
      - .offset:         112
        .size:           8
        .value_kind:     hidden_global_offset_y
      - .offset:         120
        .size:           8
        .value_kind:     hidden_global_offset_z
      - .offset:         128
        .size:           2
        .value_kind:     hidden_grid_dims
      - .offset:         184
        .size:           4
        .value_kind:     hidden_dynamic_lds_size
    .group_segment_fixed_size: 0
    .kernarg_segment_align: 8
    .kernarg_segment_size: 320
    .language:       OpenCL C
    .language_version:
      - 2
      - 0
    .max_flat_workgroup_size: 1024
    .name:           _ZN2at6native12_GLOBAL__N_135GammaBetaBackwardCUDAKernelTemplateIN3c108BFloat16EfLj32ELj32ELj256ELb0ELb1ELb1EEEvllPKT_S7_PKT0_SA_PS5_SB_
    .private_segment_fixed_size: 0
    .sgpr_count:     30
    .sgpr_spill_count: 0
    .symbol:         _ZN2at6native12_GLOBAL__N_135GammaBetaBackwardCUDAKernelTemplateIN3c108BFloat16EfLj32ELj32ELj256ELb0ELb1ELb1EEEvllPKT_S7_PKT0_SA_PS5_SB_.kd
    .uniform_work_group_size: 1
    .uses_dynamic_stack: false
    .vgpr_count:     57
    .vgpr_spill_count: 0
    .wavefront_size: 64
  - .agpr_count:     0
    .args:
      - .offset:         0
        .size:           8
        .value_kind:     by_value
      - .offset:         8
        .size:           8
        .value_kind:     by_value
      - .actual_access:  read_only
        .address_space:  global
        .offset:         16
        .size:           8
        .value_kind:     global_buffer
      - .actual_access:  read_only
        .address_space:  global
        .offset:         24
        .size:           8
        .value_kind:     global_buffer
      - .actual_access:  read_only
        .address_space:  global
        .offset:         32
        .size:           8
        .value_kind:     global_buffer
      - .actual_access:  read_only
        .address_space:  global
        .offset:         40
        .size:           8
        .value_kind:     global_buffer
      - .actual_access:  write_only
        .address_space:  global
        .offset:         48
        .size:           8
        .value_kind:     global_buffer
      - .actual_access:  read_only
        .address_space:  global
        .offset:         56
        .size:           8
        .value_kind:     global_buffer
      - .offset:         64
        .size:           4
        .value_kind:     hidden_block_count_x
      - .offset:         68
        .size:           4
        .value_kind:     hidden_block_count_y
      - .offset:         72
        .size:           4
        .value_kind:     hidden_block_count_z
      - .offset:         76
        .size:           2
        .value_kind:     hidden_group_size_x
      - .offset:         78
        .size:           2
        .value_kind:     hidden_group_size_y
      - .offset:         80
        .size:           2
        .value_kind:     hidden_group_size_z
      - .offset:         82
        .size:           2
        .value_kind:     hidden_remainder_x
      - .offset:         84
        .size:           2
        .value_kind:     hidden_remainder_y
      - .offset:         86
        .size:           2
        .value_kind:     hidden_remainder_z
      - .offset:         104
        .size:           8
        .value_kind:     hidden_global_offset_x
      - .offset:         112
        .size:           8
        .value_kind:     hidden_global_offset_y
      - .offset:         120
        .size:           8
        .value_kind:     hidden_global_offset_z
      - .offset:         128
        .size:           2
        .value_kind:     hidden_grid_dims
      - .offset:         184
        .size:           4
        .value_kind:     hidden_dynamic_lds_size
    .group_segment_fixed_size: 0
    .kernarg_segment_align: 8
    .kernarg_segment_size: 320
    .language:       OpenCL C
    .language_version:
      - 2
      - 0
    .max_flat_workgroup_size: 1024
    .name:           _ZN2at6native12_GLOBAL__N_135GammaBetaBackwardCUDAKernelTemplateIN3c108BFloat16EfLj32ELj32ELj256ELb0ELb0ELb1EEEvllPKT_S7_PKT0_SA_PS5_SB_
    .private_segment_fixed_size: 0
    .sgpr_count:     46
    .sgpr_spill_count: 0
    .symbol:         _ZN2at6native12_GLOBAL__N_135GammaBetaBackwardCUDAKernelTemplateIN3c108BFloat16EfLj32ELj32ELj256ELb0ELb0ELb1EEEvllPKT_S7_PKT0_SA_PS5_SB_.kd
    .uniform_work_group_size: 1
    .uses_dynamic_stack: false
    .vgpr_count:     96
    .vgpr_spill_count: 0
    .wavefront_size: 64
amdhsa.target:   amdgcn-amd-amdhsa--gfx90a
amdhsa.version:
  - 1
  - 2
...

	.end_amdgpu_metadata
